;; amdgpu-corpus repo=ROCm/aiter kind=compiled arch=gfx90a opt=O3
	.text
	.amdgcn_target "amdgcn-amd-amdhsa--gfx90a"
	.amdhsa_code_object_version 6
	.section	.text._ZN7ck_tileL11flush_cacheEv,"axG",@progbits,_ZN7ck_tileL11flush_cacheEv,comdat
	.globl	_ZN7ck_tileL11flush_cacheEv     ; -- Begin function _ZN7ck_tileL11flush_cacheEv
	.p2align	8
	.type	_ZN7ck_tileL11flush_cacheEv,@function
_ZN7ck_tileL11flush_cacheEv:            ; @_ZN7ck_tileL11flush_cacheEv
; %bb.0:
	;;#ASMSTART
	s_icache_inv 
	s_nop 0 
	s_nop 0 
	;; [unrolled: 1-line block ×16, first 2 shown]
	
	;;#ASMEND
	s_endpgm
	.section	.rodata,"a",@progbits
	.p2align	6, 0x0
	.amdhsa_kernel _ZN7ck_tileL11flush_cacheEv
		.amdhsa_group_segment_fixed_size 0
		.amdhsa_private_segment_fixed_size 0
		.amdhsa_kernarg_size 0
		.amdhsa_user_sgpr_count 4
		.amdhsa_user_sgpr_private_segment_buffer 1
		.amdhsa_user_sgpr_dispatch_ptr 0
		.amdhsa_user_sgpr_queue_ptr 0
		.amdhsa_user_sgpr_kernarg_segment_ptr 0
		.amdhsa_user_sgpr_dispatch_id 0
		.amdhsa_user_sgpr_flat_scratch_init 0
		.amdhsa_user_sgpr_kernarg_preload_length 0
		.amdhsa_user_sgpr_kernarg_preload_offset 0
		.amdhsa_user_sgpr_private_segment_size 0
		.amdhsa_uses_dynamic_stack 0
		.amdhsa_system_sgpr_private_segment_wavefront_offset 0
		.amdhsa_system_sgpr_workgroup_id_x 1
		.amdhsa_system_sgpr_workgroup_id_y 0
		.amdhsa_system_sgpr_workgroup_id_z 0
		.amdhsa_system_sgpr_workgroup_info 0
		.amdhsa_system_vgpr_workitem_id 0
		.amdhsa_next_free_vgpr 1
		.amdhsa_next_free_sgpr 0
		.amdhsa_accum_offset 4
		.amdhsa_reserve_vcc 0
		.amdhsa_reserve_flat_scratch 0
		.amdhsa_float_round_mode_32 0
		.amdhsa_float_round_mode_16_64 0
		.amdhsa_float_denorm_mode_32 3
		.amdhsa_float_denorm_mode_16_64 3
		.amdhsa_dx10_clamp 1
		.amdhsa_ieee_mode 1
		.amdhsa_fp16_overflow 0
		.amdhsa_tg_split 0
		.amdhsa_exception_fp_ieee_invalid_op 0
		.amdhsa_exception_fp_denorm_src 0
		.amdhsa_exception_fp_ieee_div_zero 0
		.amdhsa_exception_fp_ieee_overflow 0
		.amdhsa_exception_fp_ieee_underflow 0
		.amdhsa_exception_fp_ieee_inexact 0
		.amdhsa_exception_int_div_zero 0
	.end_amdhsa_kernel
	.section	.text._ZN7ck_tileL11flush_cacheEv,"axG",@progbits,_ZN7ck_tileL11flush_cacheEv,comdat
.Lfunc_end0:
	.size	_ZN7ck_tileL11flush_cacheEv, .Lfunc_end0-_ZN7ck_tileL11flush_cacheEv
                                        ; -- End function
	.section	.AMDGPU.csdata,"",@progbits
; Kernel info:
; codeLenInByte = 140
; NumSgprs: 4
; NumVgprs: 0
; NumAgprs: 0
; TotalNumVgprs: 0
; ScratchSize: 0
; MemoryBound: 0
; FloatMode: 240
; IeeeMode: 1
; LDSByteSize: 0 bytes/workgroup (compile time only)
; SGPRBlocks: 0
; VGPRBlocks: 0
; NumSGPRsForWavesPerEU: 4
; NumVGPRsForWavesPerEU: 1
; AccumOffset: 4
; Occupancy: 8
; WaveLimiterHint : 0
; COMPUTE_PGM_RSRC2:SCRATCH_EN: 0
; COMPUTE_PGM_RSRC2:USER_SGPR: 4
; COMPUTE_PGM_RSRC2:TRAP_HANDLER: 0
; COMPUTE_PGM_RSRC2:TGID_X_EN: 1
; COMPUTE_PGM_RSRC2:TGID_Y_EN: 0
; COMPUTE_PGM_RSRC2:TGID_Z_EN: 0
; COMPUTE_PGM_RSRC2:TIDIG_COMP_CNT: 0
; COMPUTE_PGM_RSRC3_GFX90A:ACCUM_OFFSET: 0
; COMPUTE_PGM_RSRC3_GFX90A:TG_SPLIT: 0
	.text
	.protected	_ZN5aiter15initializeScaleEPfif ; -- Begin function _ZN5aiter15initializeScaleEPfif
	.globl	_ZN5aiter15initializeScaleEPfif
	.p2align	8
	.type	_ZN5aiter15initializeScaleEPfif,@function
_ZN5aiter15initializeScaleEPfif:        ; @_ZN5aiter15initializeScaleEPfif
; %bb.0:
	s_load_dword s2, s[4:5], 0x1c
	s_load_dwordx2 s[0:1], s[4:5], 0x8
	s_waitcnt lgkmcnt(0)
	s_and_b32 s2, s2, 0xffff
	s_mul_i32 s6, s6, s2
	v_add_u32_e32 v0, s6, v0
	v_cmp_gt_i32_e32 vcc, s0, v0
	s_and_saveexec_b64 s[2:3], vcc
	s_cbranch_execz .LBB1_2
; %bb.1:
	s_load_dwordx2 s[2:3], s[4:5], 0x0
	v_ashrrev_i32_e32 v1, 31, v0
	v_lshlrev_b64 v[0:1], 2, v[0:1]
	s_waitcnt lgkmcnt(0)
	v_mov_b32_e32 v2, s3
	v_add_co_u32_e32 v0, vcc, s2, v0
	v_addc_co_u32_e32 v1, vcc, v2, v1, vcc
	v_mov_b32_e32 v2, s1
	global_store_dword v[0:1], v2, off
.LBB1_2:
	s_endpgm
	.section	.rodata,"a",@progbits
	.p2align	6, 0x0
	.amdhsa_kernel _ZN5aiter15initializeScaleEPfif
		.amdhsa_group_segment_fixed_size 0
		.amdhsa_private_segment_fixed_size 0
		.amdhsa_kernarg_size 272
		.amdhsa_user_sgpr_count 6
		.amdhsa_user_sgpr_private_segment_buffer 1
		.amdhsa_user_sgpr_dispatch_ptr 0
		.amdhsa_user_sgpr_queue_ptr 0
		.amdhsa_user_sgpr_kernarg_segment_ptr 1
		.amdhsa_user_sgpr_dispatch_id 0
		.amdhsa_user_sgpr_flat_scratch_init 0
		.amdhsa_user_sgpr_kernarg_preload_length 0
		.amdhsa_user_sgpr_kernarg_preload_offset 0
		.amdhsa_user_sgpr_private_segment_size 0
		.amdhsa_uses_dynamic_stack 0
		.amdhsa_system_sgpr_private_segment_wavefront_offset 0
		.amdhsa_system_sgpr_workgroup_id_x 1
		.amdhsa_system_sgpr_workgroup_id_y 0
		.amdhsa_system_sgpr_workgroup_id_z 0
		.amdhsa_system_sgpr_workgroup_info 0
		.amdhsa_system_vgpr_workitem_id 0
		.amdhsa_next_free_vgpr 3
		.amdhsa_next_free_sgpr 7
		.amdhsa_accum_offset 4
		.amdhsa_reserve_vcc 1
		.amdhsa_reserve_flat_scratch 0
		.amdhsa_float_round_mode_32 0
		.amdhsa_float_round_mode_16_64 0
		.amdhsa_float_denorm_mode_32 3
		.amdhsa_float_denorm_mode_16_64 3
		.amdhsa_dx10_clamp 1
		.amdhsa_ieee_mode 1
		.amdhsa_fp16_overflow 0
		.amdhsa_tg_split 0
		.amdhsa_exception_fp_ieee_invalid_op 0
		.amdhsa_exception_fp_denorm_src 0
		.amdhsa_exception_fp_ieee_div_zero 0
		.amdhsa_exception_fp_ieee_overflow 0
		.amdhsa_exception_fp_ieee_underflow 0
		.amdhsa_exception_fp_ieee_inexact 0
		.amdhsa_exception_int_div_zero 0
	.end_amdhsa_kernel
	.text
.Lfunc_end1:
	.size	_ZN5aiter15initializeScaleEPfif, .Lfunc_end1-_ZN5aiter15initializeScaleEPfif
                                        ; -- End function
	.section	.AMDGPU.csdata,"",@progbits
; Kernel info:
; codeLenInByte = 100
; NumSgprs: 11
; NumVgprs: 3
; NumAgprs: 0
; TotalNumVgprs: 3
; ScratchSize: 0
; MemoryBound: 0
; FloatMode: 240
; IeeeMode: 1
; LDSByteSize: 0 bytes/workgroup (compile time only)
; SGPRBlocks: 1
; VGPRBlocks: 0
; NumSGPRsForWavesPerEU: 11
; NumVGPRsForWavesPerEU: 3
; AccumOffset: 4
; Occupancy: 8
; WaveLimiterHint : 0
; COMPUTE_PGM_RSRC2:SCRATCH_EN: 0
; COMPUTE_PGM_RSRC2:USER_SGPR: 6
; COMPUTE_PGM_RSRC2:TRAP_HANDLER: 0
; COMPUTE_PGM_RSRC2:TGID_X_EN: 1
; COMPUTE_PGM_RSRC2:TGID_Y_EN: 0
; COMPUTE_PGM_RSRC2:TGID_Z_EN: 0
; COMPUTE_PGM_RSRC2:TIDIG_COMP_CNT: 0
; COMPUTE_PGM_RSRC3_GFX90A:ACCUM_OFFSET: 0
; COMPUTE_PGM_RSRC3_GFX90A:TG_SPLIT: 0
	.section	.text._ZN5aiter19scaled_quant_kernelIDF16_DB8_EEvPT0_PKT_PKfi,"axG",@progbits,_ZN5aiter19scaled_quant_kernelIDF16_DB8_EEvPT0_PKT_PKfi,comdat
	.protected	_ZN5aiter19scaled_quant_kernelIDF16_DB8_EEvPT0_PKT_PKfi ; -- Begin function _ZN5aiter19scaled_quant_kernelIDF16_DB8_EEvPT0_PKT_PKfi
	.globl	_ZN5aiter19scaled_quant_kernelIDF16_DB8_EEvPT0_PKT_PKfi
	.p2align	8
	.type	_ZN5aiter19scaled_quant_kernelIDF16_DB8_EEvPT0_PKT_PKfi,@function
_ZN5aiter19scaled_quant_kernelIDF16_DB8_EEvPT0_PKT_PKfi: ; @_ZN5aiter19scaled_quant_kernelIDF16_DB8_EEvPT0_PKT_PKfi
; %bb.0:
	s_load_dwordx2 s[10:11], s[4:5], 0x10
	s_load_dword s9, s[4:5], 0x18
	s_load_dwordx4 s[0:3], s[4:5], 0x0
                                        ; implicit-def: $vgpr2_vgpr3_vgpr4_vgpr5_vgpr6_vgpr7_vgpr8_vgpr9
	s_waitcnt lgkmcnt(0)
	s_load_dword s12, s[10:11], 0x0
	s_mul_i32 s10, s6, s9
	s_mov_b32 s11, 0
	s_lshl_b64 s[4:5], s[10:11], 1
	s_add_u32 s4, s2, s4
	s_addc_u32 s2, s3, s5
	s_add_i32 s3, s9, 1
	s_lshr_b32 s5, s3, 31
	s_add_i32 s3, s3, s5
	s_lshl_b32 s3, s3, 1
	s_and_b32 s5, s2, 0xffff
	s_add_i32 s2, s9, 15
	s_and_b32 s6, s3, -4
	s_ashr_i32 s3, s2, 31
	s_lshr_b32 s3, s3, 28
	s_add_i32 s2, s2, s3
	s_ashr_i32 s8, s2, 4
	v_cmp_gt_u32_e32 vcc, s8, v0
	s_and_saveexec_b64 s[2:3], vcc
	s_cbranch_execz .LBB2_2
; %bb.1:
	v_lshlrev_b32_e32 v1, 5, v0
	s_mov_b32 s7, 0x20000
	buffer_load_dwordx4 v[2:5], v1, s[4:7], 0 offen
	buffer_load_dwordx4 v[6:9], v1, s[4:7], 16 offen
.LBB2_2:
	s_or_b64 exec, exec, s[2:3]
	s_add_u32 s0, s0, s10
	s_addc_u32 s1, s1, 0
	s_add_i32 s2, s9, 3
	s_waitcnt lgkmcnt(0)
	v_rcp_f32_e32 v18, s12
	s_ashr_i32 s3, s2, 31
	s_lshr_b32 s3, s3, 30
	s_add_i32 s2, s2, s3
	v_add_u32_e32 v20, 0x100, v0
	s_and_b32 s2, s2, -4
	s_and_b32 s1, s1, 0xffff
	s_ashr_i32 s9, s8, 31
	v_mov_b32_e32 v21, 0
	v_cmp_gt_u32_e32 vcc, s8, v20
	s_and_saveexec_b64 s[10:11], vcc
	s_cbranch_execz .LBB2_6
; %bb.3:
	v_mov_b32_e32 v10, 0x2000
	s_mov_b32 s7, 0x20000
	v_mov_b32_e32 v19, v18
	v_lshlrev_b32_e32 v1, 4, v0
	v_lshl_add_u32 v0, v0, 5, v10
	s_mov_b64 s[12:13], 0
	v_mov_b32_e32 v22, 0xc3e00000
	v_mov_b32_e32 v23, 0x43e00000
	s_mov_b32 s14, 0x5040100
	s_mov_b32 s15, 0x1060504
	;; [unrolled: 1-line block ×4, first 2 shown]
.LBB2_4:                                ; =>This Inner Loop Header: Depth=1
	buffer_load_dwordx4 v[10:13], v0, s[4:7], 0 offen
	buffer_load_dwordx4 v[14:17], v0, s[4:7], 16 offen
	s_waitcnt vmcnt(3)
	v_cvt_f32_f16_sdwa v25, v2 dst_sel:DWORD dst_unused:UNUSED_PAD src0_sel:WORD_1
	v_cvt_f32_f16_e32 v24, v2
	v_cvt_f32_f16_sdwa v27, v3 dst_sel:DWORD dst_unused:UNUSED_PAD src0_sel:WORD_1
	v_cvt_f32_f16_e32 v26, v3
	;; [unrolled: 2-line block ×4, first 2 shown]
	s_waitcnt vmcnt(2)
	v_cvt_f32_f16_sdwa v5, v6 dst_sel:DWORD dst_unused:UNUSED_PAD src0_sel:WORD_1
	v_cvt_f32_f16_e32 v4, v6
	v_cvt_f32_f16_sdwa v31, v7 dst_sel:DWORD dst_unused:UNUSED_PAD src0_sel:WORD_1
	v_cvt_f32_f16_e32 v30, v7
	;; [unrolled: 2-line block ×4, first 2 shown]
	;;#ASMSTART
	v_pk_mul_f32 v[8:9], v[24:25], v[18:19]
	;;#ASMEND
	;;#ASMSTART
	v_med3_f32 v8, v8, v22, v23
v_med3_f32 v9, v9, v22, v23
v_cvt_pk_fp8_f32 v24, v8, v9
	;;#ASMEND
	;;#ASMSTART
	v_pk_mul_f32 v[8:9], v[26:27], v[18:19]
	;;#ASMEND
	;;#ASMSTART
	v_med3_f32 v8, v8, v22, v23
v_med3_f32 v9, v9, v22, v23
v_cvt_pk_fp8_f32 v25, v8, v9
	;;#ASMEND
	;;#ASMSTART
	v_pk_mul_f32 v[8:9], v[2:3], v[18:19]
	;;#ASMEND
	v_mov_b32_e32 v3, v9
	v_perm_b32 v2, v25, v24, s14
	;;#ASMSTART
	v_med3_f32 v8, v8, v22, v23
v_med3_f32 v3, v3, v22, v23
v_cvt_pk_fp8_f32 v24, v8, v3
	;;#ASMEND
	;;#ASMSTART
	v_pk_mul_f32 v[8:9], v[28:29], v[18:19]
	;;#ASMEND
	v_mov_b32_e32 v3, v9
	;;#ASMSTART
	v_med3_f32 v8, v8, v22, v23
v_med3_f32 v3, v3, v22, v23
v_cvt_pk_fp8_f32 v9, v8, v3
	;;#ASMEND
	;;#ASMSTART
	v_pk_mul_f32 v[4:5], v[4:5], v[18:19]
	;;#ASMEND
	;;#ASMSTART
	v_med3_f32 v4, v4, v22, v23
v_med3_f32 v5, v5, v22, v23
v_cvt_pk_fp8_f32 v8, v4, v5
	;;#ASMEND
	;;#ASMSTART
	v_pk_mul_f32 v[4:5], v[30:31], v[18:19]
	;;#ASMEND
	v_perm_b32 v3, v24, v9, s16
	;;#ASMSTART
	v_med3_f32 v4, v4, v22, v23
v_med3_f32 v5, v5, v22, v23
v_cvt_pk_fp8_f32 v9, v4, v5
	;;#ASMEND
	;;#ASMSTART
	v_pk_mul_f32 v[6:7], v[6:7], v[18:19]
	;;#ASMEND
	v_mov_b32_e32 v5, v7
	v_perm_b32 v4, v8, v9, s16
	;;#ASMSTART
	v_med3_f32 v6, v6, v22, v23
v_med3_f32 v5, v5, v22, v23
v_cvt_pk_fp8_f32 v8, v6, v5
	;;#ASMEND
	;;#ASMSTART
	v_pk_mul_f32 v[6:7], v[32:33], v[18:19]
	;;#ASMEND
	v_mov_b32_e32 v5, v7
	v_add_co_u32_e32 v20, vcc, 0x100, v20
	;;#ASMSTART
	v_med3_f32 v6, v6, v22, v23
v_med3_f32 v5, v5, v22, v23
v_cvt_pk_fp8_f32 v7, v6, v5
	;;#ASMEND
	v_addc_co_u32_e32 v21, vcc, 0, v21, vcc
	v_perm_b32 v2, v2, v25, s15
	v_perm_b32 v5, v8, v7, s16
	v_cmp_le_u64_e32 vcc, s[8:9], v[20:21]
	buffer_store_dwordx4 v[2:5], v1, s[0:3], 0 offen
	v_add_u32_e32 v0, 0x2000, v0
	s_or_b64 s[12:13], vcc, s[12:13]
	v_add_u32_e32 v1, 0x1000, v1
	;;#ASMSTART
	s_nop 0
	;;#ASMEND
	s_waitcnt vmcnt(1)
	v_pk_mov_b32 v[2:3], v[10:11], v[10:11] op_sel:[0,1]
	v_pk_mov_b32 v[4:5], v[12:13], v[12:13] op_sel:[0,1]
	;; [unrolled: 1-line block ×4, first 2 shown]
	s_andn2_b64 exec, exec, s[12:13]
	s_cbranch_execnz .LBB2_4
; %bb.5:
	s_or_b64 exec, exec, s[12:13]
	v_pk_mov_b32 v[2:3], v[10:11], v[10:11] op_sel:[0,1]
	v_pk_mov_b32 v[4:5], v[12:13], v[12:13] op_sel:[0,1]
	;; [unrolled: 1-line block ×4, first 2 shown]
.LBB2_6:
	s_or_b64 exec, exec, s[10:11]
	v_add_co_u32_e32 v0, vcc, 0xffffff00, v20
	v_addc_co_u32_e32 v1, vcc, -1, v21, vcc
	v_cmp_gt_u64_e32 vcc, s[8:9], v[0:1]
	s_and_saveexec_b64 s[4:5], vcc
	s_cbranch_execz .LBB2_8
; %bb.7:
	v_lshlrev_b32_e32 v20, 4, v0
	s_waitcnt vmcnt(1)
	v_cvt_f32_f16_sdwa v1, v2 dst_sel:DWORD dst_unused:UNUSED_PAD src0_sel:WORD_1
	v_cvt_f32_f16_e32 v0, v2
	v_mov_b32_e32 v19, v18
	;;#ASMSTART
	v_pk_mul_f32 v[0:1], v[0:1], v[18:19]
	;;#ASMEND
	v_cvt_f32_f16_sdwa v11, v3 dst_sel:DWORD dst_unused:UNUSED_PAD src0_sel:WORD_1
	v_cvt_f32_f16_e32 v10, v3
	v_cvt_f32_f16_sdwa v3, v4 dst_sel:DWORD dst_unused:UNUSED_PAD src0_sel:WORD_1
	v_cvt_f32_f16_e32 v2, v4
	;; [unrolled: 2-line block ×3, first 2 shown]
	s_waitcnt vmcnt(0)
	v_cvt_f32_f16_sdwa v5, v6 dst_sel:DWORD dst_unused:UNUSED_PAD src0_sel:WORD_1
	v_cvt_f32_f16_e32 v4, v6
	v_cvt_f32_f16_sdwa v15, v7 dst_sel:DWORD dst_unused:UNUSED_PAD src0_sel:WORD_1
	v_cvt_f32_f16_e32 v14, v7
	;; [unrolled: 2-line block ×4, first 2 shown]
	v_mov_b32_e32 v8, 0xc3e00000
	v_mov_b32_e32 v9, 0x43e00000
	;;#ASMSTART
	v_med3_f32 v0, v0, v8, v9
v_med3_f32 v1, v1, v8, v9
v_cvt_pk_fp8_f32 v21, v0, v1
	;;#ASMEND
	;;#ASMSTART
	v_pk_mul_f32 v[0:1], v[10:11], v[18:19]
	;;#ASMEND
	;;#ASMSTART
	v_med3_f32 v0, v0, v8, v9
v_med3_f32 v1, v1, v8, v9
v_cvt_pk_fp8_f32 v10, v0, v1
	;;#ASMEND
	s_mov_b32 s3, 0x5040100
	v_perm_b32 v0, v10, v21, s3
	s_mov_b32 s3, 0x1060504
	;;#ASMSTART
	v_pk_mul_f32 v[2:3], v[2:3], v[18:19]
	;;#ASMEND
	v_mov_b32_e32 v1, v3
	v_perm_b32 v0, v0, v10, s3
	;;#ASMSTART
	v_med3_f32 v2, v2, v8, v9
v_med3_f32 v1, v1, v8, v9
v_cvt_pk_fp8_f32 v10, v2, v1
	;;#ASMEND
	;;#ASMSTART
	v_pk_mul_f32 v[2:3], v[12:13], v[18:19]
	;;#ASMEND
	v_mov_b32_e32 v1, v2
	;;#ASMSTART
	v_med3_f32 v1, v1, v8, v9
v_med3_f32 v3, v3, v8, v9
v_cvt_pk_fp8_f32 v2, v1, v3
	;;#ASMEND
	s_mov_b32 s3, 0x1000504
	v_perm_b32 v1, v10, v2, s3
	;;#ASMSTART
	v_pk_mul_f32 v[2:3], v[4:5], v[18:19]
	;;#ASMEND
	;;#ASMSTART
	v_med3_f32 v2, v2, v8, v9
v_med3_f32 v3, v3, v8, v9
v_cvt_pk_fp8_f32 v4, v2, v3
	;;#ASMEND
	;;#ASMSTART
	v_pk_mul_f32 v[2:3], v[14:15], v[18:19]
	;;#ASMEND
	;;#ASMSTART
	v_med3_f32 v2, v2, v8, v9
v_med3_f32 v3, v3, v8, v9
v_cvt_pk_fp8_f32 v5, v2, v3
	;;#ASMEND
	v_perm_b32 v2, v4, v5, s3
	;;#ASMSTART
	v_pk_mul_f32 v[4:5], v[6:7], v[18:19]
	;;#ASMEND
	v_mov_b32_e32 v3, v5
	;;#ASMSTART
	v_med3_f32 v4, v4, v8, v9
v_med3_f32 v3, v3, v8, v9
v_cvt_pk_fp8_f32 v6, v4, v3
	;;#ASMEND
	;;#ASMSTART
	v_pk_mul_f32 v[4:5], v[16:17], v[18:19]
	;;#ASMEND
	v_mov_b32_e32 v3, v4
	;;#ASMSTART
	v_med3_f32 v3, v3, v8, v9
v_med3_f32 v5, v5, v8, v9
v_cvt_pk_fp8_f32 v4, v3, v5
	;;#ASMEND
	v_perm_b32 v3, v6, v4, s3
	s_mov_b32 s3, 0x20000
	buffer_store_dwordx4 v[0:3], v20, s[0:3], 0 offen
	;;#ASMSTART
	s_nop 0
	;;#ASMEND
.LBB2_8:
	s_endpgm
	.section	.rodata,"a",@progbits
	.p2align	6, 0x0
	.amdhsa_kernel _ZN5aiter19scaled_quant_kernelIDF16_DB8_EEvPT0_PKT_PKfi
		.amdhsa_group_segment_fixed_size 0
		.amdhsa_private_segment_fixed_size 0
		.amdhsa_kernarg_size 28
		.amdhsa_user_sgpr_count 6
		.amdhsa_user_sgpr_private_segment_buffer 1
		.amdhsa_user_sgpr_dispatch_ptr 0
		.amdhsa_user_sgpr_queue_ptr 0
		.amdhsa_user_sgpr_kernarg_segment_ptr 1
		.amdhsa_user_sgpr_dispatch_id 0
		.amdhsa_user_sgpr_flat_scratch_init 0
		.amdhsa_user_sgpr_kernarg_preload_length 0
		.amdhsa_user_sgpr_kernarg_preload_offset 0
		.amdhsa_user_sgpr_private_segment_size 0
		.amdhsa_uses_dynamic_stack 0
		.amdhsa_system_sgpr_private_segment_wavefront_offset 0
		.amdhsa_system_sgpr_workgroup_id_x 1
		.amdhsa_system_sgpr_workgroup_id_y 0
		.amdhsa_system_sgpr_workgroup_id_z 0
		.amdhsa_system_sgpr_workgroup_info 0
		.amdhsa_system_vgpr_workitem_id 0
		.amdhsa_next_free_vgpr 34
		.amdhsa_next_free_sgpr 17
		.amdhsa_accum_offset 36
		.amdhsa_reserve_vcc 1
		.amdhsa_reserve_flat_scratch 0
		.amdhsa_float_round_mode_32 0
		.amdhsa_float_round_mode_16_64 0
		.amdhsa_float_denorm_mode_32 3
		.amdhsa_float_denorm_mode_16_64 3
		.amdhsa_dx10_clamp 1
		.amdhsa_ieee_mode 1
		.amdhsa_fp16_overflow 0
		.amdhsa_tg_split 0
		.amdhsa_exception_fp_ieee_invalid_op 0
		.amdhsa_exception_fp_denorm_src 0
		.amdhsa_exception_fp_ieee_div_zero 0
		.amdhsa_exception_fp_ieee_overflow 0
		.amdhsa_exception_fp_ieee_underflow 0
		.amdhsa_exception_fp_ieee_inexact 0
		.amdhsa_exception_int_div_zero 0
	.end_amdhsa_kernel
	.section	.text._ZN5aiter19scaled_quant_kernelIDF16_DB8_EEvPT0_PKT_PKfi,"axG",@progbits,_ZN5aiter19scaled_quant_kernelIDF16_DB8_EEvPT0_PKT_PKfi,comdat
.Lfunc_end2:
	.size	_ZN5aiter19scaled_quant_kernelIDF16_DB8_EEvPT0_PKT_PKfi, .Lfunc_end2-_ZN5aiter19scaled_quant_kernelIDF16_DB8_EEvPT0_PKT_PKfi
                                        ; -- End function
	.section	.AMDGPU.csdata,"",@progbits
; Kernel info:
; codeLenInByte = 1384
; NumSgprs: 21
; NumVgprs: 34
; NumAgprs: 0
; TotalNumVgprs: 34
; ScratchSize: 0
; MemoryBound: 0
; FloatMode: 240
; IeeeMode: 1
; LDSByteSize: 0 bytes/workgroup (compile time only)
; SGPRBlocks: 2
; VGPRBlocks: 4
; NumSGPRsForWavesPerEU: 21
; NumVGPRsForWavesPerEU: 34
; AccumOffset: 36
; Occupancy: 8
; WaveLimiterHint : 0
; COMPUTE_PGM_RSRC2:SCRATCH_EN: 0
; COMPUTE_PGM_RSRC2:USER_SGPR: 6
; COMPUTE_PGM_RSRC2:TRAP_HANDLER: 0
; COMPUTE_PGM_RSRC2:TGID_X_EN: 1
; COMPUTE_PGM_RSRC2:TGID_Y_EN: 0
; COMPUTE_PGM_RSRC2:TGID_Z_EN: 0
; COMPUTE_PGM_RSRC2:TIDIG_COMP_CNT: 0
; COMPUTE_PGM_RSRC3_GFX90A:ACCUM_OFFSET: 8
; COMPUTE_PGM_RSRC3_GFX90A:TG_SPLIT: 0
	.section	.text._ZN5aiter19scaled_quant_kernelItDB8_EEvPT0_PKT_PKfi,"axG",@progbits,_ZN5aiter19scaled_quant_kernelItDB8_EEvPT0_PKT_PKfi,comdat
	.protected	_ZN5aiter19scaled_quant_kernelItDB8_EEvPT0_PKT_PKfi ; -- Begin function _ZN5aiter19scaled_quant_kernelItDB8_EEvPT0_PKT_PKfi
	.globl	_ZN5aiter19scaled_quant_kernelItDB8_EEvPT0_PKT_PKfi
	.p2align	8
	.type	_ZN5aiter19scaled_quant_kernelItDB8_EEvPT0_PKT_PKfi,@function
_ZN5aiter19scaled_quant_kernelItDB8_EEvPT0_PKT_PKfi: ; @_ZN5aiter19scaled_quant_kernelItDB8_EEvPT0_PKT_PKfi
; %bb.0:
	s_load_dwordx2 s[10:11], s[4:5], 0x10
	s_load_dword s9, s[4:5], 0x18
	s_load_dwordx4 s[0:3], s[4:5], 0x0
                                        ; implicit-def: $vgpr2_vgpr3_vgpr4_vgpr5_vgpr6_vgpr7_vgpr8_vgpr9
	s_waitcnt lgkmcnt(0)
	s_load_dword s12, s[10:11], 0x0
	s_mul_i32 s10, s6, s9
	s_mov_b32 s11, 0
	s_lshl_b64 s[4:5], s[10:11], 1
	s_add_u32 s4, s2, s4
	s_addc_u32 s2, s3, s5
	s_add_i32 s3, s9, 1
	s_lshr_b32 s5, s3, 31
	s_add_i32 s3, s3, s5
	s_lshl_b32 s3, s3, 1
	s_and_b32 s5, s2, 0xffff
	s_add_i32 s2, s9, 15
	s_and_b32 s6, s3, -4
	s_ashr_i32 s3, s2, 31
	s_lshr_b32 s3, s3, 28
	s_add_i32 s2, s2, s3
	s_ashr_i32 s8, s2, 4
	v_cmp_gt_u32_e32 vcc, s8, v0
	s_and_saveexec_b64 s[2:3], vcc
	s_cbranch_execz .LBB3_2
; %bb.1:
	v_lshlrev_b32_e32 v1, 5, v0
	s_mov_b32 s7, 0x20000
	buffer_load_dwordx4 v[2:5], v1, s[4:7], 0 offen
	buffer_load_dwordx4 v[6:9], v1, s[4:7], 16 offen
.LBB3_2:
	s_or_b64 exec, exec, s[2:3]
	s_add_u32 s0, s0, s10
	s_addc_u32 s1, s1, 0
	s_add_i32 s2, s9, 3
	s_waitcnt lgkmcnt(0)
	v_rcp_f32_e32 v18, s12
	s_ashr_i32 s3, s2, 31
	s_lshr_b32 s3, s3, 30
	s_add_i32 s2, s2, s3
	v_add_u32_e32 v20, 0x100, v0
	s_and_b32 s2, s2, -4
	s_and_b32 s1, s1, 0xffff
	s_ashr_i32 s9, s8, 31
	v_mov_b32_e32 v21, 0
	v_cmp_gt_u32_e32 vcc, s8, v20
	s_and_saveexec_b64 s[10:11], vcc
	s_cbranch_execz .LBB3_6
; %bb.3:
	v_mov_b32_e32 v10, 0x2000
	s_mov_b32 s7, 0x20000
	v_mov_b32_e32 v19, v18
	v_lshlrev_b32_e32 v1, 4, v0
	v_lshl_add_u32 v0, v0, 5, v10
	s_mov_b64 s[12:13], 0
	v_mov_b32_e32 v22, 0xc3e00000
	v_mov_b32_e32 v23, 0x43e00000
	s_mov_b32 s14, 0x5040100
	s_mov_b32 s15, 0x1060504
	;; [unrolled: 1-line block ×4, first 2 shown]
.LBB3_4:                                ; =>This Inner Loop Header: Depth=1
	buffer_load_dwordx4 v[10:13], v0, s[4:7], 0 offen
	buffer_load_dwordx4 v[14:17], v0, s[4:7], 16 offen
	s_waitcnt vmcnt(3)
	v_cvt_f32_u32_sdwa v25, v2 dst_sel:DWORD dst_unused:UNUSED_PAD src0_sel:WORD_1
	v_cvt_f32_u32_sdwa v24, v2 dst_sel:DWORD dst_unused:UNUSED_PAD src0_sel:WORD_0
	v_cvt_f32_u32_sdwa v27, v3 dst_sel:DWORD dst_unused:UNUSED_PAD src0_sel:WORD_1
	v_cvt_f32_u32_sdwa v26, v3 dst_sel:DWORD dst_unused:UNUSED_PAD src0_sel:WORD_0
	;; [unrolled: 2-line block ×4, first 2 shown]
	s_waitcnt vmcnt(2)
	v_cvt_f32_u32_sdwa v5, v6 dst_sel:DWORD dst_unused:UNUSED_PAD src0_sel:WORD_1
	v_cvt_f32_u32_sdwa v4, v6 dst_sel:DWORD dst_unused:UNUSED_PAD src0_sel:WORD_0
	v_cvt_f32_u32_sdwa v31, v7 dst_sel:DWORD dst_unused:UNUSED_PAD src0_sel:WORD_1
	v_cvt_f32_u32_sdwa v30, v7 dst_sel:DWORD dst_unused:UNUSED_PAD src0_sel:WORD_0
	;; [unrolled: 2-line block ×4, first 2 shown]
	;;#ASMSTART
	v_pk_mul_f32 v[8:9], v[24:25], v[18:19]
	;;#ASMEND
	;;#ASMSTART
	v_med3_f32 v8, v8, v22, v23
v_med3_f32 v9, v9, v22, v23
v_cvt_pk_fp8_f32 v24, v8, v9
	;;#ASMEND
	;;#ASMSTART
	v_pk_mul_f32 v[8:9], v[26:27], v[18:19]
	;;#ASMEND
	;;#ASMSTART
	v_med3_f32 v8, v8, v22, v23
v_med3_f32 v9, v9, v22, v23
v_cvt_pk_fp8_f32 v25, v8, v9
	;;#ASMEND
	;;#ASMSTART
	v_pk_mul_f32 v[8:9], v[2:3], v[18:19]
	;;#ASMEND
	v_mov_b32_e32 v3, v9
	v_perm_b32 v2, v25, v24, s14
	;;#ASMSTART
	v_med3_f32 v8, v8, v22, v23
v_med3_f32 v3, v3, v22, v23
v_cvt_pk_fp8_f32 v24, v8, v3
	;;#ASMEND
	;;#ASMSTART
	v_pk_mul_f32 v[8:9], v[28:29], v[18:19]
	;;#ASMEND
	v_mov_b32_e32 v3, v9
	;;#ASMSTART
	v_med3_f32 v8, v8, v22, v23
v_med3_f32 v3, v3, v22, v23
v_cvt_pk_fp8_f32 v9, v8, v3
	;;#ASMEND
	;;#ASMSTART
	v_pk_mul_f32 v[4:5], v[4:5], v[18:19]
	;;#ASMEND
	;;#ASMSTART
	v_med3_f32 v4, v4, v22, v23
v_med3_f32 v5, v5, v22, v23
v_cvt_pk_fp8_f32 v8, v4, v5
	;;#ASMEND
	;;#ASMSTART
	v_pk_mul_f32 v[4:5], v[30:31], v[18:19]
	;;#ASMEND
	v_perm_b32 v3, v24, v9, s16
	;;#ASMSTART
	v_med3_f32 v4, v4, v22, v23
v_med3_f32 v5, v5, v22, v23
v_cvt_pk_fp8_f32 v9, v4, v5
	;;#ASMEND
	;;#ASMSTART
	v_pk_mul_f32 v[6:7], v[6:7], v[18:19]
	;;#ASMEND
	v_mov_b32_e32 v5, v7
	v_perm_b32 v4, v8, v9, s16
	;;#ASMSTART
	v_med3_f32 v6, v6, v22, v23
v_med3_f32 v5, v5, v22, v23
v_cvt_pk_fp8_f32 v8, v6, v5
	;;#ASMEND
	;;#ASMSTART
	v_pk_mul_f32 v[6:7], v[32:33], v[18:19]
	;;#ASMEND
	v_mov_b32_e32 v5, v7
	v_add_co_u32_e32 v20, vcc, 0x100, v20
	;;#ASMSTART
	v_med3_f32 v6, v6, v22, v23
v_med3_f32 v5, v5, v22, v23
v_cvt_pk_fp8_f32 v7, v6, v5
	;;#ASMEND
	v_addc_co_u32_e32 v21, vcc, 0, v21, vcc
	v_perm_b32 v2, v2, v25, s15
	v_perm_b32 v5, v8, v7, s16
	v_cmp_le_u64_e32 vcc, s[8:9], v[20:21]
	buffer_store_dwordx4 v[2:5], v1, s[0:3], 0 offen
	v_add_u32_e32 v0, 0x2000, v0
	s_or_b64 s[12:13], vcc, s[12:13]
	v_add_u32_e32 v1, 0x1000, v1
	;;#ASMSTART
	s_nop 0
	;;#ASMEND
	s_waitcnt vmcnt(1)
	v_pk_mov_b32 v[2:3], v[10:11], v[10:11] op_sel:[0,1]
	v_pk_mov_b32 v[4:5], v[12:13], v[12:13] op_sel:[0,1]
	;; [unrolled: 1-line block ×4, first 2 shown]
	s_andn2_b64 exec, exec, s[12:13]
	s_cbranch_execnz .LBB3_4
; %bb.5:
	s_or_b64 exec, exec, s[12:13]
	v_pk_mov_b32 v[2:3], v[10:11], v[10:11] op_sel:[0,1]
	v_pk_mov_b32 v[4:5], v[12:13], v[12:13] op_sel:[0,1]
	;; [unrolled: 1-line block ×4, first 2 shown]
.LBB3_6:
	s_or_b64 exec, exec, s[10:11]
	v_add_co_u32_e32 v0, vcc, 0xffffff00, v20
	v_addc_co_u32_e32 v1, vcc, -1, v21, vcc
	v_cmp_gt_u64_e32 vcc, s[8:9], v[0:1]
	s_and_saveexec_b64 s[4:5], vcc
	s_cbranch_execz .LBB3_8
; %bb.7:
	v_lshlrev_b32_e32 v20, 4, v0
	s_waitcnt vmcnt(1)
	v_cvt_f32_u32_sdwa v1, v2 dst_sel:DWORD dst_unused:UNUSED_PAD src0_sel:WORD_1
	v_cvt_f32_u32_sdwa v0, v2 dst_sel:DWORD dst_unused:UNUSED_PAD src0_sel:WORD_0
	v_mov_b32_e32 v19, v18
	;;#ASMSTART
	v_pk_mul_f32 v[0:1], v[0:1], v[18:19]
	;;#ASMEND
	v_cvt_f32_u32_sdwa v11, v3 dst_sel:DWORD dst_unused:UNUSED_PAD src0_sel:WORD_1
	v_cvt_f32_u32_sdwa v10, v3 dst_sel:DWORD dst_unused:UNUSED_PAD src0_sel:WORD_0
	v_cvt_f32_u32_sdwa v3, v4 dst_sel:DWORD dst_unused:UNUSED_PAD src0_sel:WORD_1
	v_cvt_f32_u32_sdwa v2, v4 dst_sel:DWORD dst_unused:UNUSED_PAD src0_sel:WORD_0
	v_cvt_f32_u32_sdwa v13, v5 dst_sel:DWORD dst_unused:UNUSED_PAD src0_sel:WORD_1
	v_cvt_f32_u32_sdwa v12, v5 dst_sel:DWORD dst_unused:UNUSED_PAD src0_sel:WORD_0
	s_waitcnt vmcnt(0)
	v_cvt_f32_u32_sdwa v5, v6 dst_sel:DWORD dst_unused:UNUSED_PAD src0_sel:WORD_1
	v_cvt_f32_u32_sdwa v4, v6 dst_sel:DWORD dst_unused:UNUSED_PAD src0_sel:WORD_0
	v_cvt_f32_u32_sdwa v15, v7 dst_sel:DWORD dst_unused:UNUSED_PAD src0_sel:WORD_1
	v_cvt_f32_u32_sdwa v14, v7 dst_sel:DWORD dst_unused:UNUSED_PAD src0_sel:WORD_0
	;; [unrolled: 2-line block ×4, first 2 shown]
	v_mov_b32_e32 v8, 0xc3e00000
	v_mov_b32_e32 v9, 0x43e00000
	;;#ASMSTART
	v_med3_f32 v0, v0, v8, v9
v_med3_f32 v1, v1, v8, v9
v_cvt_pk_fp8_f32 v21, v0, v1
	;;#ASMEND
	;;#ASMSTART
	v_pk_mul_f32 v[0:1], v[10:11], v[18:19]
	;;#ASMEND
	;;#ASMSTART
	v_med3_f32 v0, v0, v8, v9
v_med3_f32 v1, v1, v8, v9
v_cvt_pk_fp8_f32 v10, v0, v1
	;;#ASMEND
	s_mov_b32 s3, 0x5040100
	v_perm_b32 v0, v10, v21, s3
	s_mov_b32 s3, 0x1060504
	;;#ASMSTART
	v_pk_mul_f32 v[2:3], v[2:3], v[18:19]
	;;#ASMEND
	v_mov_b32_e32 v1, v3
	v_perm_b32 v0, v0, v10, s3
	;;#ASMSTART
	v_med3_f32 v2, v2, v8, v9
v_med3_f32 v1, v1, v8, v9
v_cvt_pk_fp8_f32 v10, v2, v1
	;;#ASMEND
	;;#ASMSTART
	v_pk_mul_f32 v[2:3], v[12:13], v[18:19]
	;;#ASMEND
	v_mov_b32_e32 v1, v3
	;;#ASMSTART
	v_med3_f32 v2, v2, v8, v9
v_med3_f32 v1, v1, v8, v9
v_cvt_pk_fp8_f32 v3, v2, v1
	;;#ASMEND
	s_mov_b32 s3, 0x1000504
	v_perm_b32 v1, v10, v3, s3
	;;#ASMSTART
	v_pk_mul_f32 v[2:3], v[4:5], v[18:19]
	;;#ASMEND
	;;#ASMSTART
	v_med3_f32 v2, v2, v8, v9
v_med3_f32 v3, v3, v8, v9
v_cvt_pk_fp8_f32 v4, v2, v3
	;;#ASMEND
	;;#ASMSTART
	v_pk_mul_f32 v[2:3], v[14:15], v[18:19]
	;;#ASMEND
	;;#ASMSTART
	v_med3_f32 v2, v2, v8, v9
v_med3_f32 v3, v3, v8, v9
v_cvt_pk_fp8_f32 v5, v2, v3
	;;#ASMEND
	v_perm_b32 v2, v4, v5, s3
	;;#ASMSTART
	v_pk_mul_f32 v[4:5], v[6:7], v[18:19]
	;;#ASMEND
	v_mov_b32_e32 v3, v5
	;;#ASMSTART
	v_med3_f32 v4, v4, v8, v9
v_med3_f32 v3, v3, v8, v9
v_cvt_pk_fp8_f32 v6, v4, v3
	;;#ASMEND
	;;#ASMSTART
	v_pk_mul_f32 v[4:5], v[16:17], v[18:19]
	;;#ASMEND
	v_mov_b32_e32 v3, v5
	;;#ASMSTART
	v_med3_f32 v4, v4, v8, v9
v_med3_f32 v3, v3, v8, v9
v_cvt_pk_fp8_f32 v5, v4, v3
	;;#ASMEND
	v_perm_b32 v3, v6, v5, s3
	s_mov_b32 s3, 0x20000
	buffer_store_dwordx4 v[0:3], v20, s[0:3], 0 offen
	;;#ASMSTART
	s_nop 0
	;;#ASMEND
.LBB3_8:
	s_endpgm
	.section	.rodata,"a",@progbits
	.p2align	6, 0x0
	.amdhsa_kernel _ZN5aiter19scaled_quant_kernelItDB8_EEvPT0_PKT_PKfi
		.amdhsa_group_segment_fixed_size 0
		.amdhsa_private_segment_fixed_size 0
		.amdhsa_kernarg_size 28
		.amdhsa_user_sgpr_count 6
		.amdhsa_user_sgpr_private_segment_buffer 1
		.amdhsa_user_sgpr_dispatch_ptr 0
		.amdhsa_user_sgpr_queue_ptr 0
		.amdhsa_user_sgpr_kernarg_segment_ptr 1
		.amdhsa_user_sgpr_dispatch_id 0
		.amdhsa_user_sgpr_flat_scratch_init 0
		.amdhsa_user_sgpr_kernarg_preload_length 0
		.amdhsa_user_sgpr_kernarg_preload_offset 0
		.amdhsa_user_sgpr_private_segment_size 0
		.amdhsa_uses_dynamic_stack 0
		.amdhsa_system_sgpr_private_segment_wavefront_offset 0
		.amdhsa_system_sgpr_workgroup_id_x 1
		.amdhsa_system_sgpr_workgroup_id_y 0
		.amdhsa_system_sgpr_workgroup_id_z 0
		.amdhsa_system_sgpr_workgroup_info 0
		.amdhsa_system_vgpr_workitem_id 0
		.amdhsa_next_free_vgpr 34
		.amdhsa_next_free_sgpr 17
		.amdhsa_accum_offset 36
		.amdhsa_reserve_vcc 1
		.amdhsa_reserve_flat_scratch 0
		.amdhsa_float_round_mode_32 0
		.amdhsa_float_round_mode_16_64 0
		.amdhsa_float_denorm_mode_32 3
		.amdhsa_float_denorm_mode_16_64 3
		.amdhsa_dx10_clamp 1
		.amdhsa_ieee_mode 1
		.amdhsa_fp16_overflow 0
		.amdhsa_tg_split 0
		.amdhsa_exception_fp_ieee_invalid_op 0
		.amdhsa_exception_fp_denorm_src 0
		.amdhsa_exception_fp_ieee_div_zero 0
		.amdhsa_exception_fp_ieee_overflow 0
		.amdhsa_exception_fp_ieee_underflow 0
		.amdhsa_exception_fp_ieee_inexact 0
		.amdhsa_exception_int_div_zero 0
	.end_amdhsa_kernel
	.section	.text._ZN5aiter19scaled_quant_kernelItDB8_EEvPT0_PKT_PKfi,"axG",@progbits,_ZN5aiter19scaled_quant_kernelItDB8_EEvPT0_PKT_PKfi,comdat
.Lfunc_end3:
	.size	_ZN5aiter19scaled_quant_kernelItDB8_EEvPT0_PKT_PKfi, .Lfunc_end3-_ZN5aiter19scaled_quant_kernelItDB8_EEvPT0_PKT_PKfi
                                        ; -- End function
	.section	.AMDGPU.csdata,"",@progbits
; Kernel info:
; codeLenInByte = 1448
; NumSgprs: 21
; NumVgprs: 34
; NumAgprs: 0
; TotalNumVgprs: 34
; ScratchSize: 0
; MemoryBound: 0
; FloatMode: 240
; IeeeMode: 1
; LDSByteSize: 0 bytes/workgroup (compile time only)
; SGPRBlocks: 2
; VGPRBlocks: 4
; NumSGPRsForWavesPerEU: 21
; NumVGPRsForWavesPerEU: 34
; AccumOffset: 36
; Occupancy: 8
; WaveLimiterHint : 0
; COMPUTE_PGM_RSRC2:SCRATCH_EN: 0
; COMPUTE_PGM_RSRC2:USER_SGPR: 6
; COMPUTE_PGM_RSRC2:TRAP_HANDLER: 0
; COMPUTE_PGM_RSRC2:TGID_X_EN: 1
; COMPUTE_PGM_RSRC2:TGID_Y_EN: 0
; COMPUTE_PGM_RSRC2:TGID_Z_EN: 0
; COMPUTE_PGM_RSRC2:TIDIG_COMP_CNT: 0
; COMPUTE_PGM_RSRC3_GFX90A:ACCUM_OFFSET: 8
; COMPUTE_PGM_RSRC3_GFX90A:TG_SPLIT: 0
	.section	.text._ZN5aiter19scaled_quant_kernelIDF16_aEEvPT0_PKT_PKfi,"axG",@progbits,_ZN5aiter19scaled_quant_kernelIDF16_aEEvPT0_PKT_PKfi,comdat
	.protected	_ZN5aiter19scaled_quant_kernelIDF16_aEEvPT0_PKT_PKfi ; -- Begin function _ZN5aiter19scaled_quant_kernelIDF16_aEEvPT0_PKT_PKfi
	.globl	_ZN5aiter19scaled_quant_kernelIDF16_aEEvPT0_PKT_PKfi
	.p2align	8
	.type	_ZN5aiter19scaled_quant_kernelIDF16_aEEvPT0_PKT_PKfi,@function
_ZN5aiter19scaled_quant_kernelIDF16_aEEvPT0_PKT_PKfi: ; @_ZN5aiter19scaled_quant_kernelIDF16_aEEvPT0_PKT_PKfi
; %bb.0:
	s_load_dwordx2 s[10:11], s[4:5], 0x10
	s_load_dword s9, s[4:5], 0x18
	s_load_dwordx4 s[0:3], s[4:5], 0x0
                                        ; implicit-def: $vgpr2_vgpr3_vgpr4_vgpr5_vgpr6_vgpr7_vgpr8_vgpr9
	s_waitcnt lgkmcnt(0)
	s_load_dword s12, s[10:11], 0x0
	s_mul_i32 s10, s6, s9
	s_mov_b32 s11, 0
	s_lshl_b64 s[4:5], s[10:11], 1
	s_add_u32 s4, s2, s4
	s_addc_u32 s2, s3, s5
	s_add_i32 s3, s9, 1
	s_lshr_b32 s5, s3, 31
	s_add_i32 s3, s3, s5
	s_lshl_b32 s3, s3, 1
	s_and_b32 s5, s2, 0xffff
	s_add_i32 s2, s9, 15
	s_and_b32 s6, s3, -4
	s_ashr_i32 s3, s2, 31
	s_lshr_b32 s3, s3, 28
	s_add_i32 s2, s2, s3
	s_ashr_i32 s8, s2, 4
	v_cmp_gt_u32_e32 vcc, s8, v0
	s_and_saveexec_b64 s[2:3], vcc
	s_cbranch_execz .LBB4_2
; %bb.1:
	v_lshlrev_b32_e32 v1, 5, v0
	s_mov_b32 s7, 0x20000
	buffer_load_dwordx4 v[2:5], v1, s[4:7], 0 offen
	buffer_load_dwordx4 v[6:9], v1, s[4:7], 16 offen
.LBB4_2:
	s_or_b64 exec, exec, s[2:3]
	s_add_u32 s0, s0, s10
	s_addc_u32 s1, s1, 0
	s_add_i32 s2, s9, 3
	s_waitcnt lgkmcnt(0)
	v_rcp_f32_e32 v18, s12
	s_ashr_i32 s3, s2, 31
	s_lshr_b32 s3, s3, 30
	s_add_i32 s2, s2, s3
	v_add_u32_e32 v20, 0x100, v0
	s_and_b32 s2, s2, -4
	s_and_b32 s1, s1, 0xffff
	s_ashr_i32 s9, s8, 31
	v_mov_b32_e32 v21, 0
	v_cmp_gt_u32_e32 vcc, s8, v20
	s_and_saveexec_b64 s[10:11], vcc
	s_cbranch_execz .LBB4_6
; %bb.3:
	v_mov_b32_e32 v10, 0x2000
	s_mov_b32 s7, 0x20000
	v_mov_b32_e32 v19, v18
	v_lshlrev_b32_e32 v1, 4, v0
	v_lshl_add_u32 v0, v0, 5, v10
	s_mov_b64 s[12:13], 0
	s_mov_b32 s3, s7
.LBB4_4:                                ; =>This Inner Loop Header: Depth=1
	buffer_load_dwordx4 v[10:13], v0, s[4:7], 0 offen
	buffer_load_dwordx4 v[14:17], v0, s[4:7], 16 offen
	s_waitcnt vmcnt(3)
	v_cvt_f32_f16_sdwa v23, v2 dst_sel:DWORD dst_unused:UNUSED_PAD src0_sel:WORD_1
	v_cvt_f32_f16_e32 v22, v2
	v_cvt_f32_f16_sdwa v25, v3 dst_sel:DWORD dst_unused:UNUSED_PAD src0_sel:WORD_1
	v_cvt_f32_f16_e32 v24, v3
	;; [unrolled: 2-line block ×4, first 2 shown]
	s_waitcnt vmcnt(2)
	v_cvt_f32_f16_sdwa v5, v6 dst_sel:DWORD dst_unused:UNUSED_PAD src0_sel:WORD_1
	v_cvt_f32_f16_e32 v4, v6
	v_cvt_f32_f16_sdwa v29, v7 dst_sel:DWORD dst_unused:UNUSED_PAD src0_sel:WORD_1
	v_cvt_f32_f16_e32 v28, v7
	;; [unrolled: 2-line block ×4, first 2 shown]
	;;#ASMSTART
	v_pk_mul_f32 v[8:9], v[22:23], v[18:19]
	;;#ASMEND
	;;#ASMSTART
	v_pk_mul_f32 v[22:23], v[24:25], v[18:19]
	;;#ASMEND
	;; [unrolled: 3-line block ×8, first 2 shown]
	v_cvt_i32_f32_e32 v8, v8
	v_cvt_i32_f32_sdwa v9, v9 dst_sel:BYTE_1 dst_unused:UNUSED_PAD src0_sel:DWORD
	v_cvt_i32_f32_e32 v22, v22
	v_cvt_i32_f32_sdwa v23, v23 dst_sel:BYTE_1 dst_unused:UNUSED_PAD src0_sel:DWORD
	;; [unrolled: 2-line block ×8, first 2 shown]
	v_add_co_u32_e32 v20, vcc, 0x100, v20
	v_or_b32_sdwa v8, v8, v9 dst_sel:DWORD dst_unused:UNUSED_PAD src0_sel:BYTE_0 src1_sel:DWORD
	v_or_b32_sdwa v9, v22, v23 dst_sel:WORD_1 dst_unused:UNUSED_PAD src0_sel:BYTE_0 src1_sel:DWORD
	v_or_b32_sdwa v3, v2, v3 dst_sel:DWORD dst_unused:UNUSED_PAD src0_sel:BYTE_0 src1_sel:DWORD
	v_or_b32_sdwa v22, v24, v25 dst_sel:WORD_1 dst_unused:UNUSED_PAD src0_sel:BYTE_0 src1_sel:DWORD
	;; [unrolled: 2-line block ×4, first 2 shown]
	v_addc_co_u32_e32 v21, vcc, 0, v21, vcc
	v_or_b32_sdwa v2, v8, v9 dst_sel:DWORD dst_unused:UNUSED_PAD src0_sel:WORD_0 src1_sel:DWORD
	v_or_b32_sdwa v3, v3, v22 dst_sel:DWORD dst_unused:UNUSED_PAD src0_sel:WORD_0 src1_sel:DWORD
	;; [unrolled: 1-line block ×4, first 2 shown]
	v_cmp_le_u64_e32 vcc, s[8:9], v[20:21]
	buffer_store_dwordx4 v[2:5], v1, s[0:3], 0 offen
	v_add_u32_e32 v0, 0x2000, v0
	s_or_b64 s[12:13], vcc, s[12:13]
	v_add_u32_e32 v1, 0x1000, v1
	;;#ASMSTART
	s_nop 0
	;;#ASMEND
	s_waitcnt vmcnt(1)
	v_pk_mov_b32 v[2:3], v[10:11], v[10:11] op_sel:[0,1]
	v_pk_mov_b32 v[4:5], v[12:13], v[12:13] op_sel:[0,1]
	;; [unrolled: 1-line block ×4, first 2 shown]
	s_andn2_b64 exec, exec, s[12:13]
	s_cbranch_execnz .LBB4_4
; %bb.5:
	s_or_b64 exec, exec, s[12:13]
	v_pk_mov_b32 v[2:3], v[10:11], v[10:11] op_sel:[0,1]
	v_pk_mov_b32 v[4:5], v[12:13], v[12:13] op_sel:[0,1]
	;; [unrolled: 1-line block ×4, first 2 shown]
.LBB4_6:
	s_or_b64 exec, exec, s[10:11]
	v_add_co_u32_e32 v0, vcc, 0xffffff00, v20
	v_addc_co_u32_e32 v1, vcc, -1, v21, vcc
	v_cmp_gt_u64_e32 vcc, s[8:9], v[0:1]
	s_and_saveexec_b64 s[4:5], vcc
	s_cbranch_execz .LBB4_8
; %bb.7:
	v_lshlrev_b32_e32 v20, 4, v0
	s_waitcnt vmcnt(1)
	v_cvt_f32_f16_sdwa v1, v2 dst_sel:DWORD dst_unused:UNUSED_PAD src0_sel:WORD_1
	v_cvt_f32_f16_e32 v0, v2
	v_mov_b32_e32 v19, v18
	;;#ASMSTART
	v_pk_mul_f32 v[0:1], v[0:1], v[18:19]
	;;#ASMEND
	v_cvt_f32_f16_sdwa v11, v3 dst_sel:DWORD dst_unused:UNUSED_PAD src0_sel:WORD_1
	v_cvt_f32_f16_e32 v10, v3
	v_cvt_f32_f16_sdwa v3, v4 dst_sel:DWORD dst_unused:UNUSED_PAD src0_sel:WORD_1
	v_cvt_f32_f16_e32 v2, v4
	;; [unrolled: 2-line block ×3, first 2 shown]
	s_waitcnt vmcnt(0)
	v_cvt_f32_f16_sdwa v5, v6 dst_sel:DWORD dst_unused:UNUSED_PAD src0_sel:WORD_1
	v_cvt_f32_f16_e32 v4, v6
	v_cvt_f32_f16_sdwa v15, v7 dst_sel:DWORD dst_unused:UNUSED_PAD src0_sel:WORD_1
	v_cvt_f32_f16_e32 v14, v7
	;; [unrolled: 2-line block ×4, first 2 shown]
	v_cvt_i32_f32_e32 v8, v0
	v_cvt_i32_f32_sdwa v9, v1 dst_sel:BYTE_1 dst_unused:UNUSED_PAD src0_sel:DWORD
	;;#ASMSTART
	v_pk_mul_f32 v[0:1], v[10:11], v[18:19]
	;;#ASMEND
	v_cvt_i32_f32_e32 v10, v0
	v_cvt_i32_f32_sdwa v11, v1 dst_sel:BYTE_1 dst_unused:UNUSED_PAD src0_sel:DWORD
	;;#ASMSTART
	v_pk_mul_f32 v[0:1], v[2:3], v[18:19]
	;;#ASMEND
	v_cvt_i32_f32_e32 v2, v0
	v_cvt_i32_f32_sdwa v3, v1 dst_sel:BYTE_1 dst_unused:UNUSED_PAD src0_sel:DWORD
	;;#ASMSTART
	v_pk_mul_f32 v[0:1], v[12:13], v[18:19]
	;;#ASMEND
	v_cvt_i32_f32_e32 v12, v0
	v_cvt_i32_f32_sdwa v13, v1 dst_sel:BYTE_1 dst_unused:UNUSED_PAD src0_sel:DWORD
	;;#ASMSTART
	v_pk_mul_f32 v[0:1], v[4:5], v[18:19]
	;;#ASMEND
	v_cvt_i32_f32_e32 v4, v0
	v_cvt_i32_f32_sdwa v5, v1 dst_sel:BYTE_1 dst_unused:UNUSED_PAD src0_sel:DWORD
	;;#ASMSTART
	v_pk_mul_f32 v[0:1], v[14:15], v[18:19]
	;;#ASMEND
	v_cvt_i32_f32_e32 v14, v0
	v_cvt_i32_f32_sdwa v15, v1 dst_sel:BYTE_1 dst_unused:UNUSED_PAD src0_sel:DWORD
	;;#ASMSTART
	v_pk_mul_f32 v[0:1], v[6:7], v[18:19]
	;;#ASMEND
	v_cvt_i32_f32_e32 v6, v0
	v_cvt_i32_f32_sdwa v7, v1 dst_sel:BYTE_1 dst_unused:UNUSED_PAD src0_sel:DWORD
	;;#ASMSTART
	v_pk_mul_f32 v[0:1], v[16:17], v[18:19]
	;;#ASMEND
	v_cvt_i32_f32_e32 v16, v0
	v_cvt_i32_f32_sdwa v17, v1 dst_sel:BYTE_1 dst_unused:UNUSED_PAD src0_sel:DWORD
	v_or_b32_sdwa v0, v8, v9 dst_sel:DWORD dst_unused:UNUSED_PAD src0_sel:BYTE_0 src1_sel:DWORD
	v_or_b32_sdwa v1, v10, v11 dst_sel:WORD_1 dst_unused:UNUSED_PAD src0_sel:BYTE_0 src1_sel:DWORD
	v_or_b32_sdwa v0, v0, v1 dst_sel:DWORD dst_unused:UNUSED_PAD src0_sel:WORD_0 src1_sel:DWORD
	v_or_b32_sdwa v1, v2, v3 dst_sel:DWORD dst_unused:UNUSED_PAD src0_sel:BYTE_0 src1_sel:DWORD
	v_or_b32_sdwa v2, v12, v13 dst_sel:WORD_1 dst_unused:UNUSED_PAD src0_sel:BYTE_0 src1_sel:DWORD
	v_or_b32_sdwa v1, v1, v2 dst_sel:DWORD dst_unused:UNUSED_PAD src0_sel:WORD_0 src1_sel:DWORD
	;; [unrolled: 3-line block ×4, first 2 shown]
	s_mov_b32 s3, 0x20000
	buffer_store_dwordx4 v[0:3], v20, s[0:3], 0 offen
	;;#ASMSTART
	s_nop 0
	;;#ASMEND
.LBB4_8:
	s_endpgm
	.section	.rodata,"a",@progbits
	.p2align	6, 0x0
	.amdhsa_kernel _ZN5aiter19scaled_quant_kernelIDF16_aEEvPT0_PKT_PKfi
		.amdhsa_group_segment_fixed_size 0
		.amdhsa_private_segment_fixed_size 0
		.amdhsa_kernarg_size 28
		.amdhsa_user_sgpr_count 6
		.amdhsa_user_sgpr_private_segment_buffer 1
		.amdhsa_user_sgpr_dispatch_ptr 0
		.amdhsa_user_sgpr_queue_ptr 0
		.amdhsa_user_sgpr_kernarg_segment_ptr 1
		.amdhsa_user_sgpr_dispatch_id 0
		.amdhsa_user_sgpr_flat_scratch_init 0
		.amdhsa_user_sgpr_kernarg_preload_length 0
		.amdhsa_user_sgpr_kernarg_preload_offset 0
		.amdhsa_user_sgpr_private_segment_size 0
		.amdhsa_uses_dynamic_stack 0
		.amdhsa_system_sgpr_private_segment_wavefront_offset 0
		.amdhsa_system_sgpr_workgroup_id_x 1
		.amdhsa_system_sgpr_workgroup_id_y 0
		.amdhsa_system_sgpr_workgroup_id_z 0
		.amdhsa_system_sgpr_workgroup_info 0
		.amdhsa_system_vgpr_workitem_id 0
		.amdhsa_next_free_vgpr 32
		.amdhsa_next_free_sgpr 14
		.amdhsa_accum_offset 32
		.amdhsa_reserve_vcc 1
		.amdhsa_reserve_flat_scratch 0
		.amdhsa_float_round_mode_32 0
		.amdhsa_float_round_mode_16_64 0
		.amdhsa_float_denorm_mode_32 3
		.amdhsa_float_denorm_mode_16_64 3
		.amdhsa_dx10_clamp 1
		.amdhsa_ieee_mode 1
		.amdhsa_fp16_overflow 0
		.amdhsa_tg_split 0
		.amdhsa_exception_fp_ieee_invalid_op 0
		.amdhsa_exception_fp_denorm_src 0
		.amdhsa_exception_fp_ieee_div_zero 0
		.amdhsa_exception_fp_ieee_overflow 0
		.amdhsa_exception_fp_ieee_underflow 0
		.amdhsa_exception_fp_ieee_inexact 0
		.amdhsa_exception_int_div_zero 0
	.end_amdhsa_kernel
	.section	.text._ZN5aiter19scaled_quant_kernelIDF16_aEEvPT0_PKT_PKfi,"axG",@progbits,_ZN5aiter19scaled_quant_kernelIDF16_aEEvPT0_PKT_PKfi,comdat
.Lfunc_end4:
	.size	_ZN5aiter19scaled_quant_kernelIDF16_aEEvPT0_PKT_PKfi, .Lfunc_end4-_ZN5aiter19scaled_quant_kernelIDF16_aEEvPT0_PKT_PKfi
                                        ; -- End function
	.section	.AMDGPU.csdata,"",@progbits
; Kernel info:
; codeLenInByte = 1192
; NumSgprs: 18
; NumVgprs: 32
; NumAgprs: 0
; TotalNumVgprs: 32
; ScratchSize: 0
; MemoryBound: 0
; FloatMode: 240
; IeeeMode: 1
; LDSByteSize: 0 bytes/workgroup (compile time only)
; SGPRBlocks: 2
; VGPRBlocks: 3
; NumSGPRsForWavesPerEU: 18
; NumVGPRsForWavesPerEU: 32
; AccumOffset: 32
; Occupancy: 8
; WaveLimiterHint : 0
; COMPUTE_PGM_RSRC2:SCRATCH_EN: 0
; COMPUTE_PGM_RSRC2:USER_SGPR: 6
; COMPUTE_PGM_RSRC2:TRAP_HANDLER: 0
; COMPUTE_PGM_RSRC2:TGID_X_EN: 1
; COMPUTE_PGM_RSRC2:TGID_Y_EN: 0
; COMPUTE_PGM_RSRC2:TGID_Z_EN: 0
; COMPUTE_PGM_RSRC2:TIDIG_COMP_CNT: 0
; COMPUTE_PGM_RSRC3_GFX90A:ACCUM_OFFSET: 7
; COMPUTE_PGM_RSRC3_GFX90A:TG_SPLIT: 0
	.section	.text._ZN5aiter19scaled_quant_kernelItaEEvPT0_PKT_PKfi,"axG",@progbits,_ZN5aiter19scaled_quant_kernelItaEEvPT0_PKT_PKfi,comdat
	.protected	_ZN5aiter19scaled_quant_kernelItaEEvPT0_PKT_PKfi ; -- Begin function _ZN5aiter19scaled_quant_kernelItaEEvPT0_PKT_PKfi
	.globl	_ZN5aiter19scaled_quant_kernelItaEEvPT0_PKT_PKfi
	.p2align	8
	.type	_ZN5aiter19scaled_quant_kernelItaEEvPT0_PKT_PKfi,@function
_ZN5aiter19scaled_quant_kernelItaEEvPT0_PKT_PKfi: ; @_ZN5aiter19scaled_quant_kernelItaEEvPT0_PKT_PKfi
; %bb.0:
	s_load_dwordx2 s[10:11], s[4:5], 0x10
	s_load_dword s9, s[4:5], 0x18
	s_load_dwordx4 s[0:3], s[4:5], 0x0
                                        ; implicit-def: $vgpr2_vgpr3_vgpr4_vgpr5_vgpr6_vgpr7_vgpr8_vgpr9
	s_waitcnt lgkmcnt(0)
	s_load_dword s12, s[10:11], 0x0
	s_mul_i32 s10, s6, s9
	s_mov_b32 s11, 0
	s_lshl_b64 s[4:5], s[10:11], 1
	s_add_u32 s4, s2, s4
	s_addc_u32 s2, s3, s5
	s_add_i32 s3, s9, 1
	s_lshr_b32 s5, s3, 31
	s_add_i32 s3, s3, s5
	s_lshl_b32 s3, s3, 1
	s_and_b32 s5, s2, 0xffff
	s_add_i32 s2, s9, 15
	s_and_b32 s6, s3, -4
	s_ashr_i32 s3, s2, 31
	s_lshr_b32 s3, s3, 28
	s_add_i32 s2, s2, s3
	s_ashr_i32 s8, s2, 4
	v_cmp_gt_u32_e32 vcc, s8, v0
	s_and_saveexec_b64 s[2:3], vcc
	s_cbranch_execz .LBB5_2
; %bb.1:
	v_lshlrev_b32_e32 v1, 5, v0
	s_mov_b32 s7, 0x20000
	buffer_load_dwordx4 v[2:5], v1, s[4:7], 0 offen
	buffer_load_dwordx4 v[6:9], v1, s[4:7], 16 offen
.LBB5_2:
	s_or_b64 exec, exec, s[2:3]
	s_add_u32 s0, s0, s10
	s_addc_u32 s1, s1, 0
	s_add_i32 s2, s9, 3
	s_waitcnt lgkmcnt(0)
	v_rcp_f32_e32 v18, s12
	s_ashr_i32 s3, s2, 31
	s_lshr_b32 s3, s3, 30
	s_add_i32 s2, s2, s3
	v_add_u32_e32 v20, 0x100, v0
	s_and_b32 s2, s2, -4
	s_and_b32 s1, s1, 0xffff
	s_ashr_i32 s9, s8, 31
	v_mov_b32_e32 v21, 0
	v_cmp_gt_u32_e32 vcc, s8, v20
	s_and_saveexec_b64 s[10:11], vcc
	s_cbranch_execz .LBB5_6
; %bb.3:
	v_mov_b32_e32 v10, 0x2000
	s_mov_b32 s7, 0x20000
	v_mov_b32_e32 v19, v18
	v_lshlrev_b32_e32 v1, 4, v0
	v_lshl_add_u32 v0, v0, 5, v10
	s_mov_b64 s[12:13], 0
	s_mov_b32 s3, s7
.LBB5_4:                                ; =>This Inner Loop Header: Depth=1
	buffer_load_dwordx4 v[10:13], v0, s[4:7], 0 offen
	buffer_load_dwordx4 v[14:17], v0, s[4:7], 16 offen
	s_waitcnt vmcnt(3)
	v_cvt_f32_u32_sdwa v23, v2 dst_sel:DWORD dst_unused:UNUSED_PAD src0_sel:WORD_1
	v_cvt_f32_u32_sdwa v22, v2 dst_sel:DWORD dst_unused:UNUSED_PAD src0_sel:WORD_0
	v_cvt_f32_u32_sdwa v25, v3 dst_sel:DWORD dst_unused:UNUSED_PAD src0_sel:WORD_1
	v_cvt_f32_u32_sdwa v24, v3 dst_sel:DWORD dst_unused:UNUSED_PAD src0_sel:WORD_0
	;; [unrolled: 2-line block ×4, first 2 shown]
	s_waitcnt vmcnt(2)
	v_cvt_f32_u32_sdwa v5, v6 dst_sel:DWORD dst_unused:UNUSED_PAD src0_sel:WORD_1
	v_cvt_f32_u32_sdwa v4, v6 dst_sel:DWORD dst_unused:UNUSED_PAD src0_sel:WORD_0
	v_cvt_f32_u32_sdwa v29, v7 dst_sel:DWORD dst_unused:UNUSED_PAD src0_sel:WORD_1
	v_cvt_f32_u32_sdwa v28, v7 dst_sel:DWORD dst_unused:UNUSED_PAD src0_sel:WORD_0
	;; [unrolled: 2-line block ×4, first 2 shown]
	;;#ASMSTART
	v_pk_mul_f32 v[8:9], v[22:23], v[18:19]
	;;#ASMEND
	;;#ASMSTART
	v_pk_mul_f32 v[22:23], v[24:25], v[18:19]
	;;#ASMEND
	;;#ASMSTART
	v_pk_mul_f32 v[2:3], v[2:3], v[18:19]
	;;#ASMEND
	;;#ASMSTART
	v_pk_mul_f32 v[24:25], v[26:27], v[18:19]
	;;#ASMEND
	;;#ASMSTART
	v_pk_mul_f32 v[4:5], v[4:5], v[18:19]
	;;#ASMEND
	;;#ASMSTART
	v_pk_mul_f32 v[26:27], v[28:29], v[18:19]
	;;#ASMEND
	;;#ASMSTART
	v_pk_mul_f32 v[6:7], v[6:7], v[18:19]
	;;#ASMEND
	;;#ASMSTART
	v_pk_mul_f32 v[28:29], v[30:31], v[18:19]
	;;#ASMEND
	v_cvt_i32_f32_e32 v8, v8
	v_cvt_i32_f32_sdwa v9, v9 dst_sel:BYTE_1 dst_unused:UNUSED_PAD src0_sel:DWORD
	v_cvt_i32_f32_e32 v22, v22
	v_cvt_i32_f32_sdwa v23, v23 dst_sel:BYTE_1 dst_unused:UNUSED_PAD src0_sel:DWORD
	;; [unrolled: 2-line block ×8, first 2 shown]
	v_add_co_u32_e32 v20, vcc, 0x100, v20
	v_or_b32_sdwa v8, v8, v9 dst_sel:DWORD dst_unused:UNUSED_PAD src0_sel:BYTE_0 src1_sel:DWORD
	v_or_b32_sdwa v9, v22, v23 dst_sel:WORD_1 dst_unused:UNUSED_PAD src0_sel:BYTE_0 src1_sel:DWORD
	v_or_b32_sdwa v3, v2, v3 dst_sel:DWORD dst_unused:UNUSED_PAD src0_sel:BYTE_0 src1_sel:DWORD
	v_or_b32_sdwa v22, v24, v25 dst_sel:WORD_1 dst_unused:UNUSED_PAD src0_sel:BYTE_0 src1_sel:DWORD
	;; [unrolled: 2-line block ×4, first 2 shown]
	v_addc_co_u32_e32 v21, vcc, 0, v21, vcc
	v_or_b32_sdwa v2, v8, v9 dst_sel:DWORD dst_unused:UNUSED_PAD src0_sel:WORD_0 src1_sel:DWORD
	v_or_b32_sdwa v3, v3, v22 dst_sel:DWORD dst_unused:UNUSED_PAD src0_sel:WORD_0 src1_sel:DWORD
	;; [unrolled: 1-line block ×4, first 2 shown]
	v_cmp_le_u64_e32 vcc, s[8:9], v[20:21]
	buffer_store_dwordx4 v[2:5], v1, s[0:3], 0 offen
	v_add_u32_e32 v0, 0x2000, v0
	s_or_b64 s[12:13], vcc, s[12:13]
	v_add_u32_e32 v1, 0x1000, v1
	;;#ASMSTART
	s_nop 0
	;;#ASMEND
	s_waitcnt vmcnt(1)
	v_pk_mov_b32 v[2:3], v[10:11], v[10:11] op_sel:[0,1]
	v_pk_mov_b32 v[4:5], v[12:13], v[12:13] op_sel:[0,1]
	;; [unrolled: 1-line block ×4, first 2 shown]
	s_andn2_b64 exec, exec, s[12:13]
	s_cbranch_execnz .LBB5_4
; %bb.5:
	s_or_b64 exec, exec, s[12:13]
	v_pk_mov_b32 v[2:3], v[10:11], v[10:11] op_sel:[0,1]
	v_pk_mov_b32 v[4:5], v[12:13], v[12:13] op_sel:[0,1]
	;; [unrolled: 1-line block ×4, first 2 shown]
.LBB5_6:
	s_or_b64 exec, exec, s[10:11]
	v_add_co_u32_e32 v0, vcc, 0xffffff00, v20
	v_addc_co_u32_e32 v1, vcc, -1, v21, vcc
	v_cmp_gt_u64_e32 vcc, s[8:9], v[0:1]
	s_and_saveexec_b64 s[4:5], vcc
	s_cbranch_execz .LBB5_8
; %bb.7:
	v_lshlrev_b32_e32 v20, 4, v0
	s_waitcnt vmcnt(1)
	v_cvt_f32_u32_sdwa v1, v2 dst_sel:DWORD dst_unused:UNUSED_PAD src0_sel:WORD_1
	v_cvt_f32_u32_sdwa v0, v2 dst_sel:DWORD dst_unused:UNUSED_PAD src0_sel:WORD_0
	v_mov_b32_e32 v19, v18
	;;#ASMSTART
	v_pk_mul_f32 v[0:1], v[0:1], v[18:19]
	;;#ASMEND
	v_cvt_f32_u32_sdwa v11, v3 dst_sel:DWORD dst_unused:UNUSED_PAD src0_sel:WORD_1
	v_cvt_f32_u32_sdwa v10, v3 dst_sel:DWORD dst_unused:UNUSED_PAD src0_sel:WORD_0
	v_cvt_f32_u32_sdwa v3, v4 dst_sel:DWORD dst_unused:UNUSED_PAD src0_sel:WORD_1
	v_cvt_f32_u32_sdwa v2, v4 dst_sel:DWORD dst_unused:UNUSED_PAD src0_sel:WORD_0
	v_cvt_f32_u32_sdwa v13, v5 dst_sel:DWORD dst_unused:UNUSED_PAD src0_sel:WORD_1
	v_cvt_f32_u32_sdwa v12, v5 dst_sel:DWORD dst_unused:UNUSED_PAD src0_sel:WORD_0
	s_waitcnt vmcnt(0)
	v_cvt_f32_u32_sdwa v5, v6 dst_sel:DWORD dst_unused:UNUSED_PAD src0_sel:WORD_1
	v_cvt_f32_u32_sdwa v4, v6 dst_sel:DWORD dst_unused:UNUSED_PAD src0_sel:WORD_0
	v_cvt_f32_u32_sdwa v15, v7 dst_sel:DWORD dst_unused:UNUSED_PAD src0_sel:WORD_1
	v_cvt_f32_u32_sdwa v14, v7 dst_sel:DWORD dst_unused:UNUSED_PAD src0_sel:WORD_0
	;; [unrolled: 2-line block ×4, first 2 shown]
	v_cvt_i32_f32_e32 v8, v0
	v_cvt_i32_f32_sdwa v9, v1 dst_sel:BYTE_1 dst_unused:UNUSED_PAD src0_sel:DWORD
	;;#ASMSTART
	v_pk_mul_f32 v[0:1], v[10:11], v[18:19]
	;;#ASMEND
	v_cvt_i32_f32_e32 v10, v0
	v_cvt_i32_f32_sdwa v11, v1 dst_sel:BYTE_1 dst_unused:UNUSED_PAD src0_sel:DWORD
	;;#ASMSTART
	v_pk_mul_f32 v[0:1], v[2:3], v[18:19]
	;;#ASMEND
	;; [unrolled: 5-line block ×7, first 2 shown]
	v_cvt_i32_f32_e32 v16, v0
	v_cvt_i32_f32_sdwa v17, v1 dst_sel:BYTE_1 dst_unused:UNUSED_PAD src0_sel:DWORD
	v_or_b32_sdwa v0, v8, v9 dst_sel:DWORD dst_unused:UNUSED_PAD src0_sel:BYTE_0 src1_sel:DWORD
	v_or_b32_sdwa v1, v10, v11 dst_sel:WORD_1 dst_unused:UNUSED_PAD src0_sel:BYTE_0 src1_sel:DWORD
	v_or_b32_sdwa v0, v0, v1 dst_sel:DWORD dst_unused:UNUSED_PAD src0_sel:WORD_0 src1_sel:DWORD
	v_or_b32_sdwa v1, v2, v3 dst_sel:DWORD dst_unused:UNUSED_PAD src0_sel:BYTE_0 src1_sel:DWORD
	v_or_b32_sdwa v2, v12, v13 dst_sel:WORD_1 dst_unused:UNUSED_PAD src0_sel:BYTE_0 src1_sel:DWORD
	v_or_b32_sdwa v1, v1, v2 dst_sel:DWORD dst_unused:UNUSED_PAD src0_sel:WORD_0 src1_sel:DWORD
	;; [unrolled: 3-line block ×4, first 2 shown]
	s_mov_b32 s3, 0x20000
	buffer_store_dwordx4 v[0:3], v20, s[0:3], 0 offen
	;;#ASMSTART
	s_nop 0
	;;#ASMEND
.LBB5_8:
	s_endpgm
	.section	.rodata,"a",@progbits
	.p2align	6, 0x0
	.amdhsa_kernel _ZN5aiter19scaled_quant_kernelItaEEvPT0_PKT_PKfi
		.amdhsa_group_segment_fixed_size 0
		.amdhsa_private_segment_fixed_size 0
		.amdhsa_kernarg_size 28
		.amdhsa_user_sgpr_count 6
		.amdhsa_user_sgpr_private_segment_buffer 1
		.amdhsa_user_sgpr_dispatch_ptr 0
		.amdhsa_user_sgpr_queue_ptr 0
		.amdhsa_user_sgpr_kernarg_segment_ptr 1
		.amdhsa_user_sgpr_dispatch_id 0
		.amdhsa_user_sgpr_flat_scratch_init 0
		.amdhsa_user_sgpr_kernarg_preload_length 0
		.amdhsa_user_sgpr_kernarg_preload_offset 0
		.amdhsa_user_sgpr_private_segment_size 0
		.amdhsa_uses_dynamic_stack 0
		.amdhsa_system_sgpr_private_segment_wavefront_offset 0
		.amdhsa_system_sgpr_workgroup_id_x 1
		.amdhsa_system_sgpr_workgroup_id_y 0
		.amdhsa_system_sgpr_workgroup_id_z 0
		.amdhsa_system_sgpr_workgroup_info 0
		.amdhsa_system_vgpr_workitem_id 0
		.amdhsa_next_free_vgpr 32
		.amdhsa_next_free_sgpr 14
		.amdhsa_accum_offset 32
		.amdhsa_reserve_vcc 1
		.amdhsa_reserve_flat_scratch 0
		.amdhsa_float_round_mode_32 0
		.amdhsa_float_round_mode_16_64 0
		.amdhsa_float_denorm_mode_32 3
		.amdhsa_float_denorm_mode_16_64 3
		.amdhsa_dx10_clamp 1
		.amdhsa_ieee_mode 1
		.amdhsa_fp16_overflow 0
		.amdhsa_tg_split 0
		.amdhsa_exception_fp_ieee_invalid_op 0
		.amdhsa_exception_fp_denorm_src 0
		.amdhsa_exception_fp_ieee_div_zero 0
		.amdhsa_exception_fp_ieee_overflow 0
		.amdhsa_exception_fp_ieee_underflow 0
		.amdhsa_exception_fp_ieee_inexact 0
		.amdhsa_exception_int_div_zero 0
	.end_amdhsa_kernel
	.section	.text._ZN5aiter19scaled_quant_kernelItaEEvPT0_PKT_PKfi,"axG",@progbits,_ZN5aiter19scaled_quant_kernelItaEEvPT0_PKT_PKfi,comdat
.Lfunc_end5:
	.size	_ZN5aiter19scaled_quant_kernelItaEEvPT0_PKT_PKfi, .Lfunc_end5-_ZN5aiter19scaled_quant_kernelItaEEvPT0_PKT_PKfi
                                        ; -- End function
	.section	.AMDGPU.csdata,"",@progbits
; Kernel info:
; codeLenInByte = 1256
; NumSgprs: 18
; NumVgprs: 32
; NumAgprs: 0
; TotalNumVgprs: 32
; ScratchSize: 0
; MemoryBound: 0
; FloatMode: 240
; IeeeMode: 1
; LDSByteSize: 0 bytes/workgroup (compile time only)
; SGPRBlocks: 2
; VGPRBlocks: 3
; NumSGPRsForWavesPerEU: 18
; NumVGPRsForWavesPerEU: 32
; AccumOffset: 32
; Occupancy: 8
; WaveLimiterHint : 0
; COMPUTE_PGM_RSRC2:SCRATCH_EN: 0
; COMPUTE_PGM_RSRC2:USER_SGPR: 6
; COMPUTE_PGM_RSRC2:TRAP_HANDLER: 0
; COMPUTE_PGM_RSRC2:TGID_X_EN: 1
; COMPUTE_PGM_RSRC2:TGID_Y_EN: 0
; COMPUTE_PGM_RSRC2:TGID_Z_EN: 0
; COMPUTE_PGM_RSRC2:TIDIG_COMP_CNT: 0
; COMPUTE_PGM_RSRC3_GFX90A:ACCUM_OFFSET: 7
; COMPUTE_PGM_RSRC3_GFX90A:TG_SPLIT: 0
	.section	.text._ZN5aiter20data_to_scale_kernelIDF16_DB8_EEvPfPKT_i,"axG",@progbits,_ZN5aiter20data_to_scale_kernelIDF16_DB8_EEvPfPKT_i,comdat
	.protected	_ZN5aiter20data_to_scale_kernelIDF16_DB8_EEvPfPKT_i ; -- Begin function _ZN5aiter20data_to_scale_kernelIDF16_DB8_EEvPfPKT_i
	.globl	_ZN5aiter20data_to_scale_kernelIDF16_DB8_EEvPfPKT_i
	.p2align	8
	.type	_ZN5aiter20data_to_scale_kernelIDF16_DB8_EEvPfPKT_i,@function
_ZN5aiter20data_to_scale_kernelIDF16_DB8_EEvPfPKT_i: ; @_ZN5aiter20data_to_scale_kernelIDF16_DB8_EEvPfPKT_i
; %bb.0:
	s_load_dword s7, s[4:5], 0x10
	s_load_dwordx2 s[0:1], s[4:5], 0x8
	s_mov_b32 s3, 0
                                        ; implicit-def: $vgpr2_vgpr3_vgpr4_vgpr5_vgpr6_vgpr7_vgpr8_vgpr9
	s_waitcnt lgkmcnt(0)
	s_mul_i32 s2, s6, s7
	s_lshl_b64 s[2:3], s[2:3], 1
	s_add_u32 s0, s0, s2
	s_addc_u32 s1, s1, s3
	s_add_i32 s2, s7, 1
	s_lshr_b32 s3, s2, 31
	s_add_i32 s2, s2, s3
	s_add_i32 s3, s7, 15
	s_ashr_i32 s6, s3, 31
	s_lshr_b32 s6, s6, 28
	s_add_i32 s3, s3, s6
	s_lshl_b32 s2, s2, 1
	s_ashr_i32 s6, s3, 4
	s_and_b32 s2, s2, -4
	s_and_b32 s1, s1, 0xffff
	v_cmp_gt_u32_e32 vcc, s6, v0
	s_and_saveexec_b64 s[8:9], vcc
	s_cbranch_execz .LBB6_2
; %bb.1:
	v_lshlrev_b32_e32 v1, 5, v0
	s_mov_b32 s3, 0x20000
	buffer_load_dwordx4 v[2:5], v1, s[0:3], 0 offen
	buffer_load_dwordx4 v[6:9], v1, s[0:3], 16 offen
.LBB6_2:
	s_or_b64 exec, exec, s[8:9]
	s_load_dwordx2 s[4:5], s[4:5], 0x0
	v_add_u32_e32 v18, 0x100, v0
	v_mov_b32_e32 v19, 0
	s_ashr_i32 s7, s6, 31
	v_cmp_gt_u32_e32 vcc, s6, v18
	v_mov_b32_e32 v1, v19
	s_and_saveexec_b64 s[8:9], vcc
	s_cbranch_execz .LBB6_6
; %bb.3:
	v_mov_b32_e32 v1, 0x2000
	v_lshl_add_u32 v20, v0, 5, v1
	s_mov_b64 s[10:11], 0
	v_mov_b32_e32 v1, 0
	s_mov_b32 s3, 0x20000
.LBB6_4:                                ; =>This Inner Loop Header: Depth=1
	buffer_load_dwordx4 v[10:13], v20, s[0:3], 0 offen
	buffer_load_dwordx4 v[14:17], v20, s[0:3], 16 offen
	s_waitcnt vmcnt(3)
	v_cvt_f32_f16_e64 v21, |v2|
	v_cvt_f32_f16_sdwa v2, |v2| dst_sel:DWORD dst_unused:UNUSED_PAD src0_sel:WORD_1
	v_cvt_f32_f16_e64 v22, |v3|
	v_cvt_f32_f16_sdwa v3, |v3| dst_sel:DWORD dst_unused:UNUSED_PAD src0_sel:WORD_1
	;; [unrolled: 2-line block ×4, first 2 shown]
	s_waitcnt vmcnt(2)
	v_cvt_f32_f16_e64 v25, |v6|
	v_cvt_f32_f16_sdwa v6, |v6| dst_sel:DWORD dst_unused:UNUSED_PAD src0_sel:WORD_1
	v_max3_f32 v1, v1, v21, v2
	v_cvt_f32_f16_e64 v26, |v7|
	v_cvt_f32_f16_sdwa v7, |v7| dst_sel:DWORD dst_unused:UNUSED_PAD src0_sel:WORD_1
	v_max3_f32 v1, v1, v22, v3
	;; [unrolled: 3-line block ×4, first 2 shown]
	v_max3_f32 v1, v1, v25, v6
	v_add_co_u32_e32 v18, vcc, 0x100, v18
	v_max3_f32 v1, v1, v26, v7
	v_addc_co_u32_e32 v19, vcc, 0, v19, vcc
	v_max3_f32 v1, v1, v27, v8
	v_cmp_le_u64_e32 vcc, s[6:7], v[18:19]
	v_max3_f32 v1, v1, v28, v9
	v_add_u32_e32 v20, 0x2000, v20
	s_or_b64 s[10:11], vcc, s[10:11]
	s_waitcnt vmcnt(0)
	v_pk_mov_b32 v[2:3], v[10:11], v[10:11] op_sel:[0,1]
	v_pk_mov_b32 v[4:5], v[12:13], v[12:13] op_sel:[0,1]
	;; [unrolled: 1-line block ×4, first 2 shown]
	s_andn2_b64 exec, exec, s[10:11]
	s_cbranch_execnz .LBB6_4
; %bb.5:
	s_or_b64 exec, exec, s[10:11]
	v_pk_mov_b32 v[2:3], v[10:11], v[10:11] op_sel:[0,1]
	v_pk_mov_b32 v[4:5], v[12:13], v[12:13] op_sel:[0,1]
	;; [unrolled: 1-line block ×4, first 2 shown]
.LBB6_6:
	s_or_b64 exec, exec, s[8:9]
	v_add_co_u32_e32 v10, vcc, 0xffffff00, v18
	v_addc_co_u32_e32 v11, vcc, -1, v19, vcc
	v_cmp_gt_u64_e32 vcc, s[6:7], v[10:11]
	s_and_saveexec_b64 s[0:1], vcc
	s_cbranch_execz .LBB6_8
; %bb.7:
	s_waitcnt vmcnt(1)
	v_cvt_f32_f16_e64 v10, |v2|
	v_cvt_f32_f16_sdwa v2, |v2| dst_sel:DWORD dst_unused:UNUSED_PAD src0_sel:WORD_1
	v_cvt_f32_f16_e64 v11, |v3|
	v_cvt_f32_f16_sdwa v3, |v3| dst_sel:DWORD dst_unused:UNUSED_PAD src0_sel:WORD_1
	;; [unrolled: 2-line block ×4, first 2 shown]
	v_max3_f32 v1, v1, v10, v2
	v_max3_f32 v1, v1, v11, v3
	;; [unrolled: 1-line block ×3, first 2 shown]
	s_waitcnt vmcnt(0)
	v_cvt_f32_f16_e64 v2, |v6|
	v_cvt_f32_f16_sdwa v3, |v6| dst_sel:DWORD dst_unused:UNUSED_PAD src0_sel:WORD_1
	v_max3_f32 v1, v1, v13, v5
	v_cvt_f32_f16_e64 v4, |v7|
	v_cvt_f32_f16_sdwa v5, |v7| dst_sel:DWORD dst_unused:UNUSED_PAD src0_sel:WORD_1
	v_cvt_f32_f16_e64 v6, |v8|
	v_cvt_f32_f16_sdwa v7, |v8| dst_sel:DWORD dst_unused:UNUSED_PAD src0_sel:WORD_1
	;; [unrolled: 2-line block ×3, first 2 shown]
	v_max3_f32 v1, v1, v2, v3
	v_max3_f32 v1, v1, v4, v5
	;; [unrolled: 1-line block ×4, first 2 shown]
.LBB6_8:
	s_or_b64 exec, exec, s[0:1]
	s_waitcnt vmcnt(1)
	v_mov_b32_dpp v2, v1 quad_perm:[1,0,3,2] row_mask:0xf bank_mask:0xf
	v_cmp_gt_f32_e32 vcc, v1, v2
	v_cndmask_b32_e32 v1, v2, v1, vcc
	v_and_b32_e32 v3, 63, v0
	s_nop 0
	v_mov_b32_dpp v2, v1 quad_perm:[2,3,0,1] row_mask:0xf bank_mask:0xf
	v_cmp_gt_f32_e32 vcc, v1, v2
	v_cndmask_b32_e32 v1, v2, v1, vcc
	s_nop 1
	v_mov_b32_dpp v2, v1 row_half_mirror row_mask:0xf bank_mask:0xf
	v_cmp_gt_f32_e32 vcc, v1, v2
	v_cndmask_b32_e32 v1, v2, v1, vcc
	s_nop 1
	v_mov_b32_dpp v2, v1 row_mirror row_mask:0xf bank_mask:0xf
	v_cmp_gt_f32_e32 vcc, v1, v2
	v_cndmask_b32_e32 v1, v2, v1, vcc
	s_nop 1
	v_mov_b32_dpp v2, v1 row_bcast:15 row_mask:0xf bank_mask:0xf
	v_cmp_gt_f32_e32 vcc, v1, v2
	v_cndmask_b32_e32 v1, v2, v1, vcc
	v_cmp_eq_u32_e32 vcc, 63, v3
	s_nop 0
	v_mov_b32_dpp v2, v1 row_bcast:31 row_mask:0xf bank_mask:0xf
	s_and_saveexec_b64 s[0:1], vcc
	s_cbranch_execz .LBB6_10
; %bb.9:
	v_lshrrev_b32_e32 v3, 4, v0
	v_cmp_gt_f32_e32 vcc, v1, v2
	v_and_b32_e32 v3, 60, v3
	v_cndmask_b32_e32 v1, v2, v1, vcc
	ds_write_b32 v3, v1
.LBB6_10:
	s_or_b64 exec, exec, s[0:1]
	v_and_b32_e32 v1, 3, v0
	v_lshlrev_b32_e32 v1, 2, v1
	s_waitcnt lgkmcnt(0)
	s_barrier
	ds_read_b32 v1, v1
	s_waitcnt lgkmcnt(0)
	s_nop 0
	v_mov_b32_dpp v2, v1 quad_perm:[1,0,3,2] row_mask:0xf bank_mask:0xf
	v_cmp_gt_f32_e32 vcc, v1, v2
	v_cndmask_b32_e32 v1, v2, v1, vcc
	v_cmp_eq_u32_e32 vcc, 0, v0
	s_nop 0
	v_mov_b32_dpp v2, v1 quad_perm:[2,3,0,1] row_mask:0xf bank_mask:0xf
	s_and_saveexec_b64 s[0:1], vcc
	s_cbranch_execz .LBB6_22
; %bb.11:
	v_cmp_gt_f32_e32 vcc, v1, v2
	v_cndmask_b32_e32 v0, v2, v1, vcc
	v_mul_f32_e32 v0, 0x3b124925, v0
	v_cmp_le_f32_e32 vcc, 0, v0
	s_and_saveexec_b64 s[0:1], vcc
	s_xor_b64 s[0:1], exec, s[0:1]
	s_cbranch_execz .LBB6_17
; %bb.12:
	s_mov_b64 s[2:3], exec
	s_brev_b32 s6, 1
.LBB6_13:                               ; =>This Inner Loop Header: Depth=1
	s_ff1_i32_b64 s7, s[2:3]
	v_readlane_b32 s10, v0, s7
	s_lshl_b64 s[8:9], 1, s7
	s_max_i32 s6, s6, s10
	s_andn2_b64 s[2:3], s[2:3], s[8:9]
	s_cmp_lg_u64 s[2:3], 0
	s_cbranch_scc1 .LBB6_13
; %bb.14:
	v_mbcnt_lo_u32_b32 v0, exec_lo, 0
	v_mbcnt_hi_u32_b32 v0, exec_hi, v0
	v_cmp_eq_u32_e32 vcc, 0, v0
	s_and_saveexec_b64 s[2:3], vcc
	s_xor_b64 s[2:3], exec, s[2:3]
	s_cbranch_execz .LBB6_16
; %bb.15:
	v_mov_b32_e32 v0, 0
	v_mov_b32_e32 v1, s6
	global_atomic_smax v0, v1, s[4:5]
.LBB6_16:
	s_or_b64 exec, exec, s[2:3]
                                        ; implicit-def: $vgpr0
.LBB6_17:
	s_andn2_saveexec_b64 s[0:1], s[0:1]
	s_cbranch_execz .LBB6_22
; %bb.18:
	s_mov_b64 s[0:1], exec
	s_mov_b32 s2, -1
.LBB6_19:                               ; =>This Inner Loop Header: Depth=1
	s_ff1_i32_b64 s3, s[0:1]
	v_readlane_b32 s8, v0, s3
	s_lshl_b64 s[6:7], 1, s3
	s_min_u32 s2, s2, s8
	s_andn2_b64 s[0:1], s[0:1], s[6:7]
	s_cmp_lg_u64 s[0:1], 0
	s_cbranch_scc1 .LBB6_19
; %bb.20:
	v_mbcnt_lo_u32_b32 v0, exec_lo, 0
	v_mbcnt_hi_u32_b32 v0, exec_hi, v0
	v_cmp_eq_u32_e32 vcc, 0, v0
	s_and_saveexec_b64 s[0:1], vcc
	s_xor_b64 s[0:1], exec, s[0:1]
	s_cbranch_execz .LBB6_22
; %bb.21:
	v_mov_b32_e32 v0, 0
	v_mov_b32_e32 v1, s2
	global_atomic_umin v0, v1, s[4:5]
.LBB6_22:
	s_endpgm
	.section	.rodata,"a",@progbits
	.p2align	6, 0x0
	.amdhsa_kernel _ZN5aiter20data_to_scale_kernelIDF16_DB8_EEvPfPKT_i
		.amdhsa_group_segment_fixed_size 16
		.amdhsa_private_segment_fixed_size 0
		.amdhsa_kernarg_size 20
		.amdhsa_user_sgpr_count 6
		.amdhsa_user_sgpr_private_segment_buffer 1
		.amdhsa_user_sgpr_dispatch_ptr 0
		.amdhsa_user_sgpr_queue_ptr 0
		.amdhsa_user_sgpr_kernarg_segment_ptr 1
		.amdhsa_user_sgpr_dispatch_id 0
		.amdhsa_user_sgpr_flat_scratch_init 0
		.amdhsa_user_sgpr_kernarg_preload_length 0
		.amdhsa_user_sgpr_kernarg_preload_offset 0
		.amdhsa_user_sgpr_private_segment_size 0
		.amdhsa_uses_dynamic_stack 0
		.amdhsa_system_sgpr_private_segment_wavefront_offset 0
		.amdhsa_system_sgpr_workgroup_id_x 1
		.amdhsa_system_sgpr_workgroup_id_y 0
		.amdhsa_system_sgpr_workgroup_id_z 0
		.amdhsa_system_sgpr_workgroup_info 0
		.amdhsa_system_vgpr_workitem_id 0
		.amdhsa_next_free_vgpr 29
		.amdhsa_next_free_sgpr 12
		.amdhsa_accum_offset 32
		.amdhsa_reserve_vcc 1
		.amdhsa_reserve_flat_scratch 0
		.amdhsa_float_round_mode_32 0
		.amdhsa_float_round_mode_16_64 0
		.amdhsa_float_denorm_mode_32 3
		.amdhsa_float_denorm_mode_16_64 3
		.amdhsa_dx10_clamp 1
		.amdhsa_ieee_mode 1
		.amdhsa_fp16_overflow 0
		.amdhsa_tg_split 0
		.amdhsa_exception_fp_ieee_invalid_op 0
		.amdhsa_exception_fp_denorm_src 0
		.amdhsa_exception_fp_ieee_div_zero 0
		.amdhsa_exception_fp_ieee_overflow 0
		.amdhsa_exception_fp_ieee_underflow 0
		.amdhsa_exception_fp_ieee_inexact 0
		.amdhsa_exception_int_div_zero 0
	.end_amdhsa_kernel
	.section	.text._ZN5aiter20data_to_scale_kernelIDF16_DB8_EEvPfPKT_i,"axG",@progbits,_ZN5aiter20data_to_scale_kernelIDF16_DB8_EEvPfPKT_i,comdat
.Lfunc_end6:
	.size	_ZN5aiter20data_to_scale_kernelIDF16_DB8_EEvPfPKT_i, .Lfunc_end6-_ZN5aiter20data_to_scale_kernelIDF16_DB8_EEvPfPKT_i
                                        ; -- End function
	.section	.AMDGPU.csdata,"",@progbits
; Kernel info:
; codeLenInByte = 1212
; NumSgprs: 16
; NumVgprs: 29
; NumAgprs: 0
; TotalNumVgprs: 29
; ScratchSize: 0
; MemoryBound: 0
; FloatMode: 240
; IeeeMode: 1
; LDSByteSize: 16 bytes/workgroup (compile time only)
; SGPRBlocks: 1
; VGPRBlocks: 3
; NumSGPRsForWavesPerEU: 16
; NumVGPRsForWavesPerEU: 29
; AccumOffset: 32
; Occupancy: 8
; WaveLimiterHint : 0
; COMPUTE_PGM_RSRC2:SCRATCH_EN: 0
; COMPUTE_PGM_RSRC2:USER_SGPR: 6
; COMPUTE_PGM_RSRC2:TRAP_HANDLER: 0
; COMPUTE_PGM_RSRC2:TGID_X_EN: 1
; COMPUTE_PGM_RSRC2:TGID_Y_EN: 0
; COMPUTE_PGM_RSRC2:TGID_Z_EN: 0
; COMPUTE_PGM_RSRC2:TIDIG_COMP_CNT: 0
; COMPUTE_PGM_RSRC3_GFX90A:ACCUM_OFFSET: 7
; COMPUTE_PGM_RSRC3_GFX90A:TG_SPLIT: 0
	.section	.text._ZN5aiter20data_to_scale_kernelItDB8_EEvPfPKT_i,"axG",@progbits,_ZN5aiter20data_to_scale_kernelItDB8_EEvPfPKT_i,comdat
	.protected	_ZN5aiter20data_to_scale_kernelItDB8_EEvPfPKT_i ; -- Begin function _ZN5aiter20data_to_scale_kernelItDB8_EEvPfPKT_i
	.globl	_ZN5aiter20data_to_scale_kernelItDB8_EEvPfPKT_i
	.p2align	8
	.type	_ZN5aiter20data_to_scale_kernelItDB8_EEvPfPKT_i,@function
_ZN5aiter20data_to_scale_kernelItDB8_EEvPfPKT_i: ; @_ZN5aiter20data_to_scale_kernelItDB8_EEvPfPKT_i
; %bb.0:
	s_load_dword s7, s[4:5], 0x10
	s_load_dwordx2 s[0:1], s[4:5], 0x8
	s_mov_b32 s3, 0
                                        ; implicit-def: $vgpr2_vgpr3_vgpr4_vgpr5_vgpr6_vgpr7_vgpr8_vgpr9
	s_waitcnt lgkmcnt(0)
	s_mul_i32 s2, s6, s7
	s_lshl_b64 s[2:3], s[2:3], 1
	s_add_u32 s0, s0, s2
	s_addc_u32 s1, s1, s3
	s_add_i32 s2, s7, 1
	s_lshr_b32 s3, s2, 31
	s_add_i32 s2, s2, s3
	s_add_i32 s3, s7, 15
	s_ashr_i32 s6, s3, 31
	s_lshr_b32 s6, s6, 28
	s_add_i32 s3, s3, s6
	s_lshl_b32 s2, s2, 1
	s_ashr_i32 s6, s3, 4
	s_and_b32 s2, s2, -4
	s_and_b32 s1, s1, 0xffff
	v_cmp_gt_u32_e32 vcc, s6, v0
	s_and_saveexec_b64 s[8:9], vcc
	s_cbranch_execz .LBB7_2
; %bb.1:
	v_lshlrev_b32_e32 v1, 5, v0
	s_mov_b32 s3, 0x20000
	buffer_load_dwordx4 v[2:5], v1, s[0:3], 0 offen
	buffer_load_dwordx4 v[6:9], v1, s[0:3], 16 offen
.LBB7_2:
	s_or_b64 exec, exec, s[8:9]
	s_load_dwordx2 s[4:5], s[4:5], 0x0
	v_add_u32_e32 v18, 0x100, v0
	v_mov_b32_e32 v19, 0
	s_ashr_i32 s7, s6, 31
	v_cmp_gt_u32_e32 vcc, s6, v18
	v_mov_b32_e32 v1, v19
	s_and_saveexec_b64 s[8:9], vcc
	s_cbranch_execz .LBB7_6
; %bb.3:
	v_mov_b32_e32 v1, 0x2000
	v_lshl_add_u32 v20, v0, 5, v1
	s_mov_b64 s[10:11], 0
	v_mov_b32_e32 v1, 0
	s_mov_b32 s3, 0x20000
.LBB7_4:                                ; =>This Inner Loop Header: Depth=1
	buffer_load_dwordx4 v[10:13], v20, s[0:3], 0 offen
	buffer_load_dwordx4 v[14:17], v20, s[0:3], 16 offen
	s_waitcnt vmcnt(3)
	v_cvt_f32_u32_sdwa v21, v2 dst_sel:DWORD dst_unused:UNUSED_PAD src0_sel:WORD_0
	v_cvt_f32_u32_sdwa v2, v2 dst_sel:DWORD dst_unused:UNUSED_PAD src0_sel:WORD_1
	v_cvt_f32_u32_sdwa v22, v3 dst_sel:DWORD dst_unused:UNUSED_PAD src0_sel:WORD_0
	v_cvt_f32_u32_sdwa v3, v3 dst_sel:DWORD dst_unused:UNUSED_PAD src0_sel:WORD_1
	;; [unrolled: 2-line block ×4, first 2 shown]
	s_waitcnt vmcnt(2)
	v_cvt_f32_u32_sdwa v25, v6 dst_sel:DWORD dst_unused:UNUSED_PAD src0_sel:WORD_0
	v_cvt_f32_u32_sdwa v6, v6 dst_sel:DWORD dst_unused:UNUSED_PAD src0_sel:WORD_1
	v_max3_f32 v1, v1, v21, v2
	v_cvt_f32_u32_sdwa v26, v7 dst_sel:DWORD dst_unused:UNUSED_PAD src0_sel:WORD_0
	v_cvt_f32_u32_sdwa v7, v7 dst_sel:DWORD dst_unused:UNUSED_PAD src0_sel:WORD_1
	v_max3_f32 v1, v1, v22, v3
	;; [unrolled: 3-line block ×4, first 2 shown]
	v_max3_f32 v1, v1, v25, v6
	v_add_co_u32_e32 v18, vcc, 0x100, v18
	v_max3_f32 v1, v1, v26, v7
	v_addc_co_u32_e32 v19, vcc, 0, v19, vcc
	v_max3_f32 v1, v1, v27, v8
	v_cmp_le_u64_e32 vcc, s[6:7], v[18:19]
	v_max3_f32 v1, v1, v28, v9
	v_add_u32_e32 v20, 0x2000, v20
	s_or_b64 s[10:11], vcc, s[10:11]
	s_waitcnt vmcnt(0)
	v_pk_mov_b32 v[2:3], v[10:11], v[10:11] op_sel:[0,1]
	v_pk_mov_b32 v[4:5], v[12:13], v[12:13] op_sel:[0,1]
	;; [unrolled: 1-line block ×4, first 2 shown]
	s_andn2_b64 exec, exec, s[10:11]
	s_cbranch_execnz .LBB7_4
; %bb.5:
	s_or_b64 exec, exec, s[10:11]
	v_pk_mov_b32 v[2:3], v[10:11], v[10:11] op_sel:[0,1]
	v_pk_mov_b32 v[4:5], v[12:13], v[12:13] op_sel:[0,1]
	;; [unrolled: 1-line block ×4, first 2 shown]
.LBB7_6:
	s_or_b64 exec, exec, s[8:9]
	v_add_co_u32_e32 v10, vcc, 0xffffff00, v18
	v_addc_co_u32_e32 v11, vcc, -1, v19, vcc
	v_cmp_gt_u64_e32 vcc, s[6:7], v[10:11]
	s_and_saveexec_b64 s[0:1], vcc
	s_cbranch_execz .LBB7_8
; %bb.7:
	s_waitcnt vmcnt(1)
	v_cvt_f32_u32_sdwa v10, v2 dst_sel:DWORD dst_unused:UNUSED_PAD src0_sel:WORD_0
	v_cvt_f32_u32_sdwa v2, v2 dst_sel:DWORD dst_unused:UNUSED_PAD src0_sel:WORD_1
	v_cvt_f32_u32_sdwa v11, v3 dst_sel:DWORD dst_unused:UNUSED_PAD src0_sel:WORD_0
	v_cvt_f32_u32_sdwa v3, v3 dst_sel:DWORD dst_unused:UNUSED_PAD src0_sel:WORD_1
	;; [unrolled: 2-line block ×4, first 2 shown]
	v_max3_f32 v1, v1, v10, v2
	v_max3_f32 v1, v1, v11, v3
	;; [unrolled: 1-line block ×3, first 2 shown]
	s_waitcnt vmcnt(0)
	v_cvt_f32_u32_sdwa v2, v6 dst_sel:DWORD dst_unused:UNUSED_PAD src0_sel:WORD_0
	v_cvt_f32_u32_sdwa v3, v6 dst_sel:DWORD dst_unused:UNUSED_PAD src0_sel:WORD_1
	v_max3_f32 v1, v1, v13, v5
	v_cvt_f32_u32_sdwa v4, v7 dst_sel:DWORD dst_unused:UNUSED_PAD src0_sel:WORD_0
	v_cvt_f32_u32_sdwa v5, v7 dst_sel:DWORD dst_unused:UNUSED_PAD src0_sel:WORD_1
	v_cvt_f32_u32_sdwa v6, v8 dst_sel:DWORD dst_unused:UNUSED_PAD src0_sel:WORD_0
	v_cvt_f32_u32_sdwa v7, v8 dst_sel:DWORD dst_unused:UNUSED_PAD src0_sel:WORD_1
	;; [unrolled: 2-line block ×3, first 2 shown]
	v_max3_f32 v1, v1, v2, v3
	v_max3_f32 v1, v1, v4, v5
	;; [unrolled: 1-line block ×4, first 2 shown]
.LBB7_8:
	s_or_b64 exec, exec, s[0:1]
	s_waitcnt vmcnt(1)
	v_mov_b32_dpp v2, v1 quad_perm:[1,0,3,2] row_mask:0xf bank_mask:0xf
	v_cmp_gt_f32_e32 vcc, v1, v2
	v_cndmask_b32_e32 v1, v2, v1, vcc
	v_and_b32_e32 v3, 63, v0
	s_nop 0
	v_mov_b32_dpp v2, v1 quad_perm:[2,3,0,1] row_mask:0xf bank_mask:0xf
	v_cmp_gt_f32_e32 vcc, v1, v2
	v_cndmask_b32_e32 v1, v2, v1, vcc
	s_nop 1
	v_mov_b32_dpp v2, v1 row_half_mirror row_mask:0xf bank_mask:0xf
	v_cmp_gt_f32_e32 vcc, v1, v2
	v_cndmask_b32_e32 v1, v2, v1, vcc
	s_nop 1
	v_mov_b32_dpp v2, v1 row_mirror row_mask:0xf bank_mask:0xf
	v_cmp_gt_f32_e32 vcc, v1, v2
	v_cndmask_b32_e32 v1, v2, v1, vcc
	s_nop 1
	v_mov_b32_dpp v2, v1 row_bcast:15 row_mask:0xf bank_mask:0xf
	v_cmp_gt_f32_e32 vcc, v1, v2
	v_cndmask_b32_e32 v1, v2, v1, vcc
	v_cmp_eq_u32_e32 vcc, 63, v3
	s_nop 0
	v_mov_b32_dpp v2, v1 row_bcast:31 row_mask:0xf bank_mask:0xf
	s_and_saveexec_b64 s[0:1], vcc
	s_cbranch_execz .LBB7_10
; %bb.9:
	v_lshrrev_b32_e32 v3, 4, v0
	v_cmp_gt_f32_e32 vcc, v1, v2
	v_and_b32_e32 v3, 60, v3
	v_cndmask_b32_e32 v1, v2, v1, vcc
	ds_write_b32 v3, v1
.LBB7_10:
	s_or_b64 exec, exec, s[0:1]
	v_and_b32_e32 v1, 3, v0
	v_lshlrev_b32_e32 v1, 2, v1
	s_waitcnt lgkmcnt(0)
	s_barrier
	ds_read_b32 v1, v1
	s_waitcnt lgkmcnt(0)
	s_nop 0
	v_mov_b32_dpp v2, v1 quad_perm:[1,0,3,2] row_mask:0xf bank_mask:0xf
	v_cmp_gt_f32_e32 vcc, v1, v2
	v_cndmask_b32_e32 v1, v2, v1, vcc
	v_cmp_eq_u32_e32 vcc, 0, v0
	s_nop 0
	v_mov_b32_dpp v2, v1 quad_perm:[2,3,0,1] row_mask:0xf bank_mask:0xf
	s_and_saveexec_b64 s[0:1], vcc
	s_cbranch_execz .LBB7_22
; %bb.11:
	v_cmp_gt_f32_e32 vcc, v1, v2
	v_cndmask_b32_e32 v0, v2, v1, vcc
	v_mul_f32_e32 v0, 0x3b124925, v0
	v_cmp_le_f32_e32 vcc, 0, v0
	s_and_saveexec_b64 s[0:1], vcc
	s_xor_b64 s[0:1], exec, s[0:1]
	s_cbranch_execz .LBB7_17
; %bb.12:
	s_mov_b64 s[2:3], exec
	s_brev_b32 s6, 1
.LBB7_13:                               ; =>This Inner Loop Header: Depth=1
	s_ff1_i32_b64 s7, s[2:3]
	v_readlane_b32 s10, v0, s7
	s_lshl_b64 s[8:9], 1, s7
	s_max_i32 s6, s6, s10
	s_andn2_b64 s[2:3], s[2:3], s[8:9]
	s_cmp_lg_u64 s[2:3], 0
	s_cbranch_scc1 .LBB7_13
; %bb.14:
	v_mbcnt_lo_u32_b32 v0, exec_lo, 0
	v_mbcnt_hi_u32_b32 v0, exec_hi, v0
	v_cmp_eq_u32_e32 vcc, 0, v0
	s_and_saveexec_b64 s[2:3], vcc
	s_xor_b64 s[2:3], exec, s[2:3]
	s_cbranch_execz .LBB7_16
; %bb.15:
	v_mov_b32_e32 v0, 0
	v_mov_b32_e32 v1, s6
	global_atomic_smax v0, v1, s[4:5]
.LBB7_16:
	s_or_b64 exec, exec, s[2:3]
                                        ; implicit-def: $vgpr0
.LBB7_17:
	s_andn2_saveexec_b64 s[0:1], s[0:1]
	s_cbranch_execz .LBB7_22
; %bb.18:
	s_mov_b64 s[0:1], exec
	s_mov_b32 s2, -1
.LBB7_19:                               ; =>This Inner Loop Header: Depth=1
	s_ff1_i32_b64 s3, s[0:1]
	v_readlane_b32 s8, v0, s3
	s_lshl_b64 s[6:7], 1, s3
	s_min_u32 s2, s2, s8
	s_andn2_b64 s[0:1], s[0:1], s[6:7]
	s_cmp_lg_u64 s[0:1], 0
	s_cbranch_scc1 .LBB7_19
; %bb.20:
	v_mbcnt_lo_u32_b32 v0, exec_lo, 0
	v_mbcnt_hi_u32_b32 v0, exec_hi, v0
	v_cmp_eq_u32_e32 vcc, 0, v0
	s_and_saveexec_b64 s[0:1], vcc
	s_xor_b64 s[0:1], exec, s[0:1]
	s_cbranch_execz .LBB7_22
; %bb.21:
	v_mov_b32_e32 v0, 0
	v_mov_b32_e32 v1, s2
	global_atomic_umin v0, v1, s[4:5]
.LBB7_22:
	s_endpgm
	.section	.rodata,"a",@progbits
	.p2align	6, 0x0
	.amdhsa_kernel _ZN5aiter20data_to_scale_kernelItDB8_EEvPfPKT_i
		.amdhsa_group_segment_fixed_size 16
		.amdhsa_private_segment_fixed_size 0
		.amdhsa_kernarg_size 20
		.amdhsa_user_sgpr_count 6
		.amdhsa_user_sgpr_private_segment_buffer 1
		.amdhsa_user_sgpr_dispatch_ptr 0
		.amdhsa_user_sgpr_queue_ptr 0
		.amdhsa_user_sgpr_kernarg_segment_ptr 1
		.amdhsa_user_sgpr_dispatch_id 0
		.amdhsa_user_sgpr_flat_scratch_init 0
		.amdhsa_user_sgpr_kernarg_preload_length 0
		.amdhsa_user_sgpr_kernarg_preload_offset 0
		.amdhsa_user_sgpr_private_segment_size 0
		.amdhsa_uses_dynamic_stack 0
		.amdhsa_system_sgpr_private_segment_wavefront_offset 0
		.amdhsa_system_sgpr_workgroup_id_x 1
		.amdhsa_system_sgpr_workgroup_id_y 0
		.amdhsa_system_sgpr_workgroup_id_z 0
		.amdhsa_system_sgpr_workgroup_info 0
		.amdhsa_system_vgpr_workitem_id 0
		.amdhsa_next_free_vgpr 29
		.amdhsa_next_free_sgpr 12
		.amdhsa_accum_offset 32
		.amdhsa_reserve_vcc 1
		.amdhsa_reserve_flat_scratch 0
		.amdhsa_float_round_mode_32 0
		.amdhsa_float_round_mode_16_64 0
		.amdhsa_float_denorm_mode_32 3
		.amdhsa_float_denorm_mode_16_64 3
		.amdhsa_dx10_clamp 1
		.amdhsa_ieee_mode 1
		.amdhsa_fp16_overflow 0
		.amdhsa_tg_split 0
		.amdhsa_exception_fp_ieee_invalid_op 0
		.amdhsa_exception_fp_denorm_src 0
		.amdhsa_exception_fp_ieee_div_zero 0
		.amdhsa_exception_fp_ieee_overflow 0
		.amdhsa_exception_fp_ieee_underflow 0
		.amdhsa_exception_fp_ieee_inexact 0
		.amdhsa_exception_int_div_zero 0
	.end_amdhsa_kernel
	.section	.text._ZN5aiter20data_to_scale_kernelItDB8_EEvPfPKT_i,"axG",@progbits,_ZN5aiter20data_to_scale_kernelItDB8_EEvPfPKT_i,comdat
.Lfunc_end7:
	.size	_ZN5aiter20data_to_scale_kernelItDB8_EEvPfPKT_i, .Lfunc_end7-_ZN5aiter20data_to_scale_kernelItDB8_EEvPfPKT_i
                                        ; -- End function
	.section	.AMDGPU.csdata,"",@progbits
; Kernel info:
; codeLenInByte = 1212
; NumSgprs: 16
; NumVgprs: 29
; NumAgprs: 0
; TotalNumVgprs: 29
; ScratchSize: 0
; MemoryBound: 0
; FloatMode: 240
; IeeeMode: 1
; LDSByteSize: 16 bytes/workgroup (compile time only)
; SGPRBlocks: 1
; VGPRBlocks: 3
; NumSGPRsForWavesPerEU: 16
; NumVGPRsForWavesPerEU: 29
; AccumOffset: 32
; Occupancy: 8
; WaveLimiterHint : 0
; COMPUTE_PGM_RSRC2:SCRATCH_EN: 0
; COMPUTE_PGM_RSRC2:USER_SGPR: 6
; COMPUTE_PGM_RSRC2:TRAP_HANDLER: 0
; COMPUTE_PGM_RSRC2:TGID_X_EN: 1
; COMPUTE_PGM_RSRC2:TGID_Y_EN: 0
; COMPUTE_PGM_RSRC2:TGID_Z_EN: 0
; COMPUTE_PGM_RSRC2:TIDIG_COMP_CNT: 0
; COMPUTE_PGM_RSRC3_GFX90A:ACCUM_OFFSET: 7
; COMPUTE_PGM_RSRC3_GFX90A:TG_SPLIT: 0
	.section	.text._ZN5aiter20data_to_scale_kernelIDF16_aEEvPfPKT_i,"axG",@progbits,_ZN5aiter20data_to_scale_kernelIDF16_aEEvPfPKT_i,comdat
	.protected	_ZN5aiter20data_to_scale_kernelIDF16_aEEvPfPKT_i ; -- Begin function _ZN5aiter20data_to_scale_kernelIDF16_aEEvPfPKT_i
	.globl	_ZN5aiter20data_to_scale_kernelIDF16_aEEvPfPKT_i
	.p2align	8
	.type	_ZN5aiter20data_to_scale_kernelIDF16_aEEvPfPKT_i,@function
_ZN5aiter20data_to_scale_kernelIDF16_aEEvPfPKT_i: ; @_ZN5aiter20data_to_scale_kernelIDF16_aEEvPfPKT_i
; %bb.0:
	s_load_dword s7, s[4:5], 0x10
	s_load_dwordx2 s[0:1], s[4:5], 0x8
	s_mov_b32 s3, 0
                                        ; implicit-def: $vgpr2_vgpr3_vgpr4_vgpr5_vgpr6_vgpr7_vgpr8_vgpr9
	s_waitcnt lgkmcnt(0)
	s_mul_i32 s2, s6, s7
	s_lshl_b64 s[2:3], s[2:3], 1
	s_add_u32 s0, s0, s2
	s_addc_u32 s1, s1, s3
	s_add_i32 s2, s7, 1
	s_lshr_b32 s3, s2, 31
	s_add_i32 s2, s2, s3
	s_add_i32 s3, s7, 15
	s_ashr_i32 s6, s3, 31
	s_lshr_b32 s6, s6, 28
	s_add_i32 s3, s3, s6
	s_lshl_b32 s2, s2, 1
	s_ashr_i32 s6, s3, 4
	s_and_b32 s2, s2, -4
	s_and_b32 s1, s1, 0xffff
	v_cmp_gt_u32_e32 vcc, s6, v0
	s_and_saveexec_b64 s[8:9], vcc
	s_cbranch_execz .LBB8_2
; %bb.1:
	v_lshlrev_b32_e32 v1, 5, v0
	s_mov_b32 s3, 0x20000
	buffer_load_dwordx4 v[2:5], v1, s[0:3], 0 offen
	buffer_load_dwordx4 v[6:9], v1, s[0:3], 16 offen
.LBB8_2:
	s_or_b64 exec, exec, s[8:9]
	s_load_dwordx2 s[4:5], s[4:5], 0x0
	v_add_u32_e32 v18, 0x100, v0
	v_mov_b32_e32 v19, 0
	s_ashr_i32 s7, s6, 31
	v_cmp_gt_u32_e32 vcc, s6, v18
	v_mov_b32_e32 v1, v19
	s_and_saveexec_b64 s[8:9], vcc
	s_cbranch_execz .LBB8_6
; %bb.3:
	v_mov_b32_e32 v1, 0x2000
	v_lshl_add_u32 v20, v0, 5, v1
	s_mov_b64 s[10:11], 0
	v_mov_b32_e32 v1, 0
	s_mov_b32 s3, 0x20000
.LBB8_4:                                ; =>This Inner Loop Header: Depth=1
	buffer_load_dwordx4 v[10:13], v20, s[0:3], 0 offen
	buffer_load_dwordx4 v[14:17], v20, s[0:3], 16 offen
	s_waitcnt vmcnt(3)
	v_cvt_f32_f16_e64 v21, |v2|
	v_cvt_f32_f16_sdwa v2, |v2| dst_sel:DWORD dst_unused:UNUSED_PAD src0_sel:WORD_1
	v_cvt_f32_f16_e64 v22, |v3|
	v_cvt_f32_f16_sdwa v3, |v3| dst_sel:DWORD dst_unused:UNUSED_PAD src0_sel:WORD_1
	;; [unrolled: 2-line block ×4, first 2 shown]
	s_waitcnt vmcnt(2)
	v_cvt_f32_f16_e64 v25, |v6|
	v_cvt_f32_f16_sdwa v6, |v6| dst_sel:DWORD dst_unused:UNUSED_PAD src0_sel:WORD_1
	v_max3_f32 v1, v1, v21, v2
	v_cvt_f32_f16_e64 v26, |v7|
	v_cvt_f32_f16_sdwa v7, |v7| dst_sel:DWORD dst_unused:UNUSED_PAD src0_sel:WORD_1
	v_max3_f32 v1, v1, v22, v3
	;; [unrolled: 3-line block ×4, first 2 shown]
	v_max3_f32 v1, v1, v25, v6
	v_add_co_u32_e32 v18, vcc, 0x100, v18
	v_max3_f32 v1, v1, v26, v7
	v_addc_co_u32_e32 v19, vcc, 0, v19, vcc
	v_max3_f32 v1, v1, v27, v8
	v_cmp_le_u64_e32 vcc, s[6:7], v[18:19]
	v_max3_f32 v1, v1, v28, v9
	v_add_u32_e32 v20, 0x2000, v20
	s_or_b64 s[10:11], vcc, s[10:11]
	s_waitcnt vmcnt(0)
	v_pk_mov_b32 v[2:3], v[10:11], v[10:11] op_sel:[0,1]
	v_pk_mov_b32 v[4:5], v[12:13], v[12:13] op_sel:[0,1]
	;; [unrolled: 1-line block ×4, first 2 shown]
	s_andn2_b64 exec, exec, s[10:11]
	s_cbranch_execnz .LBB8_4
; %bb.5:
	s_or_b64 exec, exec, s[10:11]
	v_pk_mov_b32 v[2:3], v[10:11], v[10:11] op_sel:[0,1]
	v_pk_mov_b32 v[4:5], v[12:13], v[12:13] op_sel:[0,1]
	;; [unrolled: 1-line block ×4, first 2 shown]
.LBB8_6:
	s_or_b64 exec, exec, s[8:9]
	v_add_co_u32_e32 v10, vcc, 0xffffff00, v18
	v_addc_co_u32_e32 v11, vcc, -1, v19, vcc
	v_cmp_gt_u64_e32 vcc, s[6:7], v[10:11]
	s_and_saveexec_b64 s[0:1], vcc
	s_cbranch_execz .LBB8_8
; %bb.7:
	s_waitcnt vmcnt(1)
	v_cvt_f32_f16_e64 v10, |v2|
	v_cvt_f32_f16_sdwa v2, |v2| dst_sel:DWORD dst_unused:UNUSED_PAD src0_sel:WORD_1
	v_cvt_f32_f16_e64 v11, |v3|
	v_cvt_f32_f16_sdwa v3, |v3| dst_sel:DWORD dst_unused:UNUSED_PAD src0_sel:WORD_1
	v_cvt_f32_f16_e64 v12, |v4|
	v_cvt_f32_f16_sdwa v4, |v4| dst_sel:DWORD dst_unused:UNUSED_PAD src0_sel:WORD_1
	v_cvt_f32_f16_e64 v13, |v5|
	v_cvt_f32_f16_sdwa v5, |v5| dst_sel:DWORD dst_unused:UNUSED_PAD src0_sel:WORD_1
	v_max3_f32 v1, v1, v10, v2
	v_max3_f32 v1, v1, v11, v3
	;; [unrolled: 1-line block ×3, first 2 shown]
	s_waitcnt vmcnt(0)
	v_cvt_f32_f16_e64 v2, |v6|
	v_cvt_f32_f16_sdwa v3, |v6| dst_sel:DWORD dst_unused:UNUSED_PAD src0_sel:WORD_1
	v_max3_f32 v1, v1, v13, v5
	v_cvt_f32_f16_e64 v4, |v7|
	v_cvt_f32_f16_sdwa v5, |v7| dst_sel:DWORD dst_unused:UNUSED_PAD src0_sel:WORD_1
	v_cvt_f32_f16_e64 v6, |v8|
	v_cvt_f32_f16_sdwa v7, |v8| dst_sel:DWORD dst_unused:UNUSED_PAD src0_sel:WORD_1
	;; [unrolled: 2-line block ×3, first 2 shown]
	v_max3_f32 v1, v1, v2, v3
	v_max3_f32 v1, v1, v4, v5
	;; [unrolled: 1-line block ×4, first 2 shown]
.LBB8_8:
	s_or_b64 exec, exec, s[0:1]
	s_waitcnt vmcnt(1)
	v_mov_b32_dpp v2, v1 quad_perm:[1,0,3,2] row_mask:0xf bank_mask:0xf
	v_cmp_gt_f32_e32 vcc, v1, v2
	v_cndmask_b32_e32 v1, v2, v1, vcc
	v_and_b32_e32 v3, 63, v0
	s_nop 0
	v_mov_b32_dpp v2, v1 quad_perm:[2,3,0,1] row_mask:0xf bank_mask:0xf
	v_cmp_gt_f32_e32 vcc, v1, v2
	v_cndmask_b32_e32 v1, v2, v1, vcc
	s_nop 1
	v_mov_b32_dpp v2, v1 row_half_mirror row_mask:0xf bank_mask:0xf
	v_cmp_gt_f32_e32 vcc, v1, v2
	v_cndmask_b32_e32 v1, v2, v1, vcc
	s_nop 1
	v_mov_b32_dpp v2, v1 row_mirror row_mask:0xf bank_mask:0xf
	v_cmp_gt_f32_e32 vcc, v1, v2
	v_cndmask_b32_e32 v1, v2, v1, vcc
	s_nop 1
	v_mov_b32_dpp v2, v1 row_bcast:15 row_mask:0xf bank_mask:0xf
	v_cmp_gt_f32_e32 vcc, v1, v2
	v_cndmask_b32_e32 v1, v2, v1, vcc
	v_cmp_eq_u32_e32 vcc, 63, v3
	s_nop 0
	v_mov_b32_dpp v2, v1 row_bcast:31 row_mask:0xf bank_mask:0xf
	s_and_saveexec_b64 s[0:1], vcc
	s_cbranch_execz .LBB8_10
; %bb.9:
	v_lshrrev_b32_e32 v3, 4, v0
	v_cmp_gt_f32_e32 vcc, v1, v2
	v_and_b32_e32 v3, 60, v3
	v_cndmask_b32_e32 v1, v2, v1, vcc
	ds_write_b32 v3, v1
.LBB8_10:
	s_or_b64 exec, exec, s[0:1]
	v_and_b32_e32 v1, 3, v0
	v_lshlrev_b32_e32 v1, 2, v1
	s_waitcnt lgkmcnt(0)
	s_barrier
	ds_read_b32 v1, v1
	s_waitcnt lgkmcnt(0)
	s_nop 0
	v_mov_b32_dpp v2, v1 quad_perm:[1,0,3,2] row_mask:0xf bank_mask:0xf
	v_cmp_gt_f32_e32 vcc, v1, v2
	v_cndmask_b32_e32 v1, v2, v1, vcc
	v_cmp_eq_u32_e32 vcc, 0, v0
	s_nop 0
	v_mov_b32_dpp v2, v1 quad_perm:[2,3,0,1] row_mask:0xf bank_mask:0xf
	s_and_saveexec_b64 s[0:1], vcc
	s_cbranch_execz .LBB8_22
; %bb.11:
	v_cmp_gt_f32_e32 vcc, v1, v2
	v_cndmask_b32_e32 v0, v2, v1, vcc
	v_mul_f32_e32 v0, 0x3c010204, v0
	v_cmp_le_f32_e32 vcc, 0, v0
	s_and_saveexec_b64 s[0:1], vcc
	s_xor_b64 s[0:1], exec, s[0:1]
	s_cbranch_execz .LBB8_17
; %bb.12:
	s_mov_b64 s[2:3], exec
	s_brev_b32 s6, 1
.LBB8_13:                               ; =>This Inner Loop Header: Depth=1
	s_ff1_i32_b64 s7, s[2:3]
	v_readlane_b32 s10, v0, s7
	s_lshl_b64 s[8:9], 1, s7
	s_max_i32 s6, s6, s10
	s_andn2_b64 s[2:3], s[2:3], s[8:9]
	s_cmp_lg_u64 s[2:3], 0
	s_cbranch_scc1 .LBB8_13
; %bb.14:
	v_mbcnt_lo_u32_b32 v0, exec_lo, 0
	v_mbcnt_hi_u32_b32 v0, exec_hi, v0
	v_cmp_eq_u32_e32 vcc, 0, v0
	s_and_saveexec_b64 s[2:3], vcc
	s_xor_b64 s[2:3], exec, s[2:3]
	s_cbranch_execz .LBB8_16
; %bb.15:
	v_mov_b32_e32 v0, 0
	v_mov_b32_e32 v1, s6
	global_atomic_smax v0, v1, s[4:5]
.LBB8_16:
	s_or_b64 exec, exec, s[2:3]
                                        ; implicit-def: $vgpr0
.LBB8_17:
	s_andn2_saveexec_b64 s[0:1], s[0:1]
	s_cbranch_execz .LBB8_22
; %bb.18:
	s_mov_b64 s[0:1], exec
	s_mov_b32 s2, -1
.LBB8_19:                               ; =>This Inner Loop Header: Depth=1
	s_ff1_i32_b64 s3, s[0:1]
	v_readlane_b32 s8, v0, s3
	s_lshl_b64 s[6:7], 1, s3
	s_min_u32 s2, s2, s8
	s_andn2_b64 s[0:1], s[0:1], s[6:7]
	s_cmp_lg_u64 s[0:1], 0
	s_cbranch_scc1 .LBB8_19
; %bb.20:
	v_mbcnt_lo_u32_b32 v0, exec_lo, 0
	v_mbcnt_hi_u32_b32 v0, exec_hi, v0
	v_cmp_eq_u32_e32 vcc, 0, v0
	s_and_saveexec_b64 s[0:1], vcc
	s_xor_b64 s[0:1], exec, s[0:1]
	s_cbranch_execz .LBB8_22
; %bb.21:
	v_mov_b32_e32 v0, 0
	v_mov_b32_e32 v1, s2
	global_atomic_umin v0, v1, s[4:5]
.LBB8_22:
	s_endpgm
	.section	.rodata,"a",@progbits
	.p2align	6, 0x0
	.amdhsa_kernel _ZN5aiter20data_to_scale_kernelIDF16_aEEvPfPKT_i
		.amdhsa_group_segment_fixed_size 16
		.amdhsa_private_segment_fixed_size 0
		.amdhsa_kernarg_size 20
		.amdhsa_user_sgpr_count 6
		.amdhsa_user_sgpr_private_segment_buffer 1
		.amdhsa_user_sgpr_dispatch_ptr 0
		.amdhsa_user_sgpr_queue_ptr 0
		.amdhsa_user_sgpr_kernarg_segment_ptr 1
		.amdhsa_user_sgpr_dispatch_id 0
		.amdhsa_user_sgpr_flat_scratch_init 0
		.amdhsa_user_sgpr_kernarg_preload_length 0
		.amdhsa_user_sgpr_kernarg_preload_offset 0
		.amdhsa_user_sgpr_private_segment_size 0
		.amdhsa_uses_dynamic_stack 0
		.amdhsa_system_sgpr_private_segment_wavefront_offset 0
		.amdhsa_system_sgpr_workgroup_id_x 1
		.amdhsa_system_sgpr_workgroup_id_y 0
		.amdhsa_system_sgpr_workgroup_id_z 0
		.amdhsa_system_sgpr_workgroup_info 0
		.amdhsa_system_vgpr_workitem_id 0
		.amdhsa_next_free_vgpr 29
		.amdhsa_next_free_sgpr 12
		.amdhsa_accum_offset 32
		.amdhsa_reserve_vcc 1
		.amdhsa_reserve_flat_scratch 0
		.amdhsa_float_round_mode_32 0
		.amdhsa_float_round_mode_16_64 0
		.amdhsa_float_denorm_mode_32 3
		.amdhsa_float_denorm_mode_16_64 3
		.amdhsa_dx10_clamp 1
		.amdhsa_ieee_mode 1
		.amdhsa_fp16_overflow 0
		.amdhsa_tg_split 0
		.amdhsa_exception_fp_ieee_invalid_op 0
		.amdhsa_exception_fp_denorm_src 0
		.amdhsa_exception_fp_ieee_div_zero 0
		.amdhsa_exception_fp_ieee_overflow 0
		.amdhsa_exception_fp_ieee_underflow 0
		.amdhsa_exception_fp_ieee_inexact 0
		.amdhsa_exception_int_div_zero 0
	.end_amdhsa_kernel
	.section	.text._ZN5aiter20data_to_scale_kernelIDF16_aEEvPfPKT_i,"axG",@progbits,_ZN5aiter20data_to_scale_kernelIDF16_aEEvPfPKT_i,comdat
.Lfunc_end8:
	.size	_ZN5aiter20data_to_scale_kernelIDF16_aEEvPfPKT_i, .Lfunc_end8-_ZN5aiter20data_to_scale_kernelIDF16_aEEvPfPKT_i
                                        ; -- End function
	.section	.AMDGPU.csdata,"",@progbits
; Kernel info:
; codeLenInByte = 1212
; NumSgprs: 16
; NumVgprs: 29
; NumAgprs: 0
; TotalNumVgprs: 29
; ScratchSize: 0
; MemoryBound: 0
; FloatMode: 240
; IeeeMode: 1
; LDSByteSize: 16 bytes/workgroup (compile time only)
; SGPRBlocks: 1
; VGPRBlocks: 3
; NumSGPRsForWavesPerEU: 16
; NumVGPRsForWavesPerEU: 29
; AccumOffset: 32
; Occupancy: 8
; WaveLimiterHint : 0
; COMPUTE_PGM_RSRC2:SCRATCH_EN: 0
; COMPUTE_PGM_RSRC2:USER_SGPR: 6
; COMPUTE_PGM_RSRC2:TRAP_HANDLER: 0
; COMPUTE_PGM_RSRC2:TGID_X_EN: 1
; COMPUTE_PGM_RSRC2:TGID_Y_EN: 0
; COMPUTE_PGM_RSRC2:TGID_Z_EN: 0
; COMPUTE_PGM_RSRC2:TIDIG_COMP_CNT: 0
; COMPUTE_PGM_RSRC3_GFX90A:ACCUM_OFFSET: 7
; COMPUTE_PGM_RSRC3_GFX90A:TG_SPLIT: 0
	.section	.text._ZN5aiter20data_to_scale_kernelItaEEvPfPKT_i,"axG",@progbits,_ZN5aiter20data_to_scale_kernelItaEEvPfPKT_i,comdat
	.protected	_ZN5aiter20data_to_scale_kernelItaEEvPfPKT_i ; -- Begin function _ZN5aiter20data_to_scale_kernelItaEEvPfPKT_i
	.globl	_ZN5aiter20data_to_scale_kernelItaEEvPfPKT_i
	.p2align	8
	.type	_ZN5aiter20data_to_scale_kernelItaEEvPfPKT_i,@function
_ZN5aiter20data_to_scale_kernelItaEEvPfPKT_i: ; @_ZN5aiter20data_to_scale_kernelItaEEvPfPKT_i
; %bb.0:
	s_load_dword s7, s[4:5], 0x10
	s_load_dwordx2 s[0:1], s[4:5], 0x8
	s_mov_b32 s3, 0
                                        ; implicit-def: $vgpr2_vgpr3_vgpr4_vgpr5_vgpr6_vgpr7_vgpr8_vgpr9
	s_waitcnt lgkmcnt(0)
	s_mul_i32 s2, s6, s7
	s_lshl_b64 s[2:3], s[2:3], 1
	s_add_u32 s0, s0, s2
	s_addc_u32 s1, s1, s3
	s_add_i32 s2, s7, 1
	s_lshr_b32 s3, s2, 31
	s_add_i32 s2, s2, s3
	s_add_i32 s3, s7, 15
	s_ashr_i32 s6, s3, 31
	s_lshr_b32 s6, s6, 28
	s_add_i32 s3, s3, s6
	s_lshl_b32 s2, s2, 1
	s_ashr_i32 s6, s3, 4
	s_and_b32 s2, s2, -4
	s_and_b32 s1, s1, 0xffff
	v_cmp_gt_u32_e32 vcc, s6, v0
	s_and_saveexec_b64 s[8:9], vcc
	s_cbranch_execz .LBB9_2
; %bb.1:
	v_lshlrev_b32_e32 v1, 5, v0
	s_mov_b32 s3, 0x20000
	buffer_load_dwordx4 v[2:5], v1, s[0:3], 0 offen
	buffer_load_dwordx4 v[6:9], v1, s[0:3], 16 offen
.LBB9_2:
	s_or_b64 exec, exec, s[8:9]
	s_load_dwordx2 s[4:5], s[4:5], 0x0
	v_add_u32_e32 v18, 0x100, v0
	v_mov_b32_e32 v19, 0
	s_ashr_i32 s7, s6, 31
	v_cmp_gt_u32_e32 vcc, s6, v18
	v_mov_b32_e32 v1, v19
	s_and_saveexec_b64 s[8:9], vcc
	s_cbranch_execz .LBB9_6
; %bb.3:
	v_mov_b32_e32 v1, 0x2000
	v_lshl_add_u32 v20, v0, 5, v1
	s_mov_b64 s[10:11], 0
	v_mov_b32_e32 v1, 0
	s_mov_b32 s3, 0x20000
.LBB9_4:                                ; =>This Inner Loop Header: Depth=1
	buffer_load_dwordx4 v[10:13], v20, s[0:3], 0 offen
	buffer_load_dwordx4 v[14:17], v20, s[0:3], 16 offen
	s_waitcnt vmcnt(3)
	v_cvt_f32_u32_sdwa v21, v2 dst_sel:DWORD dst_unused:UNUSED_PAD src0_sel:WORD_0
	v_cvt_f32_u32_sdwa v2, v2 dst_sel:DWORD dst_unused:UNUSED_PAD src0_sel:WORD_1
	v_cvt_f32_u32_sdwa v22, v3 dst_sel:DWORD dst_unused:UNUSED_PAD src0_sel:WORD_0
	v_cvt_f32_u32_sdwa v3, v3 dst_sel:DWORD dst_unused:UNUSED_PAD src0_sel:WORD_1
	;; [unrolled: 2-line block ×4, first 2 shown]
	s_waitcnt vmcnt(2)
	v_cvt_f32_u32_sdwa v25, v6 dst_sel:DWORD dst_unused:UNUSED_PAD src0_sel:WORD_0
	v_cvt_f32_u32_sdwa v6, v6 dst_sel:DWORD dst_unused:UNUSED_PAD src0_sel:WORD_1
	v_max3_f32 v1, v1, v21, v2
	v_cvt_f32_u32_sdwa v26, v7 dst_sel:DWORD dst_unused:UNUSED_PAD src0_sel:WORD_0
	v_cvt_f32_u32_sdwa v7, v7 dst_sel:DWORD dst_unused:UNUSED_PAD src0_sel:WORD_1
	v_max3_f32 v1, v1, v22, v3
	;; [unrolled: 3-line block ×4, first 2 shown]
	v_max3_f32 v1, v1, v25, v6
	v_add_co_u32_e32 v18, vcc, 0x100, v18
	v_max3_f32 v1, v1, v26, v7
	v_addc_co_u32_e32 v19, vcc, 0, v19, vcc
	v_max3_f32 v1, v1, v27, v8
	v_cmp_le_u64_e32 vcc, s[6:7], v[18:19]
	v_max3_f32 v1, v1, v28, v9
	v_add_u32_e32 v20, 0x2000, v20
	s_or_b64 s[10:11], vcc, s[10:11]
	s_waitcnt vmcnt(0)
	v_pk_mov_b32 v[2:3], v[10:11], v[10:11] op_sel:[0,1]
	v_pk_mov_b32 v[4:5], v[12:13], v[12:13] op_sel:[0,1]
	;; [unrolled: 1-line block ×4, first 2 shown]
	s_andn2_b64 exec, exec, s[10:11]
	s_cbranch_execnz .LBB9_4
; %bb.5:
	s_or_b64 exec, exec, s[10:11]
	v_pk_mov_b32 v[2:3], v[10:11], v[10:11] op_sel:[0,1]
	v_pk_mov_b32 v[4:5], v[12:13], v[12:13] op_sel:[0,1]
	;; [unrolled: 1-line block ×4, first 2 shown]
.LBB9_6:
	s_or_b64 exec, exec, s[8:9]
	v_add_co_u32_e32 v10, vcc, 0xffffff00, v18
	v_addc_co_u32_e32 v11, vcc, -1, v19, vcc
	v_cmp_gt_u64_e32 vcc, s[6:7], v[10:11]
	s_and_saveexec_b64 s[0:1], vcc
	s_cbranch_execz .LBB9_8
; %bb.7:
	s_waitcnt vmcnt(1)
	v_cvt_f32_u32_sdwa v10, v2 dst_sel:DWORD dst_unused:UNUSED_PAD src0_sel:WORD_0
	v_cvt_f32_u32_sdwa v2, v2 dst_sel:DWORD dst_unused:UNUSED_PAD src0_sel:WORD_1
	v_cvt_f32_u32_sdwa v11, v3 dst_sel:DWORD dst_unused:UNUSED_PAD src0_sel:WORD_0
	v_cvt_f32_u32_sdwa v3, v3 dst_sel:DWORD dst_unused:UNUSED_PAD src0_sel:WORD_1
	;; [unrolled: 2-line block ×4, first 2 shown]
	v_max3_f32 v1, v1, v10, v2
	v_max3_f32 v1, v1, v11, v3
	;; [unrolled: 1-line block ×3, first 2 shown]
	s_waitcnt vmcnt(0)
	v_cvt_f32_u32_sdwa v2, v6 dst_sel:DWORD dst_unused:UNUSED_PAD src0_sel:WORD_0
	v_cvt_f32_u32_sdwa v3, v6 dst_sel:DWORD dst_unused:UNUSED_PAD src0_sel:WORD_1
	v_max3_f32 v1, v1, v13, v5
	v_cvt_f32_u32_sdwa v4, v7 dst_sel:DWORD dst_unused:UNUSED_PAD src0_sel:WORD_0
	v_cvt_f32_u32_sdwa v5, v7 dst_sel:DWORD dst_unused:UNUSED_PAD src0_sel:WORD_1
	v_cvt_f32_u32_sdwa v6, v8 dst_sel:DWORD dst_unused:UNUSED_PAD src0_sel:WORD_0
	v_cvt_f32_u32_sdwa v7, v8 dst_sel:DWORD dst_unused:UNUSED_PAD src0_sel:WORD_1
	;; [unrolled: 2-line block ×3, first 2 shown]
	v_max3_f32 v1, v1, v2, v3
	v_max3_f32 v1, v1, v4, v5
	;; [unrolled: 1-line block ×4, first 2 shown]
.LBB9_8:
	s_or_b64 exec, exec, s[0:1]
	s_waitcnt vmcnt(1)
	v_mov_b32_dpp v2, v1 quad_perm:[1,0,3,2] row_mask:0xf bank_mask:0xf
	v_cmp_gt_f32_e32 vcc, v1, v2
	v_cndmask_b32_e32 v1, v2, v1, vcc
	v_and_b32_e32 v3, 63, v0
	s_nop 0
	v_mov_b32_dpp v2, v1 quad_perm:[2,3,0,1] row_mask:0xf bank_mask:0xf
	v_cmp_gt_f32_e32 vcc, v1, v2
	v_cndmask_b32_e32 v1, v2, v1, vcc
	s_nop 1
	v_mov_b32_dpp v2, v1 row_half_mirror row_mask:0xf bank_mask:0xf
	v_cmp_gt_f32_e32 vcc, v1, v2
	v_cndmask_b32_e32 v1, v2, v1, vcc
	s_nop 1
	v_mov_b32_dpp v2, v1 row_mirror row_mask:0xf bank_mask:0xf
	v_cmp_gt_f32_e32 vcc, v1, v2
	v_cndmask_b32_e32 v1, v2, v1, vcc
	s_nop 1
	v_mov_b32_dpp v2, v1 row_bcast:15 row_mask:0xf bank_mask:0xf
	v_cmp_gt_f32_e32 vcc, v1, v2
	v_cndmask_b32_e32 v1, v2, v1, vcc
	v_cmp_eq_u32_e32 vcc, 63, v3
	s_nop 0
	v_mov_b32_dpp v2, v1 row_bcast:31 row_mask:0xf bank_mask:0xf
	s_and_saveexec_b64 s[0:1], vcc
	s_cbranch_execz .LBB9_10
; %bb.9:
	v_lshrrev_b32_e32 v3, 4, v0
	v_cmp_gt_f32_e32 vcc, v1, v2
	v_and_b32_e32 v3, 60, v3
	v_cndmask_b32_e32 v1, v2, v1, vcc
	ds_write_b32 v3, v1
.LBB9_10:
	s_or_b64 exec, exec, s[0:1]
	v_and_b32_e32 v1, 3, v0
	v_lshlrev_b32_e32 v1, 2, v1
	s_waitcnt lgkmcnt(0)
	s_barrier
	ds_read_b32 v1, v1
	s_waitcnt lgkmcnt(0)
	s_nop 0
	v_mov_b32_dpp v2, v1 quad_perm:[1,0,3,2] row_mask:0xf bank_mask:0xf
	v_cmp_gt_f32_e32 vcc, v1, v2
	v_cndmask_b32_e32 v1, v2, v1, vcc
	v_cmp_eq_u32_e32 vcc, 0, v0
	s_nop 0
	v_mov_b32_dpp v2, v1 quad_perm:[2,3,0,1] row_mask:0xf bank_mask:0xf
	s_and_saveexec_b64 s[0:1], vcc
	s_cbranch_execz .LBB9_22
; %bb.11:
	v_cmp_gt_f32_e32 vcc, v1, v2
	v_cndmask_b32_e32 v0, v2, v1, vcc
	v_mul_f32_e32 v0, 0x3c010204, v0
	v_cmp_le_f32_e32 vcc, 0, v0
	s_and_saveexec_b64 s[0:1], vcc
	s_xor_b64 s[0:1], exec, s[0:1]
	s_cbranch_execz .LBB9_17
; %bb.12:
	s_mov_b64 s[2:3], exec
	s_brev_b32 s6, 1
.LBB9_13:                               ; =>This Inner Loop Header: Depth=1
	s_ff1_i32_b64 s7, s[2:3]
	v_readlane_b32 s10, v0, s7
	s_lshl_b64 s[8:9], 1, s7
	s_max_i32 s6, s6, s10
	s_andn2_b64 s[2:3], s[2:3], s[8:9]
	s_cmp_lg_u64 s[2:3], 0
	s_cbranch_scc1 .LBB9_13
; %bb.14:
	v_mbcnt_lo_u32_b32 v0, exec_lo, 0
	v_mbcnt_hi_u32_b32 v0, exec_hi, v0
	v_cmp_eq_u32_e32 vcc, 0, v0
	s_and_saveexec_b64 s[2:3], vcc
	s_xor_b64 s[2:3], exec, s[2:3]
	s_cbranch_execz .LBB9_16
; %bb.15:
	v_mov_b32_e32 v0, 0
	v_mov_b32_e32 v1, s6
	global_atomic_smax v0, v1, s[4:5]
.LBB9_16:
	s_or_b64 exec, exec, s[2:3]
                                        ; implicit-def: $vgpr0
.LBB9_17:
	s_andn2_saveexec_b64 s[0:1], s[0:1]
	s_cbranch_execz .LBB9_22
; %bb.18:
	s_mov_b64 s[0:1], exec
	s_mov_b32 s2, -1
.LBB9_19:                               ; =>This Inner Loop Header: Depth=1
	s_ff1_i32_b64 s3, s[0:1]
	v_readlane_b32 s8, v0, s3
	s_lshl_b64 s[6:7], 1, s3
	s_min_u32 s2, s2, s8
	s_andn2_b64 s[0:1], s[0:1], s[6:7]
	s_cmp_lg_u64 s[0:1], 0
	s_cbranch_scc1 .LBB9_19
; %bb.20:
	v_mbcnt_lo_u32_b32 v0, exec_lo, 0
	v_mbcnt_hi_u32_b32 v0, exec_hi, v0
	v_cmp_eq_u32_e32 vcc, 0, v0
	s_and_saveexec_b64 s[0:1], vcc
	s_xor_b64 s[0:1], exec, s[0:1]
	s_cbranch_execz .LBB9_22
; %bb.21:
	v_mov_b32_e32 v0, 0
	v_mov_b32_e32 v1, s2
	global_atomic_umin v0, v1, s[4:5]
.LBB9_22:
	s_endpgm
	.section	.rodata,"a",@progbits
	.p2align	6, 0x0
	.amdhsa_kernel _ZN5aiter20data_to_scale_kernelItaEEvPfPKT_i
		.amdhsa_group_segment_fixed_size 16
		.amdhsa_private_segment_fixed_size 0
		.amdhsa_kernarg_size 20
		.amdhsa_user_sgpr_count 6
		.amdhsa_user_sgpr_private_segment_buffer 1
		.amdhsa_user_sgpr_dispatch_ptr 0
		.amdhsa_user_sgpr_queue_ptr 0
		.amdhsa_user_sgpr_kernarg_segment_ptr 1
		.amdhsa_user_sgpr_dispatch_id 0
		.amdhsa_user_sgpr_flat_scratch_init 0
		.amdhsa_user_sgpr_kernarg_preload_length 0
		.amdhsa_user_sgpr_kernarg_preload_offset 0
		.amdhsa_user_sgpr_private_segment_size 0
		.amdhsa_uses_dynamic_stack 0
		.amdhsa_system_sgpr_private_segment_wavefront_offset 0
		.amdhsa_system_sgpr_workgroup_id_x 1
		.amdhsa_system_sgpr_workgroup_id_y 0
		.amdhsa_system_sgpr_workgroup_id_z 0
		.amdhsa_system_sgpr_workgroup_info 0
		.amdhsa_system_vgpr_workitem_id 0
		.amdhsa_next_free_vgpr 29
		.amdhsa_next_free_sgpr 12
		.amdhsa_accum_offset 32
		.amdhsa_reserve_vcc 1
		.amdhsa_reserve_flat_scratch 0
		.amdhsa_float_round_mode_32 0
		.amdhsa_float_round_mode_16_64 0
		.amdhsa_float_denorm_mode_32 3
		.amdhsa_float_denorm_mode_16_64 3
		.amdhsa_dx10_clamp 1
		.amdhsa_ieee_mode 1
		.amdhsa_fp16_overflow 0
		.amdhsa_tg_split 0
		.amdhsa_exception_fp_ieee_invalid_op 0
		.amdhsa_exception_fp_denorm_src 0
		.amdhsa_exception_fp_ieee_div_zero 0
		.amdhsa_exception_fp_ieee_overflow 0
		.amdhsa_exception_fp_ieee_underflow 0
		.amdhsa_exception_fp_ieee_inexact 0
		.amdhsa_exception_int_div_zero 0
	.end_amdhsa_kernel
	.section	.text._ZN5aiter20data_to_scale_kernelItaEEvPfPKT_i,"axG",@progbits,_ZN5aiter20data_to_scale_kernelItaEEvPfPKT_i,comdat
.Lfunc_end9:
	.size	_ZN5aiter20data_to_scale_kernelItaEEvPfPKT_i, .Lfunc_end9-_ZN5aiter20data_to_scale_kernelItaEEvPfPKT_i
                                        ; -- End function
	.section	.AMDGPU.csdata,"",@progbits
; Kernel info:
; codeLenInByte = 1212
; NumSgprs: 16
; NumVgprs: 29
; NumAgprs: 0
; TotalNumVgprs: 29
; ScratchSize: 0
; MemoryBound: 0
; FloatMode: 240
; IeeeMode: 1
; LDSByteSize: 16 bytes/workgroup (compile time only)
; SGPRBlocks: 1
; VGPRBlocks: 3
; NumSGPRsForWavesPerEU: 16
; NumVGPRsForWavesPerEU: 29
; AccumOffset: 32
; Occupancy: 8
; WaveLimiterHint : 0
; COMPUTE_PGM_RSRC2:SCRATCH_EN: 0
; COMPUTE_PGM_RSRC2:USER_SGPR: 6
; COMPUTE_PGM_RSRC2:TRAP_HANDLER: 0
; COMPUTE_PGM_RSRC2:TGID_X_EN: 1
; COMPUTE_PGM_RSRC2:TGID_Y_EN: 0
; COMPUTE_PGM_RSRC2:TGID_Z_EN: 0
; COMPUTE_PGM_RSRC2:TIDIG_COMP_CNT: 0
; COMPUTE_PGM_RSRC3_GFX90A:ACCUM_OFFSET: 7
; COMPUTE_PGM_RSRC3_GFX90A:TG_SPLIT: 0
	.section	.text._ZN5aiter37dynamic_per_group_scaled_quant_kernelIDF16_DB8_Li32ELi32ELb1ELi64ELb0EEEvPT0_PfPKT_PKfliilPKii,"axG",@progbits,_ZN5aiter37dynamic_per_group_scaled_quant_kernelIDF16_DB8_Li32ELi32ELb1ELi64ELb0EEEvPT0_PfPKT_PKfliilPKii,comdat
	.protected	_ZN5aiter37dynamic_per_group_scaled_quant_kernelIDF16_DB8_Li32ELi32ELb1ELi64ELb0EEEvPT0_PfPKT_PKfliilPKii ; -- Begin function _ZN5aiter37dynamic_per_group_scaled_quant_kernelIDF16_DB8_Li32ELi32ELb1ELi64ELb0EEEvPT0_PfPKT_PKfliilPKii
	.globl	_ZN5aiter37dynamic_per_group_scaled_quant_kernelIDF16_DB8_Li32ELi32ELb1ELi64ELb0EEEvPT0_PfPKT_PKfliilPKii
	.p2align	8
	.type	_ZN5aiter37dynamic_per_group_scaled_quant_kernelIDF16_DB8_Li32ELi32ELb1ELi64ELb0EEEvPT0_PfPKT_PKfliilPKii,@function
_ZN5aiter37dynamic_per_group_scaled_quant_kernelIDF16_DB8_Li32ELi32ELb1ELi64ELb0EEEvPT0_PfPKT_PKfliilPKii: ; @_ZN5aiter37dynamic_per_group_scaled_quant_kernelIDF16_DB8_Li32ELi32ELb1ELi64ELb0EEEvPT0_PfPKT_PKfliilPKii
; %bb.0:
	s_load_dwordx2 s[0:1], s[4:5], 0x38
	s_waitcnt lgkmcnt(0)
	s_cmp_eq_u64 s[0:1], 0
	s_cbranch_scc1 .LBB10_2
; %bb.1:
	s_load_dword s2, s[4:5], 0x40
	s_load_dword s3, s[0:1], 0x0
	s_waitcnt lgkmcnt(0)
	s_mul_hi_i32 s9, s3, s2
	s_mul_i32 s8, s3, s2
	s_branch .LBB10_3
.LBB10_2:
	s_load_dwordx2 s[8:9], s[4:5], 0x20
.LBB10_3:
	s_load_dwordx2 s[2:3], s[4:5], 0x28
	s_mov_b32 s7, 0
	s_lshl_b64 s[10:11], s[6:7], 6
	v_or_b32_e32 v10, s10, v0
                                        ; implicit-def: $vgpr8_vgpr9
	s_waitcnt lgkmcnt(0)
	s_ashr_i32 s0, s2, 31
	s_lshr_b32 s0, s0, 27
	s_add_i32 s0, s2, s0
	s_ashr_i32 s12, s0, 5
	s_ashr_i32 s13, s12, 31
	s_or_b64 s[0:1], s[10:11], s[12:13]
	s_mov_b32 s0, s7
	s_cmp_lg_u64 s[0:1], 0
	s_cselect_b64 s[0:1], -1, 0
	s_and_saveexec_b64 s[6:7], s[0:1]
	s_xor_b64 s[6:7], exec, s[6:7]
	s_cbranch_execnz .LBB10_7
; %bb.4:
	s_andn2_saveexec_b64 s[0:1], s[6:7]
	s_cbranch_execnz .LBB10_8
.LBB10_5:
	s_or_b64 exec, exec, s[0:1]
	v_cmp_gt_i64_e32 vcc, s[8:9], v[8:9]
	s_and_saveexec_b64 s[0:1], vcc
	s_cbranch_execnz .LBB10_9
.LBB10_6:
	s_endpgm
.LBB10_7:
	s_add_u32 s0, s12, s13
	s_mov_b32 s14, s13
	s_mov_b32 s15, s13
	s_addc_u32 s1, s13, s13
	s_xor_b64 s[16:17], s[0:1], s[14:15]
	v_cvt_f32_u32_e32 v0, s16
	v_cvt_f32_u32_e32 v1, s17
	s_sub_u32 s0, 0, s16
	s_subb_u32 s1, 0, s17
	v_madmk_f32 v0, v1, 0x4f800000, v0
	v_rcp_f32_e32 v0, v0
	v_mul_f32_e32 v0, 0x5f7ffffc, v0
	v_mul_f32_e32 v1, 0x2f800000, v0
	v_trunc_f32_e32 v1, v1
	v_madmk_f32 v0, v1, 0xcf800000, v0
	v_cvt_u32_f32_e32 v1, v1
	v_cvt_u32_f32_e32 v0, v0
	v_mul_lo_u32 v2, s0, v1
	v_mul_hi_u32 v4, s0, v0
	v_mul_lo_u32 v3, s1, v0
	v_add_u32_e32 v2, v4, v2
	v_mul_lo_u32 v5, s0, v0
	v_add_u32_e32 v2, v2, v3
	v_mul_lo_u32 v4, v0, v2
	v_mul_hi_u32 v6, v0, v5
	v_mul_hi_u32 v3, v0, v2
	v_add_co_u32_e32 v4, vcc, v6, v4
	v_addc_co_u32_e32 v3, vcc, 0, v3, vcc
	v_mul_hi_u32 v7, v1, v5
	v_mul_lo_u32 v5, v1, v5
	v_add_co_u32_e32 v4, vcc, v4, v5
	v_mul_hi_u32 v6, v1, v2
	v_addc_co_u32_e32 v3, vcc, v3, v7, vcc
	v_addc_co_u32_e32 v4, vcc, 0, v6, vcc
	v_mul_lo_u32 v2, v1, v2
	v_add_co_u32_e32 v2, vcc, v3, v2
	v_addc_co_u32_e32 v3, vcc, 0, v4, vcc
	v_add_co_u32_e32 v0, vcc, v0, v2
	v_addc_co_u32_e32 v1, vcc, v1, v3, vcc
	v_mul_lo_u32 v2, s0, v1
	v_mul_hi_u32 v3, s0, v0
	v_add_u32_e32 v2, v3, v2
	v_mul_lo_u32 v3, s1, v0
	v_add_u32_e32 v2, v2, v3
	v_mul_lo_u32 v4, s0, v0
	v_mul_hi_u32 v5, v1, v4
	v_mul_lo_u32 v6, v1, v4
	v_mul_lo_u32 v8, v0, v2
	v_mul_hi_u32 v4, v0, v4
	v_mul_hi_u32 v7, v0, v2
	v_add_co_u32_e32 v4, vcc, v4, v8
	v_addc_co_u32_e32 v7, vcc, 0, v7, vcc
	v_add_co_u32_e32 v4, vcc, v4, v6
	v_mul_hi_u32 v3, v1, v2
	v_addc_co_u32_e32 v4, vcc, v7, v5, vcc
	v_addc_co_u32_e32 v3, vcc, 0, v3, vcc
	v_mul_lo_u32 v2, v1, v2
	v_add_co_u32_e32 v2, vcc, v4, v2
	v_addc_co_u32_e32 v3, vcc, 0, v3, vcc
	v_add_co_u32_e32 v2, vcc, v0, v2
	v_addc_co_u32_e32 v3, vcc, v1, v3, vcc
	v_mad_u64_u32 v[0:1], s[0:1], v10, v3, 0
	v_mul_hi_u32 v4, v10, v2
	v_add_co_u32_e32 v4, vcc, v4, v0
	v_addc_co_u32_e32 v5, vcc, 0, v1, vcc
	v_mad_u64_u32 v[0:1], s[0:1], s11, v3, 0
	v_mad_u64_u32 v[2:3], s[0:1], s11, v2, 0
	v_add_co_u32_e32 v2, vcc, v4, v2
	v_addc_co_u32_e32 v2, vcc, v5, v3, vcc
	v_addc_co_u32_e32 v1, vcc, 0, v1, vcc
	v_add_co_u32_e32 v2, vcc, v2, v0
	v_addc_co_u32_e32 v3, vcc, 0, v1, vcc
	v_mul_lo_u32 v4, s17, v2
	v_mul_lo_u32 v5, s16, v3
	v_mad_u64_u32 v[0:1], s[0:1], s16, v2, 0
	v_add3_u32 v1, v1, v5, v4
	v_sub_u32_e32 v4, s11, v1
	v_mov_b32_e32 v5, s17
	v_sub_co_u32_e32 v0, vcc, v10, v0
	v_subb_co_u32_e64 v4, s[0:1], v4, v5, vcc
	v_subrev_co_u32_e64 v5, s[0:1], s16, v0
	v_subbrev_co_u32_e64 v4, s[0:1], 0, v4, s[0:1]
	v_cmp_le_u32_e64 s[0:1], s17, v4
	v_cndmask_b32_e64 v7, 0, -1, s[0:1]
	v_cmp_le_u32_e64 s[0:1], s16, v5
	v_mov_b32_e32 v6, s11
	v_cndmask_b32_e64 v5, 0, -1, s[0:1]
	v_cmp_eq_u32_e64 s[0:1], s17, v4
	v_cndmask_b32_e64 v4, v7, v5, s[0:1]
	v_add_co_u32_e64 v5, s[0:1], 2, v2
	v_subb_co_u32_e32 v1, vcc, v6, v1, vcc
	v_addc_co_u32_e64 v7, s[0:1], 0, v3, s[0:1]
	v_cmp_le_u32_e32 vcc, s17, v1
	v_add_co_u32_e64 v8, s[0:1], 1, v2
	v_cndmask_b32_e64 v6, 0, -1, vcc
	v_cmp_le_u32_e32 vcc, s16, v0
	v_addc_co_u32_e64 v9, s[0:1], 0, v3, s[0:1]
	v_cndmask_b32_e64 v0, 0, -1, vcc
	v_cmp_eq_u32_e32 vcc, s17, v1
	v_cmp_ne_u32_e64 s[0:1], 0, v4
	v_cndmask_b32_e32 v0, v6, v0, vcc
	v_cmp_ne_u32_e32 vcc, 0, v0
	v_cndmask_b32_e64 v1, v8, v5, s[0:1]
	v_cndmask_b32_e64 v4, v9, v7, s[0:1]
	v_cndmask_b32_e32 v1, v2, v1, vcc
	v_cndmask_b32_e32 v0, v3, v4, vcc
	v_xor_b32_e32 v1, s14, v1
	v_xor_b32_e32 v0, s15, v0
	v_mov_b32_e32 v2, s13
	v_subrev_co_u32_e32 v8, vcc, s14, v1
	v_subb_co_u32_e32 v9, vcc, v0, v2, vcc
	s_andn2_saveexec_b64 s[0:1], s[6:7]
	s_cbranch_execz .LBB10_5
.LBB10_8:
	v_cvt_f32_u32_e32 v0, s12
	s_sub_i32 s2, 0, s12
	v_mov_b32_e32 v9, 0
	v_rcp_iflag_f32_e32 v0, v0
	v_mul_f32_e32 v0, 0x4f7ffffe, v0
	v_cvt_u32_f32_e32 v0, v0
	v_mul_lo_u32 v1, s2, v0
	v_mul_hi_u32 v1, v0, v1
	v_add_u32_e32 v0, v0, v1
	v_mul_hi_u32 v0, v10, v0
	v_mul_lo_u32 v1, v0, s12
	v_sub_u32_e32 v1, v10, v1
	v_add_u32_e32 v2, 1, v0
	v_subrev_u32_e32 v3, s12, v1
	v_cmp_le_u32_e32 vcc, s12, v1
	v_cndmask_b32_e32 v1, v1, v3, vcc
	v_cndmask_b32_e32 v0, v0, v2, vcc
	v_add_u32_e32 v2, 1, v0
	v_cmp_le_u32_e32 vcc, s12, v1
	v_cndmask_b32_e32 v8, v0, v2, vcc
	s_or_b64 exec, exec, s[0:1]
	v_cmp_gt_i64_e32 vcc, s[8:9], v[8:9]
	s_and_saveexec_b64 s[0:1], vcc
	s_cbranch_execz .LBB10_6
.LBB10_9:
	s_load_dwordx2 s[0:1], s[4:5], 0x10
	v_mul_lo_u32 v2, v9, s12
	v_mul_lo_u32 v3, v8, s13
	v_mad_u64_u32 v[0:1], s[6:7], v8, s12, 0
	v_add3_u32 v1, v1, v3, v2
	v_mov_b32_e32 v2, s11
	v_sub_co_u32_e32 v11, vcc, v10, v0
	s_ashr_i32 s2, s3, 31
	v_subb_co_u32_e32 v22, vcc, v2, v1, vcc
	v_mul_lo_u32 v2, v9, s3
	v_mul_lo_u32 v3, v8, s2
	v_mad_u64_u32 v[0:1], s[2:3], v8, s3, 0
	v_add3_u32 v1, v1, v3, v2
	v_lshlrev_b64 v[0:1], 1, v[0:1]
	v_lshlrev_b32_e32 v2, 5, v11
	v_mov_b32_e32 v3, 0
	s_waitcnt lgkmcnt(0)
	v_mov_b32_e32 v4, s1
	v_add_co_u32_e32 v5, vcc, s0, v0
	v_addc_co_u32_e32 v4, vcc, v4, v1, vcc
	v_lshlrev_b64 v[0:1], 1, v[2:3]
	v_add_co_u32_e32 v20, vcc, v5, v0
	v_addc_co_u32_e32 v21, vcc, v4, v1, vcc
	global_load_dwordx4 v[12:15], v[20:21], off
	global_load_dwordx4 v[16:19], v[20:21], off offset:16
	global_load_dwordx4 v[4:7], v[20:21], off offset:32
	;; [unrolled: 1-line block ×3, first 2 shown]
	s_load_dwordx4 s[0:3], s[4:5], 0x0
	s_load_dword s6, s[4:5], 0x30
	v_lshlrev_b32_e32 v26, 5, v10
	v_mul_lo_u32 v20, v11, s9
	v_mad_u64_u32 v[10:11], s[4:5], v11, s8, 0
	v_mul_lo_u32 v21, v22, s8
	v_add3_u32 v11, v11, v20, v21
	v_lshlrev_b64 v[10:11], 2, v[10:11]
	s_waitcnt lgkmcnt(0)
	v_mov_b32_e32 v20, s3
	v_add_co_u32_e32 v10, vcc, s2, v10
	v_lshlrev_b64 v[8:9], 2, v[8:9]
	v_addc_co_u32_e32 v11, vcc, v20, v11, vcc
	v_add_co_u32_e32 v8, vcc, v10, v8
	v_addc_co_u32_e32 v9, vcc, v11, v9, vcc
	s_mov_b32 s7, 0x2edbe6ff
	s_mov_b32 s2, s6
	;; [unrolled: 1-line block ×3, first 2 shown]
	s_and_b32 s1, s1, 0xffff
	s_mov_b32 s3, 0x20000
	s_waitcnt vmcnt(3)
	v_cvt_f32_f16_e64 v11, |v12|
	v_cvt_f32_f16_sdwa v20, |v12| dst_sel:DWORD dst_unused:UNUSED_PAD src0_sel:WORD_1
	v_cvt_f32_f16_e64 v21, |v13|
	v_cvt_f32_f16_sdwa v22, |v13| dst_sel:DWORD dst_unused:UNUSED_PAD src0_sel:WORD_1
	;; [unrolled: 2-line block ×4, first 2 shown]
	s_waitcnt vmcnt(2)
	v_cvt_f32_f16_e64 v28, |v16|
	v_cvt_f32_f16_sdwa v29, |v16| dst_sel:DWORD dst_unused:UNUSED_PAD src0_sel:WORD_1
	v_max3_f32 v11, v11, s7, v20
	v_cvt_f32_f16_e64 v30, |v17|
	v_cvt_f32_f16_sdwa v31, |v17| dst_sel:DWORD dst_unused:UNUSED_PAD src0_sel:WORD_1
	v_max3_f32 v11, v11, v21, v22
	v_cvt_f32_f16_e64 v32, |v18|
	v_cvt_f32_f16_sdwa v33, |v18| dst_sel:DWORD dst_unused:UNUSED_PAD src0_sel:WORD_1
	v_max3_f32 v11, v11, v23, v24
	v_cvt_f32_f16_e64 v34, |v19|
	v_cvt_f32_f16_sdwa v35, |v19| dst_sel:DWORD dst_unused:UNUSED_PAD src0_sel:WORD_1
	v_max3_f32 v11, v11, v25, v27
	s_waitcnt vmcnt(1)
	v_cvt_f32_f16_e64 v36, |v4|
	v_cvt_f32_f16_sdwa v37, |v4| dst_sel:DWORD dst_unused:UNUSED_PAD src0_sel:WORD_1
	v_max3_f32 v11, v11, v28, v29
	v_cvt_f32_f16_e64 v38, |v5|
	v_cvt_f32_f16_sdwa v39, |v5| dst_sel:DWORD dst_unused:UNUSED_PAD src0_sel:WORD_1
	v_max3_f32 v11, v11, v30, v31
	v_cvt_f32_f16_e64 v40, |v6|
	v_cvt_f32_f16_sdwa v41, |v6| dst_sel:DWORD dst_unused:UNUSED_PAD src0_sel:WORD_1
	v_max3_f32 v11, v11, v32, v33
	v_cvt_f32_f16_e64 v42, |v7|
	v_cvt_f32_f16_sdwa v43, |v7| dst_sel:DWORD dst_unused:UNUSED_PAD src0_sel:WORD_1
	v_max3_f32 v11, v11, v34, v35
	s_waitcnt vmcnt(0)
	v_cvt_f32_f16_e64 v44, |v0|
	v_cvt_f32_f16_sdwa v45, |v0| dst_sel:DWORD dst_unused:UNUSED_PAD src0_sel:WORD_1
	v_max3_f32 v11, v11, v36, v37
	v_cvt_f32_f16_e64 v46, |v1|
	v_cvt_f32_f16_sdwa v47, |v1| dst_sel:DWORD dst_unused:UNUSED_PAD src0_sel:WORD_1
	v_max3_f32 v11, v11, v38, v39
	v_cvt_f32_f16_e64 v48, |v2|
	v_cvt_f32_f16_sdwa v49, |v2| dst_sel:DWORD dst_unused:UNUSED_PAD src0_sel:WORD_1
	v_max3_f32 v11, v11, v40, v41
	v_cvt_f32_f16_e64 v50, |v3|
	v_cvt_f32_f16_sdwa v51, |v3| dst_sel:DWORD dst_unused:UNUSED_PAD src0_sel:WORD_1
	v_max3_f32 v11, v11, v42, v43
	v_max3_f32 v11, v11, v44, v45
	v_max3_f32 v11, v11, v46, v47
	;; [unrolled: 1-line block ×4, first 2 shown]
	v_mul_f32_e32 v11, 0x3b124925, v11
	v_div_scale_f32 v20, s[4:5], v11, v11, 1.0
	v_rcp_f32_e32 v21, v20
	global_store_dword v[8:9], v11, off
	v_div_scale_f32 v8, vcc, 1.0, v11, 1.0
	v_fma_f32 v9, -v20, v21, 1.0
	v_fmac_f32_e32 v21, v9, v21
	v_mul_f32_e32 v9, v8, v21
	v_fma_f32 v22, -v20, v9, v8
	v_fmac_f32_e32 v9, v22, v21
	v_fma_f32 v8, -v20, v9, v8
	v_div_fmas_f32 v8, v8, v21, v9
	v_cvt_f32_f16_e32 v10, v12
	v_div_fixup_f32 v20, v8, v11, 1.0
	v_cvt_f32_f16_sdwa v11, v12 dst_sel:DWORD dst_unused:UNUSED_PAD src0_sel:WORD_1
	v_cvt_f32_f16_e32 v8, v13
	v_cvt_f32_f16_sdwa v9, v13 dst_sel:DWORD dst_unused:UNUSED_PAD src0_sel:WORD_1
	v_mov_b32_e32 v21, v20
	;;#ASMSTART
	v_pk_mul_f32 v[10:11], v[10:11], v[20:21]
	;;#ASMEND
	v_mov_b32_e32 v27, 0xc3e00000
	v_mov_b32_e32 v28, 0x43e00000
	;;#ASMSTART
	v_med3_f32 v10, v10, v27, v28
v_med3_f32 v11, v11, v27, v28
v_cvt_pk_fp8_f32 v29, v10, v11
	;;#ASMEND
	;;#ASMSTART
	v_pk_mul_f32 v[8:9], v[8:9], v[20:21]
	;;#ASMEND
	;;#ASMSTART
	v_med3_f32 v8, v8, v27, v28
v_med3_f32 v9, v9, v27, v28
v_cvt_pk_fp8_f32 v10, v8, v9
	;;#ASMEND
	s_mov_b32 s4, 0x5040100
	v_perm_b32 v8, v10, v29, s4
	s_mov_b32 s5, 0x1060504
	v_cvt_f32_f16_e32 v12, v14
	v_cvt_f32_f16_sdwa v13, v14 dst_sel:DWORD dst_unused:UNUSED_PAD src0_sel:WORD_1
	v_perm_b32 v8, v8, v10, s5
	;;#ASMSTART
	v_pk_mul_f32 v[10:11], v[12:13], v[20:21]
	;;#ASMEND
	v_mov_b32_e32 v9, v11
	;;#ASMSTART
	v_med3_f32 v10, v10, v27, v28
v_med3_f32 v9, v9, v27, v28
v_cvt_pk_fp8_f32 v12, v10, v9
	;;#ASMEND
	v_cvt_f32_f16_e32 v14, v15
	v_cvt_f32_f16_sdwa v15, v15 dst_sel:DWORD dst_unused:UNUSED_PAD src0_sel:WORD_1
	;;#ASMSTART
	v_pk_mul_f32 v[10:11], v[14:15], v[20:21]
	;;#ASMEND
	v_mov_b32_e32 v9, v11
	;;#ASMSTART
	v_med3_f32 v10, v10, v27, v28
v_med3_f32 v9, v9, v27, v28
v_cvt_pk_fp8_f32 v11, v10, v9
	;;#ASMEND
	v_cvt_f32_f16_e32 v22, v16
	v_cvt_f32_f16_sdwa v23, v16 dst_sel:DWORD dst_unused:UNUSED_PAD src0_sel:WORD_1
	v_perm_b32 v9, v12, v11, s6
	;;#ASMSTART
	v_pk_mul_f32 v[10:11], v[22:23], v[20:21]
	;;#ASMEND
	;;#ASMSTART
	v_med3_f32 v10, v10, v27, v28
v_med3_f32 v11, v11, v27, v28
v_cvt_pk_fp8_f32 v12, v10, v11
	;;#ASMEND
	v_cvt_f32_f16_e32 v16, v17
	v_cvt_f32_f16_sdwa v17, v17 dst_sel:DWORD dst_unused:UNUSED_PAD src0_sel:WORD_1
	;;#ASMSTART
	v_pk_mul_f32 v[10:11], v[16:17], v[20:21]
	;;#ASMEND
	;;#ASMSTART
	v_med3_f32 v10, v10, v27, v28
v_med3_f32 v11, v11, v27, v28
v_cvt_pk_fp8_f32 v13, v10, v11
	;;#ASMEND
	v_cvt_f32_f16_e32 v24, v18
	v_cvt_f32_f16_sdwa v25, v18 dst_sel:DWORD dst_unused:UNUSED_PAD src0_sel:WORD_1
	v_perm_b32 v10, v12, v13, s6
	;;#ASMSTART
	v_pk_mul_f32 v[12:13], v[24:25], v[20:21]
	;;#ASMEND
	v_mov_b32_e32 v11, v13
	;;#ASMSTART
	v_med3_f32 v12, v12, v27, v28
v_med3_f32 v11, v11, v27, v28
v_cvt_pk_fp8_f32 v14, v12, v11
	;;#ASMEND
	v_cvt_f32_f16_e32 v18, v19
	v_cvt_f32_f16_sdwa v19, v19 dst_sel:DWORD dst_unused:UNUSED_PAD src0_sel:WORD_1
	;;#ASMSTART
	v_pk_mul_f32 v[12:13], v[18:19], v[20:21]
	;;#ASMEND
	v_mov_b32_e32 v11, v13
	;;#ASMSTART
	v_med3_f32 v12, v12, v27, v28
v_med3_f32 v11, v11, v27, v28
v_cvt_pk_fp8_f32 v13, v12, v11
	;;#ASMEND
	v_perm_b32 v11, v14, v13, s6
	buffer_store_dwordx4 v[8:11], v26, s[0:3], 0 offen
	;;#ASMSTART
	s_nop 0
	;;#ASMEND
	v_cvt_f32_f16_e32 v12, v0
	v_cvt_f32_f16_e32 v8, v4
	v_cvt_f32_f16_sdwa v9, v4 dst_sel:DWORD dst_unused:UNUSED_PAD src0_sel:WORD_1
	v_cvt_f32_f16_sdwa v13, v0 dst_sel:DWORD dst_unused:UNUSED_PAD src0_sel:WORD_1
	v_cvt_f32_f16_e32 v14, v1
	v_cvt_f32_f16_sdwa v15, v1 dst_sel:DWORD dst_unused:UNUSED_PAD src0_sel:WORD_1
	;;#ASMSTART
	v_pk_mul_f32 v[0:1], v[8:9], v[20:21]
	;;#ASMEND
	v_cvt_f32_f16_e32 v16, v2
	v_cvt_f32_f16_sdwa v17, v2 dst_sel:DWORD dst_unused:UNUSED_PAD src0_sel:WORD_1
	;;#ASMSTART
	v_med3_f32 v0, v0, v27, v28
v_med3_f32 v1, v1, v27, v28
v_cvt_pk_fp8_f32 v2, v0, v1
	;;#ASMEND
	v_cvt_f32_f16_e32 v4, v5
	v_cvt_f32_f16_sdwa v5, v5 dst_sel:DWORD dst_unused:UNUSED_PAD src0_sel:WORD_1
	;;#ASMSTART
	v_pk_mul_f32 v[0:1], v[4:5], v[20:21]
	;;#ASMEND
	v_cvt_f32_f16_e32 v18, v3
	v_cvt_f32_f16_sdwa v19, v3 dst_sel:DWORD dst_unused:UNUSED_PAD src0_sel:WORD_1
	;;#ASMSTART
	v_med3_f32 v0, v0, v27, v28
v_med3_f32 v1, v1, v27, v28
v_cvt_pk_fp8_f32 v3, v0, v1
	;;#ASMEND
	v_perm_b32 v0, v3, v2, s4
	v_cvt_f32_f16_e32 v10, v6
	v_cvt_f32_f16_sdwa v11, v6 dst_sel:DWORD dst_unused:UNUSED_PAD src0_sel:WORD_1
	v_perm_b32 v0, v0, v3, s5
	;;#ASMSTART
	v_pk_mul_f32 v[2:3], v[10:11], v[20:21]
	;;#ASMEND
	v_mov_b32_e32 v1, v3
	;;#ASMSTART
	v_med3_f32 v2, v2, v27, v28
v_med3_f32 v1, v1, v27, v28
v_cvt_pk_fp8_f32 v4, v2, v1
	;;#ASMEND
	v_cvt_f32_f16_e32 v6, v7
	v_cvt_f32_f16_sdwa v7, v7 dst_sel:DWORD dst_unused:UNUSED_PAD src0_sel:WORD_1
	;;#ASMSTART
	v_pk_mul_f32 v[2:3], v[6:7], v[20:21]
	;;#ASMEND
	v_mov_b32_e32 v1, v3
	;;#ASMSTART
	v_med3_f32 v2, v2, v27, v28
v_med3_f32 v1, v1, v27, v28
v_cvt_pk_fp8_f32 v3, v2, v1
	;;#ASMEND
	v_perm_b32 v1, v4, v3, s6
	;;#ASMSTART
	v_pk_mul_f32 v[2:3], v[12:13], v[20:21]
	;;#ASMEND
	;;#ASMSTART
	v_med3_f32 v2, v2, v27, v28
v_med3_f32 v3, v3, v27, v28
v_cvt_pk_fp8_f32 v4, v2, v3
	;;#ASMEND
	;;#ASMSTART
	v_pk_mul_f32 v[2:3], v[14:15], v[20:21]
	;;#ASMEND
	;;#ASMSTART
	v_med3_f32 v2, v2, v27, v28
v_med3_f32 v3, v3, v27, v28
v_cvt_pk_fp8_f32 v5, v2, v3
	;;#ASMEND
	v_perm_b32 v2, v4, v5, s6
	;;#ASMSTART
	v_pk_mul_f32 v[4:5], v[16:17], v[20:21]
	;;#ASMEND
	v_mov_b32_e32 v3, v5
	;;#ASMSTART
	v_med3_f32 v4, v4, v27, v28
v_med3_f32 v3, v3, v27, v28
v_cvt_pk_fp8_f32 v6, v4, v3
	;;#ASMEND
	;;#ASMSTART
	v_pk_mul_f32 v[4:5], v[18:19], v[20:21]
	;;#ASMEND
	v_mov_b32_e32 v3, v5
	;;#ASMSTART
	v_med3_f32 v4, v4, v27, v28
v_med3_f32 v3, v3, v27, v28
v_cvt_pk_fp8_f32 v5, v4, v3
	;;#ASMEND
	v_perm_b32 v3, v6, v5, s6
	buffer_store_dwordx4 v[0:3], v26, s[0:3], 16 offen
	;;#ASMSTART
	s_nop 0
	;;#ASMEND
	s_endpgm
	.section	.rodata,"a",@progbits
	.p2align	6, 0x0
	.amdhsa_kernel _ZN5aiter37dynamic_per_group_scaled_quant_kernelIDF16_DB8_Li32ELi32ELb1ELi64ELb0EEEvPT0_PfPKT_PKfliilPKii
		.amdhsa_group_segment_fixed_size 0
		.amdhsa_private_segment_fixed_size 0
		.amdhsa_kernarg_size 68
		.amdhsa_user_sgpr_count 6
		.amdhsa_user_sgpr_private_segment_buffer 1
		.amdhsa_user_sgpr_dispatch_ptr 0
		.amdhsa_user_sgpr_queue_ptr 0
		.amdhsa_user_sgpr_kernarg_segment_ptr 1
		.amdhsa_user_sgpr_dispatch_id 0
		.amdhsa_user_sgpr_flat_scratch_init 0
		.amdhsa_user_sgpr_kernarg_preload_length 0
		.amdhsa_user_sgpr_kernarg_preload_offset 0
		.amdhsa_user_sgpr_private_segment_size 0
		.amdhsa_uses_dynamic_stack 0
		.amdhsa_system_sgpr_private_segment_wavefront_offset 0
		.amdhsa_system_sgpr_workgroup_id_x 1
		.amdhsa_system_sgpr_workgroup_id_y 0
		.amdhsa_system_sgpr_workgroup_id_z 0
		.amdhsa_system_sgpr_workgroup_info 0
		.amdhsa_system_vgpr_workitem_id 0
		.amdhsa_next_free_vgpr 52
		.amdhsa_next_free_sgpr 18
		.amdhsa_accum_offset 52
		.amdhsa_reserve_vcc 1
		.amdhsa_reserve_flat_scratch 0
		.amdhsa_float_round_mode_32 0
		.amdhsa_float_round_mode_16_64 0
		.amdhsa_float_denorm_mode_32 3
		.amdhsa_float_denorm_mode_16_64 3
		.amdhsa_dx10_clamp 1
		.amdhsa_ieee_mode 1
		.amdhsa_fp16_overflow 0
		.amdhsa_tg_split 0
		.amdhsa_exception_fp_ieee_invalid_op 0
		.amdhsa_exception_fp_denorm_src 0
		.amdhsa_exception_fp_ieee_div_zero 0
		.amdhsa_exception_fp_ieee_overflow 0
		.amdhsa_exception_fp_ieee_underflow 0
		.amdhsa_exception_fp_ieee_inexact 0
		.amdhsa_exception_int_div_zero 0
	.end_amdhsa_kernel
	.section	.text._ZN5aiter37dynamic_per_group_scaled_quant_kernelIDF16_DB8_Li32ELi32ELb1ELi64ELb0EEEvPT0_PfPKT_PKfliilPKii,"axG",@progbits,_ZN5aiter37dynamic_per_group_scaled_quant_kernelIDF16_DB8_Li32ELi32ELb1ELi64ELb0EEEvPT0_PfPKT_PKfliilPKii,comdat
.Lfunc_end10:
	.size	_ZN5aiter37dynamic_per_group_scaled_quant_kernelIDF16_DB8_Li32ELi32ELb1ELi64ELb0EEEvPT0_PfPKT_PKfliilPKii, .Lfunc_end10-_ZN5aiter37dynamic_per_group_scaled_quant_kernelIDF16_DB8_Li32ELi32ELb1ELi64ELb0EEEvPT0_PfPKT_PKfliilPKii
                                        ; -- End function
	.section	.AMDGPU.csdata,"",@progbits
; Kernel info:
; codeLenInByte = 2616
; NumSgprs: 22
; NumVgprs: 52
; NumAgprs: 0
; TotalNumVgprs: 52
; ScratchSize: 0
; MemoryBound: 0
; FloatMode: 240
; IeeeMode: 1
; LDSByteSize: 0 bytes/workgroup (compile time only)
; SGPRBlocks: 2
; VGPRBlocks: 6
; NumSGPRsForWavesPerEU: 22
; NumVGPRsForWavesPerEU: 52
; AccumOffset: 52
; Occupancy: 8
; WaveLimiterHint : 0
; COMPUTE_PGM_RSRC2:SCRATCH_EN: 0
; COMPUTE_PGM_RSRC2:USER_SGPR: 6
; COMPUTE_PGM_RSRC2:TRAP_HANDLER: 0
; COMPUTE_PGM_RSRC2:TGID_X_EN: 1
; COMPUTE_PGM_RSRC2:TGID_Y_EN: 0
; COMPUTE_PGM_RSRC2:TGID_Z_EN: 0
; COMPUTE_PGM_RSRC2:TIDIG_COMP_CNT: 0
; COMPUTE_PGM_RSRC3_GFX90A:ACCUM_OFFSET: 12
; COMPUTE_PGM_RSRC3_GFX90A:TG_SPLIT: 0
	.section	.text._ZN5aiter37dynamic_per_group_scaled_quant_kernelItDB8_Li32ELi32ELb1ELi64ELb0EEEvPT0_PfPKT_PKfliilPKii,"axG",@progbits,_ZN5aiter37dynamic_per_group_scaled_quant_kernelItDB8_Li32ELi32ELb1ELi64ELb0EEEvPT0_PfPKT_PKfliilPKii,comdat
	.protected	_ZN5aiter37dynamic_per_group_scaled_quant_kernelItDB8_Li32ELi32ELb1ELi64ELb0EEEvPT0_PfPKT_PKfliilPKii ; -- Begin function _ZN5aiter37dynamic_per_group_scaled_quant_kernelItDB8_Li32ELi32ELb1ELi64ELb0EEEvPT0_PfPKT_PKfliilPKii
	.globl	_ZN5aiter37dynamic_per_group_scaled_quant_kernelItDB8_Li32ELi32ELb1ELi64ELb0EEEvPT0_PfPKT_PKfliilPKii
	.p2align	8
	.type	_ZN5aiter37dynamic_per_group_scaled_quant_kernelItDB8_Li32ELi32ELb1ELi64ELb0EEEvPT0_PfPKT_PKfliilPKii,@function
_ZN5aiter37dynamic_per_group_scaled_quant_kernelItDB8_Li32ELi32ELb1ELi64ELb0EEEvPT0_PfPKT_PKfliilPKii: ; @_ZN5aiter37dynamic_per_group_scaled_quant_kernelItDB8_Li32ELi32ELb1ELi64ELb0EEEvPT0_PfPKT_PKfliilPKii
; %bb.0:
	s_load_dwordx2 s[0:1], s[4:5], 0x38
	s_waitcnt lgkmcnt(0)
	s_cmp_eq_u64 s[0:1], 0
	s_cbranch_scc1 .LBB11_2
; %bb.1:
	s_load_dword s2, s[4:5], 0x40
	s_load_dword s3, s[0:1], 0x0
	s_waitcnt lgkmcnt(0)
	s_mul_hi_i32 s9, s3, s2
	s_mul_i32 s8, s3, s2
	s_branch .LBB11_3
.LBB11_2:
	s_load_dwordx2 s[8:9], s[4:5], 0x20
.LBB11_3:
	s_load_dwordx2 s[2:3], s[4:5], 0x28
	s_mov_b32 s7, 0
	s_lshl_b64 s[10:11], s[6:7], 6
	v_or_b32_e32 v2, s10, v0
                                        ; implicit-def: $vgpr0_vgpr1
	s_waitcnt lgkmcnt(0)
	s_ashr_i32 s0, s2, 31
	s_lshr_b32 s0, s0, 27
	s_add_i32 s0, s2, s0
	s_ashr_i32 s12, s0, 5
	s_ashr_i32 s13, s12, 31
	s_or_b64 s[0:1], s[10:11], s[12:13]
	s_mov_b32 s0, s7
	s_cmp_lg_u64 s[0:1], 0
	s_cselect_b64 s[0:1], -1, 0
	s_and_saveexec_b64 s[6:7], s[0:1]
	s_xor_b64 s[6:7], exec, s[6:7]
	s_cbranch_execnz .LBB11_7
; %bb.4:
	s_andn2_saveexec_b64 s[0:1], s[6:7]
	s_cbranch_execnz .LBB11_8
.LBB11_5:
	s_or_b64 exec, exec, s[0:1]
	v_cmp_gt_i64_e32 vcc, s[8:9], v[0:1]
	s_and_saveexec_b64 s[0:1], vcc
	s_cbranch_execnz .LBB11_9
.LBB11_6:
	s_endpgm
.LBB11_7:
	s_add_u32 s0, s12, s13
	s_mov_b32 s14, s13
	s_mov_b32 s15, s13
	s_addc_u32 s1, s13, s13
	s_xor_b64 s[16:17], s[0:1], s[14:15]
	v_cvt_f32_u32_e32 v0, s16
	v_cvt_f32_u32_e32 v1, s17
	s_sub_u32 s0, 0, s16
	s_subb_u32 s1, 0, s17
	v_madmk_f32 v0, v1, 0x4f800000, v0
	v_rcp_f32_e32 v0, v0
	v_mul_f32_e32 v0, 0x5f7ffffc, v0
	v_mul_f32_e32 v1, 0x2f800000, v0
	v_trunc_f32_e32 v1, v1
	v_madmk_f32 v0, v1, 0xcf800000, v0
	v_cvt_u32_f32_e32 v1, v1
	v_cvt_u32_f32_e32 v0, v0
	v_mul_lo_u32 v3, s0, v1
	v_mul_hi_u32 v5, s0, v0
	v_mul_lo_u32 v4, s1, v0
	v_add_u32_e32 v3, v5, v3
	v_mul_lo_u32 v6, s0, v0
	v_add_u32_e32 v3, v3, v4
	v_mul_lo_u32 v5, v0, v3
	v_mul_hi_u32 v7, v0, v6
	v_mul_hi_u32 v4, v0, v3
	v_add_co_u32_e32 v5, vcc, v7, v5
	v_addc_co_u32_e32 v4, vcc, 0, v4, vcc
	v_mul_hi_u32 v8, v1, v6
	v_mul_lo_u32 v6, v1, v6
	v_add_co_u32_e32 v5, vcc, v5, v6
	v_mul_hi_u32 v7, v1, v3
	v_addc_co_u32_e32 v4, vcc, v4, v8, vcc
	v_addc_co_u32_e32 v5, vcc, 0, v7, vcc
	v_mul_lo_u32 v3, v1, v3
	v_add_co_u32_e32 v3, vcc, v4, v3
	v_addc_co_u32_e32 v4, vcc, 0, v5, vcc
	v_add_co_u32_e32 v0, vcc, v0, v3
	v_addc_co_u32_e32 v1, vcc, v1, v4, vcc
	v_mul_lo_u32 v3, s0, v1
	v_mul_hi_u32 v4, s0, v0
	v_add_u32_e32 v3, v4, v3
	v_mul_lo_u32 v4, s1, v0
	v_add_u32_e32 v3, v3, v4
	v_mul_lo_u32 v5, s0, v0
	v_mul_hi_u32 v6, v1, v5
	v_mul_lo_u32 v7, v1, v5
	v_mul_lo_u32 v9, v0, v3
	v_mul_hi_u32 v5, v0, v5
	v_mul_hi_u32 v8, v0, v3
	v_add_co_u32_e32 v5, vcc, v5, v9
	v_addc_co_u32_e32 v8, vcc, 0, v8, vcc
	v_add_co_u32_e32 v5, vcc, v5, v7
	v_mul_hi_u32 v4, v1, v3
	v_addc_co_u32_e32 v5, vcc, v8, v6, vcc
	v_addc_co_u32_e32 v4, vcc, 0, v4, vcc
	v_mul_lo_u32 v3, v1, v3
	v_add_co_u32_e32 v3, vcc, v5, v3
	v_addc_co_u32_e32 v4, vcc, 0, v4, vcc
	v_add_co_u32_e32 v3, vcc, v0, v3
	v_addc_co_u32_e32 v4, vcc, v1, v4, vcc
	v_mad_u64_u32 v[0:1], s[0:1], v2, v4, 0
	v_mul_hi_u32 v5, v2, v3
	v_add_co_u32_e32 v6, vcc, v5, v0
	v_addc_co_u32_e32 v7, vcc, 0, v1, vcc
	v_mad_u64_u32 v[0:1], s[0:1], s11, v4, 0
	v_mad_u64_u32 v[4:5], s[0:1], s11, v3, 0
	v_add_co_u32_e32 v3, vcc, v6, v4
	v_addc_co_u32_e32 v3, vcc, v7, v5, vcc
	v_addc_co_u32_e32 v1, vcc, 0, v1, vcc
	v_add_co_u32_e32 v3, vcc, v3, v0
	v_addc_co_u32_e32 v4, vcc, 0, v1, vcc
	v_mul_lo_u32 v5, s17, v3
	v_mul_lo_u32 v6, s16, v4
	v_mad_u64_u32 v[0:1], s[0:1], s16, v3, 0
	v_add3_u32 v1, v1, v6, v5
	v_sub_u32_e32 v5, s11, v1
	v_mov_b32_e32 v6, s17
	v_sub_co_u32_e32 v0, vcc, v2, v0
	v_subb_co_u32_e64 v5, s[0:1], v5, v6, vcc
	v_subrev_co_u32_e64 v6, s[0:1], s16, v0
	v_subbrev_co_u32_e64 v5, s[0:1], 0, v5, s[0:1]
	v_cmp_le_u32_e64 s[0:1], s17, v5
	v_cndmask_b32_e64 v7, 0, -1, s[0:1]
	v_cmp_le_u32_e64 s[0:1], s16, v6
	v_cndmask_b32_e64 v6, 0, -1, s[0:1]
	v_cmp_eq_u32_e64 s[0:1], s17, v5
	v_cndmask_b32_e64 v5, v7, v6, s[0:1]
	v_add_co_u32_e64 v6, s[0:1], 2, v3
	v_addc_co_u32_e64 v7, s[0:1], 0, v4, s[0:1]
	v_mov_b32_e32 v8, s11
	v_add_co_u32_e64 v9, s[0:1], 1, v3
	v_addc_co_u32_e64 v10, s[0:1], 0, v4, s[0:1]
	v_subb_co_u32_e32 v1, vcc, v8, v1, vcc
	v_cmp_ne_u32_e64 s[0:1], 0, v5
	v_cmp_le_u32_e32 vcc, s17, v1
	v_cndmask_b32_e64 v5, v10, v7, s[0:1]
	v_cndmask_b32_e64 v7, 0, -1, vcc
	v_cmp_le_u32_e32 vcc, s16, v0
	v_cndmask_b32_e64 v0, 0, -1, vcc
	v_cmp_eq_u32_e32 vcc, s17, v1
	v_cndmask_b32_e32 v0, v7, v0, vcc
	v_cmp_ne_u32_e32 vcc, 0, v0
	v_cndmask_b32_e64 v1, v9, v6, s[0:1]
	v_cndmask_b32_e32 v0, v4, v5, vcc
	v_cndmask_b32_e32 v1, v3, v1, vcc
	v_xor_b32_e32 v3, s15, v0
	v_xor_b32_e32 v0, s14, v1
	v_mov_b32_e32 v1, s13
	v_subrev_co_u32_e32 v0, vcc, s14, v0
	v_subb_co_u32_e32 v1, vcc, v3, v1, vcc
	s_andn2_saveexec_b64 s[0:1], s[6:7]
	s_cbranch_execz .LBB11_5
.LBB11_8:
	v_cvt_f32_u32_e32 v0, s12
	s_sub_i32 s2, 0, s12
	v_rcp_iflag_f32_e32 v0, v0
	v_mul_f32_e32 v0, 0x4f7ffffe, v0
	v_cvt_u32_f32_e32 v0, v0
	v_mul_lo_u32 v1, s2, v0
	v_mul_hi_u32 v1, v0, v1
	v_add_u32_e32 v0, v0, v1
	v_mul_hi_u32 v0, v2, v0
	v_mul_lo_u32 v1, v0, s12
	v_sub_u32_e32 v1, v2, v1
	v_add_u32_e32 v3, 1, v0
	v_subrev_u32_e32 v4, s12, v1
	v_cmp_le_u32_e32 vcc, s12, v1
	v_cndmask_b32_e32 v1, v1, v4, vcc
	v_cndmask_b32_e32 v0, v0, v3, vcc
	v_add_u32_e32 v3, 1, v0
	v_cmp_le_u32_e32 vcc, s12, v1
	v_cndmask_b32_e32 v0, v0, v3, vcc
	v_mov_b32_e32 v1, 0
	s_or_b64 exec, exec, s[0:1]
	v_cmp_gt_i64_e32 vcc, s[8:9], v[0:1]
	s_and_saveexec_b64 s[0:1], vcc
	s_cbranch_execz .LBB11_6
.LBB11_9:
	s_load_dwordx2 s[0:1], s[4:5], 0x10
	v_mul_lo_u32 v3, v1, s12
	v_mul_lo_u32 v6, v0, s13
	v_mad_u64_u32 v[4:5], s[6:7], v0, s12, 0
	v_add3_u32 v3, v5, v6, v3
	v_mov_b32_e32 v5, s11
	v_sub_co_u32_e32 v22, vcc, v2, v4
	s_ashr_i32 s2, s3, 31
	v_subb_co_u32_e32 v23, vcc, v5, v3, vcc
	v_mul_lo_u32 v3, v1, s3
	v_mul_lo_u32 v6, v0, s2
	v_mad_u64_u32 v[4:5], s[2:3], v0, s3, 0
	v_add3_u32 v5, v5, v6, v3
	v_lshlrev_b64 v[4:5], 1, v[4:5]
	v_lshlrev_b32_e32 v6, 5, v22
	v_mov_b32_e32 v7, 0
	s_waitcnt lgkmcnt(0)
	v_mov_b32_e32 v3, s1
	v_add_co_u32_e32 v8, vcc, s0, v4
	v_addc_co_u32_e32 v3, vcc, v3, v5, vcc
	v_lshlrev_b64 v[4:5], 1, v[6:7]
	v_add_co_u32_e32 v20, vcc, v8, v4
	v_addc_co_u32_e32 v21, vcc, v3, v5, vcc
	global_load_dwordx4 v[4:7], v[20:21], off
	global_load_dwordx4 v[8:11], v[20:21], off offset:16
	global_load_dwordx4 v[12:15], v[20:21], off offset:32
	;; [unrolled: 1-line block ×3, first 2 shown]
	s_load_dwordx4 s[0:3], s[4:5], 0x0
	s_load_dword s6, s[4:5], 0x30
	v_lshlrev_b32_e32 v36, 5, v2
	v_mul_lo_u32 v20, v22, s9
	v_mad_u64_u32 v[2:3], s[4:5], v22, s8, 0
	v_mul_lo_u32 v21, v23, s8
	v_add3_u32 v3, v3, v20, v21
	v_lshlrev_b64 v[2:3], 2, v[2:3]
	s_waitcnt lgkmcnt(0)
	v_mov_b32_e32 v20, s3
	v_add_co_u32_e32 v2, vcc, s2, v2
	v_lshlrev_b64 v[0:1], 2, v[0:1]
	v_addc_co_u32_e32 v3, vcc, v20, v3, vcc
	v_add_co_u32_e32 v0, vcc, v2, v0
	v_addc_co_u32_e32 v1, vcc, v3, v1, vcc
	s_mov_b32 s7, 0x2edbe6ff
	v_mov_b32_e32 v37, 0xc3e00000
	s_mov_b32 s2, s6
	s_mov_b32 s6, 0x1000504
	s_and_b32 s1, s1, 0xffff
	s_mov_b32 s3, 0x20000
	s_waitcnt vmcnt(3)
	v_cvt_f32_u32_sdwa v3, v4 dst_sel:DWORD dst_unused:UNUSED_PAD src0_sel:WORD_1
	v_cvt_f32_u32_sdwa v2, v4 dst_sel:DWORD dst_unused:UNUSED_PAD src0_sel:WORD_0
	v_cvt_f32_u32_sdwa v21, v5 dst_sel:DWORD dst_unused:UNUSED_PAD src0_sel:WORD_1
	v_cvt_f32_u32_sdwa v20, v5 dst_sel:DWORD dst_unused:UNUSED_PAD src0_sel:WORD_0
	v_cvt_f32_u32_sdwa v5, v6 dst_sel:DWORD dst_unused:UNUSED_PAD src0_sel:WORD_1
	v_cvt_f32_u32_sdwa v4, v6 dst_sel:DWORD dst_unused:UNUSED_PAD src0_sel:WORD_0
	v_cvt_f32_u32_sdwa v23, v7 dst_sel:DWORD dst_unused:UNUSED_PAD src0_sel:WORD_1
	v_cvt_f32_u32_sdwa v22, v7 dst_sel:DWORD dst_unused:UNUSED_PAD src0_sel:WORD_0
	s_waitcnt vmcnt(2)
	v_cvt_f32_u32_sdwa v7, v8 dst_sel:DWORD dst_unused:UNUSED_PAD src0_sel:WORD_1
	v_cvt_f32_u32_sdwa v6, v8 dst_sel:DWORD dst_unused:UNUSED_PAD src0_sel:WORD_0
	v_cvt_f32_u32_sdwa v25, v9 dst_sel:DWORD dst_unused:UNUSED_PAD src0_sel:WORD_1
	v_cvt_f32_u32_sdwa v24, v9 dst_sel:DWORD dst_unused:UNUSED_PAD src0_sel:WORD_0
	v_cvt_f32_u32_sdwa v9, v10 dst_sel:DWORD dst_unused:UNUSED_PAD src0_sel:WORD_1
	v_cvt_f32_u32_sdwa v8, v10 dst_sel:DWORD dst_unused:UNUSED_PAD src0_sel:WORD_0
	v_cvt_f32_u32_sdwa v27, v11 dst_sel:DWORD dst_unused:UNUSED_PAD src0_sel:WORD_1
	v_cvt_f32_u32_sdwa v26, v11 dst_sel:DWORD dst_unused:UNUSED_PAD src0_sel:WORD_0
	;; [unrolled: 9-line block ×3, first 2 shown]
	s_waitcnt vmcnt(0)
	v_cvt_f32_u32_sdwa v15, v16 dst_sel:DWORD dst_unused:UNUSED_PAD src0_sel:WORD_1
	v_cvt_f32_u32_sdwa v14, v16 dst_sel:DWORD dst_unused:UNUSED_PAD src0_sel:WORD_0
	v_cvt_f32_u32_sdwa v33, v17 dst_sel:DWORD dst_unused:UNUSED_PAD src0_sel:WORD_1
	v_cvt_f32_u32_sdwa v32, v17 dst_sel:DWORD dst_unused:UNUSED_PAD src0_sel:WORD_0
	;; [unrolled: 2-line block ×3, first 2 shown]
	v_max3_f32 v18, v2, s7, v3
	v_max3_f32 v18, v18, v20, v21
	;; [unrolled: 1-line block ×11, first 2 shown]
	v_cvt_f32_u32_sdwa v35, v19 dst_sel:DWORD dst_unused:UNUSED_PAD src0_sel:WORD_1
	v_cvt_f32_u32_sdwa v34, v19 dst_sel:DWORD dst_unused:UNUSED_PAD src0_sel:WORD_0
	v_max3_f32 v18, v18, v30, v31
	v_max3_f32 v18, v18, v14, v15
	;; [unrolled: 1-line block ×5, first 2 shown]
	v_mul_f32_e32 v18, 0x3b124925, v18
	v_div_scale_f32 v19, s[4:5], v18, v18, 1.0
	v_rcp_f32_e32 v38, v19
	global_store_dword v[0:1], v18, off
	v_div_scale_f32 v0, vcc, 1.0, v18, 1.0
	v_fma_f32 v1, -v19, v38, 1.0
	v_fmac_f32_e32 v38, v1, v38
	v_mul_f32_e32 v1, v0, v38
	v_fma_f32 v39, -v19, v1, v0
	v_fmac_f32_e32 v1, v39, v38
	v_fma_f32 v0, -v19, v1, v0
	v_div_fmas_f32 v0, v0, v38, v1
	v_div_fixup_f32 v18, v0, v18, 1.0
	v_mov_b32_e32 v19, v18
	;;#ASMSTART
	v_pk_mul_f32 v[0:1], v[2:3], v[18:19]
	;;#ASMEND
	v_mov_b32_e32 v38, 0x43e00000
	;;#ASMSTART
	v_med3_f32 v0, v0, v37, v38
v_med3_f32 v1, v1, v37, v38
v_cvt_pk_fp8_f32 v2, v0, v1
	;;#ASMEND
	;;#ASMSTART
	v_pk_mul_f32 v[0:1], v[20:21], v[18:19]
	;;#ASMEND
	;;#ASMSTART
	v_med3_f32 v0, v0, v37, v38
v_med3_f32 v1, v1, v37, v38
v_cvt_pk_fp8_f32 v3, v0, v1
	;;#ASMEND
	s_mov_b32 s4, 0x5040100
	v_perm_b32 v0, v3, v2, s4
	s_mov_b32 s5, 0x1060504
	v_perm_b32 v0, v0, v3, s5
	;;#ASMSTART
	v_pk_mul_f32 v[2:3], v[4:5], v[18:19]
	;;#ASMEND
	v_mov_b32_e32 v1, v3
	;;#ASMSTART
	v_med3_f32 v2, v2, v37, v38
v_med3_f32 v1, v1, v37, v38
v_cvt_pk_fp8_f32 v4, v2, v1
	;;#ASMEND
	;;#ASMSTART
	v_pk_mul_f32 v[2:3], v[22:23], v[18:19]
	;;#ASMEND
	v_mov_b32_e32 v1, v3
	;;#ASMSTART
	v_med3_f32 v2, v2, v37, v38
v_med3_f32 v1, v1, v37, v38
v_cvt_pk_fp8_f32 v3, v2, v1
	;;#ASMEND
	v_perm_b32 v1, v4, v3, s6
	;;#ASMSTART
	v_pk_mul_f32 v[2:3], v[6:7], v[18:19]
	;;#ASMEND
	;;#ASMSTART
	v_med3_f32 v2, v2, v37, v38
v_med3_f32 v3, v3, v37, v38
v_cvt_pk_fp8_f32 v4, v2, v3
	;;#ASMEND
	;;#ASMSTART
	v_pk_mul_f32 v[2:3], v[24:25], v[18:19]
	;;#ASMEND
	;;#ASMSTART
	v_med3_f32 v2, v2, v37, v38
v_med3_f32 v3, v3, v37, v38
v_cvt_pk_fp8_f32 v5, v2, v3
	;;#ASMEND
	v_perm_b32 v2, v4, v5, s6
	;;#ASMSTART
	v_pk_mul_f32 v[4:5], v[8:9], v[18:19]
	;;#ASMEND
	v_mov_b32_e32 v3, v5
	;;#ASMSTART
	v_med3_f32 v4, v4, v37, v38
v_med3_f32 v3, v3, v37, v38
v_cvt_pk_fp8_f32 v6, v4, v3
	;;#ASMEND
	;;#ASMSTART
	v_pk_mul_f32 v[4:5], v[26:27], v[18:19]
	;;#ASMEND
	v_mov_b32_e32 v3, v5
	;;#ASMSTART
	v_med3_f32 v4, v4, v37, v38
v_med3_f32 v3, v3, v37, v38
v_cvt_pk_fp8_f32 v5, v4, v3
	;;#ASMEND
	v_perm_b32 v3, v6, v5, s6
	buffer_store_dwordx4 v[0:3], v36, s[0:3], 0 offen
	;;#ASMSTART
	s_nop 0
	;;#ASMEND
	s_nop 0
	;;#ASMSTART
	v_pk_mul_f32 v[0:1], v[10:11], v[18:19]
	;;#ASMEND
	;;#ASMSTART
	v_med3_f32 v0, v0, v37, v38
v_med3_f32 v1, v1, v37, v38
v_cvt_pk_fp8_f32 v2, v0, v1
	;;#ASMEND
	;;#ASMSTART
	v_pk_mul_f32 v[0:1], v[28:29], v[18:19]
	;;#ASMEND
	;;#ASMSTART
	v_med3_f32 v0, v0, v37, v38
v_med3_f32 v1, v1, v37, v38
v_cvt_pk_fp8_f32 v3, v0, v1
	;;#ASMEND
	v_perm_b32 v0, v3, v2, s4
	v_perm_b32 v0, v0, v3, s5
	;;#ASMSTART
	v_pk_mul_f32 v[2:3], v[12:13], v[18:19]
	;;#ASMEND
	v_mov_b32_e32 v1, v3
	;;#ASMSTART
	v_med3_f32 v2, v2, v37, v38
v_med3_f32 v1, v1, v37, v38
v_cvt_pk_fp8_f32 v4, v2, v1
	;;#ASMEND
	;;#ASMSTART
	v_pk_mul_f32 v[2:3], v[30:31], v[18:19]
	;;#ASMEND
	v_mov_b32_e32 v1, v3
	;;#ASMSTART
	v_med3_f32 v2, v2, v37, v38
v_med3_f32 v1, v1, v37, v38
v_cvt_pk_fp8_f32 v3, v2, v1
	;;#ASMEND
	v_perm_b32 v1, v4, v3, s6
	;;#ASMSTART
	v_pk_mul_f32 v[2:3], v[14:15], v[18:19]
	;;#ASMEND
	;;#ASMSTART
	v_med3_f32 v2, v2, v37, v38
v_med3_f32 v3, v3, v37, v38
v_cvt_pk_fp8_f32 v4, v2, v3
	;;#ASMEND
	;;#ASMSTART
	v_pk_mul_f32 v[2:3], v[32:33], v[18:19]
	;;#ASMEND
	;;#ASMSTART
	v_med3_f32 v2, v2, v37, v38
v_med3_f32 v3, v3, v37, v38
v_cvt_pk_fp8_f32 v5, v2, v3
	;;#ASMEND
	v_perm_b32 v2, v4, v5, s6
	;;#ASMSTART
	v_pk_mul_f32 v[4:5], v[16:17], v[18:19]
	;;#ASMEND
	v_mov_b32_e32 v3, v5
	;;#ASMSTART
	v_med3_f32 v4, v4, v37, v38
v_med3_f32 v3, v3, v37, v38
v_cvt_pk_fp8_f32 v6, v4, v3
	;;#ASMEND
	;;#ASMSTART
	v_pk_mul_f32 v[4:5], v[34:35], v[18:19]
	;;#ASMEND
	v_mov_b32_e32 v3, v5
	;;#ASMSTART
	v_med3_f32 v4, v4, v37, v38
v_med3_f32 v3, v3, v37, v38
v_cvt_pk_fp8_f32 v5, v4, v3
	;;#ASMEND
	v_perm_b32 v3, v6, v5, s6
	buffer_store_dwordx4 v[0:3], v36, s[0:3], 16 offen
	;;#ASMSTART
	s_nop 0
	;;#ASMEND
	s_endpgm
	.section	.rodata,"a",@progbits
	.p2align	6, 0x0
	.amdhsa_kernel _ZN5aiter37dynamic_per_group_scaled_quant_kernelItDB8_Li32ELi32ELb1ELi64ELb0EEEvPT0_PfPKT_PKfliilPKii
		.amdhsa_group_segment_fixed_size 0
		.amdhsa_private_segment_fixed_size 0
		.amdhsa_kernarg_size 68
		.amdhsa_user_sgpr_count 6
		.amdhsa_user_sgpr_private_segment_buffer 1
		.amdhsa_user_sgpr_dispatch_ptr 0
		.amdhsa_user_sgpr_queue_ptr 0
		.amdhsa_user_sgpr_kernarg_segment_ptr 1
		.amdhsa_user_sgpr_dispatch_id 0
		.amdhsa_user_sgpr_flat_scratch_init 0
		.amdhsa_user_sgpr_kernarg_preload_length 0
		.amdhsa_user_sgpr_kernarg_preload_offset 0
		.amdhsa_user_sgpr_private_segment_size 0
		.amdhsa_uses_dynamic_stack 0
		.amdhsa_system_sgpr_private_segment_wavefront_offset 0
		.amdhsa_system_sgpr_workgroup_id_x 1
		.amdhsa_system_sgpr_workgroup_id_y 0
		.amdhsa_system_sgpr_workgroup_id_z 0
		.amdhsa_system_sgpr_workgroup_info 0
		.amdhsa_system_vgpr_workitem_id 0
		.amdhsa_next_free_vgpr 40
		.amdhsa_next_free_sgpr 18
		.amdhsa_accum_offset 40
		.amdhsa_reserve_vcc 1
		.amdhsa_reserve_flat_scratch 0
		.amdhsa_float_round_mode_32 0
		.amdhsa_float_round_mode_16_64 0
		.amdhsa_float_denorm_mode_32 3
		.amdhsa_float_denorm_mode_16_64 3
		.amdhsa_dx10_clamp 1
		.amdhsa_ieee_mode 1
		.amdhsa_fp16_overflow 0
		.amdhsa_tg_split 0
		.amdhsa_exception_fp_ieee_invalid_op 0
		.amdhsa_exception_fp_denorm_src 0
		.amdhsa_exception_fp_ieee_div_zero 0
		.amdhsa_exception_fp_ieee_overflow 0
		.amdhsa_exception_fp_ieee_underflow 0
		.amdhsa_exception_fp_ieee_inexact 0
		.amdhsa_exception_int_div_zero 0
	.end_amdhsa_kernel
	.section	.text._ZN5aiter37dynamic_per_group_scaled_quant_kernelItDB8_Li32ELi32ELb1ELi64ELb0EEEvPT0_PfPKT_PKfliilPKii,"axG",@progbits,_ZN5aiter37dynamic_per_group_scaled_quant_kernelItDB8_Li32ELi32ELb1ELi64ELb0EEEvPT0_PfPKT_PKfliilPKii,comdat
.Lfunc_end11:
	.size	_ZN5aiter37dynamic_per_group_scaled_quant_kernelItDB8_Li32ELi32ELb1ELi64ELb0EEEvPT0_PfPKT_PKfliilPKii, .Lfunc_end11-_ZN5aiter37dynamic_per_group_scaled_quant_kernelItDB8_Li32ELi32ELb1ELi64ELb0EEEvPT0_PfPKT_PKfliilPKii
                                        ; -- End function
	.section	.AMDGPU.csdata,"",@progbits
; Kernel info:
; codeLenInByte = 2428
; NumSgprs: 22
; NumVgprs: 40
; NumAgprs: 0
; TotalNumVgprs: 40
; ScratchSize: 0
; MemoryBound: 0
; FloatMode: 240
; IeeeMode: 1
; LDSByteSize: 0 bytes/workgroup (compile time only)
; SGPRBlocks: 2
; VGPRBlocks: 4
; NumSGPRsForWavesPerEU: 22
; NumVGPRsForWavesPerEU: 40
; AccumOffset: 40
; Occupancy: 8
; WaveLimiterHint : 0
; COMPUTE_PGM_RSRC2:SCRATCH_EN: 0
; COMPUTE_PGM_RSRC2:USER_SGPR: 6
; COMPUTE_PGM_RSRC2:TRAP_HANDLER: 0
; COMPUTE_PGM_RSRC2:TGID_X_EN: 1
; COMPUTE_PGM_RSRC2:TGID_Y_EN: 0
; COMPUTE_PGM_RSRC2:TGID_Z_EN: 0
; COMPUTE_PGM_RSRC2:TIDIG_COMP_CNT: 0
; COMPUTE_PGM_RSRC3_GFX90A:ACCUM_OFFSET: 9
; COMPUTE_PGM_RSRC3_GFX90A:TG_SPLIT: 0
	.section	.text._ZN5aiter37dynamic_per_group_scaled_quant_kernelIDF16_aLi32ELi32ELb1ELi64ELb0EEEvPT0_PfPKT_PKfliilPKii,"axG",@progbits,_ZN5aiter37dynamic_per_group_scaled_quant_kernelIDF16_aLi32ELi32ELb1ELi64ELb0EEEvPT0_PfPKT_PKfliilPKii,comdat
	.protected	_ZN5aiter37dynamic_per_group_scaled_quant_kernelIDF16_aLi32ELi32ELb1ELi64ELb0EEEvPT0_PfPKT_PKfliilPKii ; -- Begin function _ZN5aiter37dynamic_per_group_scaled_quant_kernelIDF16_aLi32ELi32ELb1ELi64ELb0EEEvPT0_PfPKT_PKfliilPKii
	.globl	_ZN5aiter37dynamic_per_group_scaled_quant_kernelIDF16_aLi32ELi32ELb1ELi64ELb0EEEvPT0_PfPKT_PKfliilPKii
	.p2align	8
	.type	_ZN5aiter37dynamic_per_group_scaled_quant_kernelIDF16_aLi32ELi32ELb1ELi64ELb0EEEvPT0_PfPKT_PKfliilPKii,@function
_ZN5aiter37dynamic_per_group_scaled_quant_kernelIDF16_aLi32ELi32ELb1ELi64ELb0EEEvPT0_PfPKT_PKfliilPKii: ; @_ZN5aiter37dynamic_per_group_scaled_quant_kernelIDF16_aLi32ELi32ELb1ELi64ELb0EEEvPT0_PfPKT_PKfliilPKii
; %bb.0:
	s_load_dwordx2 s[0:1], s[4:5], 0x38
	s_waitcnt lgkmcnt(0)
	s_cmp_eq_u64 s[0:1], 0
	s_cbranch_scc1 .LBB12_2
; %bb.1:
	s_load_dword s2, s[4:5], 0x40
	s_load_dword s3, s[0:1], 0x0
	s_waitcnt lgkmcnt(0)
	s_mul_hi_i32 s9, s3, s2
	s_mul_i32 s8, s3, s2
	s_branch .LBB12_3
.LBB12_2:
	s_load_dwordx2 s[8:9], s[4:5], 0x20
.LBB12_3:
	s_load_dwordx2 s[2:3], s[4:5], 0x28
	s_mov_b32 s7, 0
	s_lshl_b64 s[10:11], s[6:7], 6
	v_or_b32_e32 v2, s10, v0
                                        ; implicit-def: $vgpr0_vgpr1
	s_waitcnt lgkmcnt(0)
	s_ashr_i32 s0, s2, 31
	s_lshr_b32 s0, s0, 27
	s_add_i32 s0, s2, s0
	s_ashr_i32 s12, s0, 5
	s_ashr_i32 s13, s12, 31
	s_or_b64 s[0:1], s[10:11], s[12:13]
	s_mov_b32 s0, s7
	s_cmp_lg_u64 s[0:1], 0
	s_cselect_b64 s[0:1], -1, 0
	s_and_saveexec_b64 s[6:7], s[0:1]
	s_xor_b64 s[6:7], exec, s[6:7]
	s_cbranch_execnz .LBB12_7
; %bb.4:
	s_andn2_saveexec_b64 s[0:1], s[6:7]
	s_cbranch_execnz .LBB12_8
.LBB12_5:
	s_or_b64 exec, exec, s[0:1]
	v_cmp_gt_i64_e32 vcc, s[8:9], v[0:1]
	s_and_saveexec_b64 s[0:1], vcc
	s_cbranch_execnz .LBB12_9
.LBB12_6:
	s_endpgm
.LBB12_7:
	s_add_u32 s0, s12, s13
	s_mov_b32 s14, s13
	s_mov_b32 s15, s13
	s_addc_u32 s1, s13, s13
	s_xor_b64 s[16:17], s[0:1], s[14:15]
	v_cvt_f32_u32_e32 v0, s16
	v_cvt_f32_u32_e32 v1, s17
	s_sub_u32 s0, 0, s16
	s_subb_u32 s1, 0, s17
	v_madmk_f32 v0, v1, 0x4f800000, v0
	v_rcp_f32_e32 v0, v0
	v_mul_f32_e32 v0, 0x5f7ffffc, v0
	v_mul_f32_e32 v1, 0x2f800000, v0
	v_trunc_f32_e32 v1, v1
	v_madmk_f32 v0, v1, 0xcf800000, v0
	v_cvt_u32_f32_e32 v1, v1
	v_cvt_u32_f32_e32 v0, v0
	v_mul_lo_u32 v3, s0, v1
	v_mul_hi_u32 v5, s0, v0
	v_mul_lo_u32 v4, s1, v0
	v_add_u32_e32 v3, v5, v3
	v_mul_lo_u32 v6, s0, v0
	v_add_u32_e32 v3, v3, v4
	v_mul_lo_u32 v5, v0, v3
	v_mul_hi_u32 v7, v0, v6
	v_mul_hi_u32 v4, v0, v3
	v_add_co_u32_e32 v5, vcc, v7, v5
	v_addc_co_u32_e32 v4, vcc, 0, v4, vcc
	v_mul_hi_u32 v8, v1, v6
	v_mul_lo_u32 v6, v1, v6
	v_add_co_u32_e32 v5, vcc, v5, v6
	v_mul_hi_u32 v7, v1, v3
	v_addc_co_u32_e32 v4, vcc, v4, v8, vcc
	v_addc_co_u32_e32 v5, vcc, 0, v7, vcc
	v_mul_lo_u32 v3, v1, v3
	v_add_co_u32_e32 v3, vcc, v4, v3
	v_addc_co_u32_e32 v4, vcc, 0, v5, vcc
	v_add_co_u32_e32 v0, vcc, v0, v3
	v_addc_co_u32_e32 v1, vcc, v1, v4, vcc
	v_mul_lo_u32 v3, s0, v1
	v_mul_hi_u32 v4, s0, v0
	v_add_u32_e32 v3, v4, v3
	v_mul_lo_u32 v4, s1, v0
	v_add_u32_e32 v3, v3, v4
	v_mul_lo_u32 v5, s0, v0
	v_mul_hi_u32 v6, v1, v5
	v_mul_lo_u32 v7, v1, v5
	v_mul_lo_u32 v9, v0, v3
	v_mul_hi_u32 v5, v0, v5
	v_mul_hi_u32 v8, v0, v3
	v_add_co_u32_e32 v5, vcc, v5, v9
	v_addc_co_u32_e32 v8, vcc, 0, v8, vcc
	v_add_co_u32_e32 v5, vcc, v5, v7
	v_mul_hi_u32 v4, v1, v3
	v_addc_co_u32_e32 v5, vcc, v8, v6, vcc
	v_addc_co_u32_e32 v4, vcc, 0, v4, vcc
	v_mul_lo_u32 v3, v1, v3
	v_add_co_u32_e32 v3, vcc, v5, v3
	v_addc_co_u32_e32 v4, vcc, 0, v4, vcc
	v_add_co_u32_e32 v3, vcc, v0, v3
	v_addc_co_u32_e32 v4, vcc, v1, v4, vcc
	v_mad_u64_u32 v[0:1], s[0:1], v2, v4, 0
	v_mul_hi_u32 v5, v2, v3
	v_add_co_u32_e32 v6, vcc, v5, v0
	v_addc_co_u32_e32 v7, vcc, 0, v1, vcc
	v_mad_u64_u32 v[0:1], s[0:1], s11, v4, 0
	v_mad_u64_u32 v[4:5], s[0:1], s11, v3, 0
	v_add_co_u32_e32 v3, vcc, v6, v4
	v_addc_co_u32_e32 v3, vcc, v7, v5, vcc
	v_addc_co_u32_e32 v1, vcc, 0, v1, vcc
	v_add_co_u32_e32 v3, vcc, v3, v0
	v_addc_co_u32_e32 v4, vcc, 0, v1, vcc
	v_mul_lo_u32 v5, s17, v3
	v_mul_lo_u32 v6, s16, v4
	v_mad_u64_u32 v[0:1], s[0:1], s16, v3, 0
	v_add3_u32 v1, v1, v6, v5
	v_sub_u32_e32 v5, s11, v1
	v_mov_b32_e32 v6, s17
	v_sub_co_u32_e32 v0, vcc, v2, v0
	v_subb_co_u32_e64 v5, s[0:1], v5, v6, vcc
	v_subrev_co_u32_e64 v6, s[0:1], s16, v0
	v_subbrev_co_u32_e64 v5, s[0:1], 0, v5, s[0:1]
	v_cmp_le_u32_e64 s[0:1], s17, v5
	v_cndmask_b32_e64 v7, 0, -1, s[0:1]
	v_cmp_le_u32_e64 s[0:1], s16, v6
	v_cndmask_b32_e64 v6, 0, -1, s[0:1]
	v_cmp_eq_u32_e64 s[0:1], s17, v5
	v_cndmask_b32_e64 v5, v7, v6, s[0:1]
	v_add_co_u32_e64 v6, s[0:1], 2, v3
	v_addc_co_u32_e64 v7, s[0:1], 0, v4, s[0:1]
	v_mov_b32_e32 v8, s11
	v_add_co_u32_e64 v9, s[0:1], 1, v3
	v_addc_co_u32_e64 v10, s[0:1], 0, v4, s[0:1]
	v_subb_co_u32_e32 v1, vcc, v8, v1, vcc
	v_cmp_ne_u32_e64 s[0:1], 0, v5
	v_cmp_le_u32_e32 vcc, s17, v1
	v_cndmask_b32_e64 v5, v10, v7, s[0:1]
	v_cndmask_b32_e64 v7, 0, -1, vcc
	v_cmp_le_u32_e32 vcc, s16, v0
	v_cndmask_b32_e64 v0, 0, -1, vcc
	v_cmp_eq_u32_e32 vcc, s17, v1
	v_cndmask_b32_e32 v0, v7, v0, vcc
	v_cmp_ne_u32_e32 vcc, 0, v0
	v_cndmask_b32_e64 v1, v9, v6, s[0:1]
	v_cndmask_b32_e32 v0, v4, v5, vcc
	v_cndmask_b32_e32 v1, v3, v1, vcc
	v_xor_b32_e32 v3, s15, v0
	v_xor_b32_e32 v0, s14, v1
	v_mov_b32_e32 v1, s13
	v_subrev_co_u32_e32 v0, vcc, s14, v0
	v_subb_co_u32_e32 v1, vcc, v3, v1, vcc
	s_andn2_saveexec_b64 s[0:1], s[6:7]
	s_cbranch_execz .LBB12_5
.LBB12_8:
	v_cvt_f32_u32_e32 v0, s12
	s_sub_i32 s2, 0, s12
	v_rcp_iflag_f32_e32 v0, v0
	v_mul_f32_e32 v0, 0x4f7ffffe, v0
	v_cvt_u32_f32_e32 v0, v0
	v_mul_lo_u32 v1, s2, v0
	v_mul_hi_u32 v1, v0, v1
	v_add_u32_e32 v0, v0, v1
	v_mul_hi_u32 v0, v2, v0
	v_mul_lo_u32 v1, v0, s12
	v_sub_u32_e32 v1, v2, v1
	v_add_u32_e32 v3, 1, v0
	v_subrev_u32_e32 v4, s12, v1
	v_cmp_le_u32_e32 vcc, s12, v1
	v_cndmask_b32_e32 v1, v1, v4, vcc
	v_cndmask_b32_e32 v0, v0, v3, vcc
	v_add_u32_e32 v3, 1, v0
	v_cmp_le_u32_e32 vcc, s12, v1
	v_cndmask_b32_e32 v0, v0, v3, vcc
	v_mov_b32_e32 v1, 0
	s_or_b64 exec, exec, s[0:1]
	v_cmp_gt_i64_e32 vcc, s[8:9], v[0:1]
	s_and_saveexec_b64 s[0:1], vcc
	s_cbranch_execz .LBB12_6
.LBB12_9:
	s_load_dwordx2 s[0:1], s[4:5], 0x10
	v_mul_lo_u32 v3, v1, s12
	v_mul_lo_u32 v6, v0, s13
	v_mad_u64_u32 v[4:5], s[6:7], v0, s12, 0
	v_add3_u32 v3, v5, v6, v3
	v_mov_b32_e32 v5, s11
	v_sub_co_u32_e32 v22, vcc, v2, v4
	s_ashr_i32 s2, s3, 31
	v_subb_co_u32_e32 v23, vcc, v5, v3, vcc
	v_mul_lo_u32 v3, v1, s3
	v_mul_lo_u32 v6, v0, s2
	v_mad_u64_u32 v[4:5], s[2:3], v0, s3, 0
	v_add3_u32 v5, v5, v6, v3
	v_lshlrev_b64 v[4:5], 1, v[4:5]
	v_lshlrev_b32_e32 v6, 5, v22
	v_mov_b32_e32 v7, 0
	s_waitcnt lgkmcnt(0)
	v_mov_b32_e32 v3, s1
	v_add_co_u32_e32 v8, vcc, s0, v4
	v_addc_co_u32_e32 v3, vcc, v3, v5, vcc
	v_lshlrev_b64 v[4:5], 1, v[6:7]
	v_add_co_u32_e32 v20, vcc, v8, v4
	v_addc_co_u32_e32 v21, vcc, v3, v5, vcc
	global_load_dwordx4 v[4:7], v[20:21], off
	global_load_dwordx4 v[8:11], v[20:21], off offset:16
	global_load_dwordx4 v[12:15], v[20:21], off offset:32
	global_load_dwordx4 v[16:19], v[20:21], off offset:48
	s_load_dwordx4 s[0:3], s[4:5], 0x0
	s_load_dword s6, s[4:5], 0x30
	v_lshlrev_b32_e32 v26, 5, v2
	v_mul_lo_u32 v20, v22, s9
	v_mad_u64_u32 v[2:3], s[4:5], v22, s8, 0
	v_mul_lo_u32 v21, v23, s8
	v_add3_u32 v3, v3, v20, v21
	v_lshlrev_b64 v[2:3], 2, v[2:3]
	s_waitcnt lgkmcnt(0)
	v_mov_b32_e32 v20, s3
	v_add_co_u32_e32 v2, vcc, s2, v2
	v_lshlrev_b64 v[0:1], 2, v[0:1]
	v_addc_co_u32_e32 v3, vcc, v20, v3, vcc
	v_add_co_u32_e32 v0, vcc, v2, v0
	v_addc_co_u32_e32 v1, vcc, v3, v1, vcc
	s_mov_b32 s7, 0x2edbe6ff
	s_and_b32 s1, s1, 0xffff
	s_mov_b32 s3, 0x20000
	s_mov_b32 s2, s6
	s_waitcnt vmcnt(3)
	v_cvt_f32_f16_e64 v3, |v4|
	v_cvt_f32_f16_sdwa v20, |v4| dst_sel:DWORD dst_unused:UNUSED_PAD src0_sel:WORD_1
	v_cvt_f32_f16_e64 v21, |v5|
	v_cvt_f32_f16_sdwa v22, |v5| dst_sel:DWORD dst_unused:UNUSED_PAD src0_sel:WORD_1
	;; [unrolled: 2-line block ×4, first 2 shown]
	s_waitcnt vmcnt(2)
	v_cvt_f32_f16_e64 v28, |v8|
	v_cvt_f32_f16_sdwa v29, |v8| dst_sel:DWORD dst_unused:UNUSED_PAD src0_sel:WORD_1
	v_max3_f32 v3, v3, s7, v20
	v_cvt_f32_f16_e64 v30, |v9|
	v_cvt_f32_f16_sdwa v31, |v9| dst_sel:DWORD dst_unused:UNUSED_PAD src0_sel:WORD_1
	v_max3_f32 v3, v3, v21, v22
	v_cvt_f32_f16_e64 v32, |v10|
	v_cvt_f32_f16_sdwa v33, |v10| dst_sel:DWORD dst_unused:UNUSED_PAD src0_sel:WORD_1
	v_max3_f32 v3, v3, v23, v24
	v_cvt_f32_f16_e64 v34, |v11|
	v_cvt_f32_f16_sdwa v35, |v11| dst_sel:DWORD dst_unused:UNUSED_PAD src0_sel:WORD_1
	v_max3_f32 v3, v3, v25, v27
	s_waitcnt vmcnt(1)
	v_cvt_f32_f16_e64 v36, |v12|
	v_cvt_f32_f16_sdwa v37, |v12| dst_sel:DWORD dst_unused:UNUSED_PAD src0_sel:WORD_1
	v_max3_f32 v3, v3, v28, v29
	v_cvt_f32_f16_e64 v38, |v13|
	v_cvt_f32_f16_sdwa v39, |v13| dst_sel:DWORD dst_unused:UNUSED_PAD src0_sel:WORD_1
	v_max3_f32 v3, v3, v30, v31
	v_cvt_f32_f16_e64 v40, |v14|
	v_cvt_f32_f16_sdwa v41, |v14| dst_sel:DWORD dst_unused:UNUSED_PAD src0_sel:WORD_1
	v_max3_f32 v3, v3, v32, v33
	v_cvt_f32_f16_e64 v42, |v15|
	v_cvt_f32_f16_sdwa v43, |v15| dst_sel:DWORD dst_unused:UNUSED_PAD src0_sel:WORD_1
	v_max3_f32 v3, v3, v34, v35
	;; [unrolled: 13-line block ×3, first 2 shown]
	v_max3_f32 v3, v3, v44, v45
	v_max3_f32 v3, v3, v46, v47
	;; [unrolled: 1-line block ×4, first 2 shown]
	v_mul_f32_e32 v3, 0x3c010204, v3
	v_div_scale_f32 v20, s[4:5], v3, v3, 1.0
	v_rcp_f32_e32 v21, v20
	global_store_dword v[0:1], v3, off
	v_div_scale_f32 v0, vcc, 1.0, v3, 1.0
	v_fma_f32 v1, -v20, v21, 1.0
	v_fmac_f32_e32 v21, v1, v21
	v_mul_f32_e32 v1, v0, v21
	v_fma_f32 v22, -v20, v1, v0
	v_fmac_f32_e32 v1, v22, v21
	v_fma_f32 v0, -v20, v1, v0
	v_div_fmas_f32 v0, v0, v21, v1
	v_cvt_f32_f16_e32 v2, v4
	v_div_fixup_f32 v20, v0, v3, 1.0
	v_cvt_f32_f16_sdwa v3, v4 dst_sel:DWORD dst_unused:UNUSED_PAD src0_sel:WORD_1
	v_cvt_f32_f16_e32 v0, v5
	v_cvt_f32_f16_sdwa v1, v5 dst_sel:DWORD dst_unused:UNUSED_PAD src0_sel:WORD_1
	v_mov_b32_e32 v21, v20
	;;#ASMSTART
	v_pk_mul_f32 v[2:3], v[2:3], v[20:21]
	;;#ASMEND
	;;#ASMSTART
	v_pk_mul_f32 v[0:1], v[0:1], v[20:21]
	;;#ASMEND
	v_cvt_f32_f16_e32 v4, v6
	v_cvt_f32_f16_sdwa v5, v6 dst_sel:DWORD dst_unused:UNUSED_PAD src0_sel:WORD_1
	v_cvt_i32_f32_e32 v27, v0
	v_cvt_i32_f32_sdwa v28, v1 dst_sel:BYTE_1 dst_unused:UNUSED_PAD src0_sel:DWORD
	;;#ASMSTART
	v_pk_mul_f32 v[0:1], v[4:5], v[20:21]
	;;#ASMEND
	v_cvt_f32_f16_e32 v6, v7
	v_cvt_f32_f16_sdwa v7, v7 dst_sel:DWORD dst_unused:UNUSED_PAD src0_sel:WORD_1
	v_cvt_i32_f32_e32 v4, v0
	v_cvt_i32_f32_sdwa v5, v1 dst_sel:BYTE_1 dst_unused:UNUSED_PAD src0_sel:DWORD
	;; [unrolled: 7-line block ×3, first 2 shown]
	v_cvt_i32_f32_e32 v6, v0
	v_cvt_i32_f32_sdwa v7, v1 dst_sel:BYTE_1 dst_unused:UNUSED_PAD src0_sel:DWORD
	;;#ASMSTART
	v_pk_mul_f32 v[0:1], v[22:23], v[20:21]
	;;#ASMEND
	v_cvt_f32_f16_e32 v8, v9
	v_cvt_f32_f16_sdwa v9, v9 dst_sel:DWORD dst_unused:UNUSED_PAD src0_sel:WORD_1
	v_cvt_i32_f32_e32 v22, v0
	v_cvt_i32_f32_sdwa v23, v1 dst_sel:BYTE_1 dst_unused:UNUSED_PAD src0_sel:DWORD
	;;#ASMSTART
	v_pk_mul_f32 v[0:1], v[8:9], v[20:21]
	;;#ASMEND
	v_cvt_f32_f16_e32 v24, v10
	v_cvt_f32_f16_sdwa v25, v10 dst_sel:DWORD dst_unused:UNUSED_PAD src0_sel:WORD_1
	v_cvt_f32_f16_e32 v10, v11
	v_cvt_f32_f16_sdwa v11, v11 dst_sel:DWORD dst_unused:UNUSED_PAD src0_sel:WORD_1
	v_cvt_i32_f32_e32 v8, v0
	v_cvt_i32_f32_sdwa v9, v1 dst_sel:BYTE_1 dst_unused:UNUSED_PAD src0_sel:DWORD
	;;#ASMSTART
	v_pk_mul_f32 v[0:1], v[24:25], v[20:21]
	;;#ASMEND
	v_cvt_i32_f32_e32 v24, v0
	v_cvt_i32_f32_sdwa v25, v1 dst_sel:BYTE_1 dst_unused:UNUSED_PAD src0_sel:DWORD
	;;#ASMSTART
	v_pk_mul_f32 v[0:1], v[10:11], v[20:21]
	;;#ASMEND
	v_cvt_i32_f32_e32 v10, v0
	v_cvt_i32_f32_sdwa v11, v1 dst_sel:BYTE_1 dst_unused:UNUSED_PAD src0_sel:DWORD
	v_or_b32_sdwa v0, v2, v3 dst_sel:DWORD dst_unused:UNUSED_PAD src0_sel:BYTE_0 src1_sel:DWORD
	v_or_b32_sdwa v1, v27, v28 dst_sel:WORD_1 dst_unused:UNUSED_PAD src0_sel:BYTE_0 src1_sel:DWORD
	v_or_b32_sdwa v0, v0, v1 dst_sel:DWORD dst_unused:UNUSED_PAD src0_sel:WORD_0 src1_sel:DWORD
	v_or_b32_sdwa v1, v4, v5 dst_sel:DWORD dst_unused:UNUSED_PAD src0_sel:BYTE_0 src1_sel:DWORD
	v_or_b32_sdwa v2, v6, v7 dst_sel:WORD_1 dst_unused:UNUSED_PAD src0_sel:BYTE_0 src1_sel:DWORD
	v_or_b32_sdwa v1, v1, v2 dst_sel:DWORD dst_unused:UNUSED_PAD src0_sel:WORD_0 src1_sel:DWORD
	;; [unrolled: 3-line block ×4, first 2 shown]
	buffer_store_dwordx4 v[0:3], v26, s[0:3], 0 offen
	;;#ASMSTART
	s_nop 0
	;;#ASMEND
	v_cvt_f32_f16_e32 v8, v16
	v_cvt_f32_f16_e32 v0, v12
	v_cvt_f32_f16_sdwa v1, v12 dst_sel:DWORD dst_unused:UNUSED_PAD src0_sel:WORD_1
	;;#ASMSTART
	v_pk_mul_f32 v[0:1], v[0:1], v[20:21]
	;;#ASMEND
	v_cvt_f32_f16_e32 v2, v13
	v_cvt_f32_f16_sdwa v3, v13 dst_sel:DWORD dst_unused:UNUSED_PAD src0_sel:WORD_1
	v_cvt_f32_f16_sdwa v9, v16 dst_sel:DWORD dst_unused:UNUSED_PAD src0_sel:WORD_1
	v_cvt_f32_f16_e32 v10, v17
	v_cvt_f32_f16_sdwa v11, v17 dst_sel:DWORD dst_unused:UNUSED_PAD src0_sel:WORD_1
	v_cvt_i32_f32_e32 v16, v0
	v_cvt_i32_f32_sdwa v17, v1 dst_sel:BYTE_1 dst_unused:UNUSED_PAD src0_sel:DWORD
	;;#ASMSTART
	v_pk_mul_f32 v[0:1], v[2:3], v[20:21]
	;;#ASMEND
	v_cvt_f32_f16_e32 v4, v14
	v_cvt_f32_f16_sdwa v5, v14 dst_sel:DWORD dst_unused:UNUSED_PAD src0_sel:WORD_1
	v_cvt_i32_f32_e32 v2, v0
	v_cvt_i32_f32_sdwa v3, v1 dst_sel:BYTE_1 dst_unused:UNUSED_PAD src0_sel:DWORD
	;;#ASMSTART
	v_pk_mul_f32 v[0:1], v[4:5], v[20:21]
	;;#ASMEND
	;; [unrolled: 7-line block ×3, first 2 shown]
	v_cvt_i32_f32_e32 v6, v0
	v_cvt_i32_f32_sdwa v7, v1 dst_sel:BYTE_1 dst_unused:UNUSED_PAD src0_sel:DWORD
	;;#ASMSTART
	v_pk_mul_f32 v[0:1], v[8:9], v[20:21]
	;;#ASMEND
	v_cvt_i32_f32_e32 v8, v0
	v_cvt_i32_f32_sdwa v9, v1 dst_sel:BYTE_1 dst_unused:UNUSED_PAD src0_sel:DWORD
	;;#ASMSTART
	v_pk_mul_f32 v[0:1], v[10:11], v[20:21]
	;;#ASMEND
	v_cvt_f32_f16_e32 v12, v18
	v_cvt_f32_f16_sdwa v13, v18 dst_sel:DWORD dst_unused:UNUSED_PAD src0_sel:WORD_1
	v_cvt_f32_f16_e32 v14, v19
	v_cvt_f32_f16_sdwa v15, v19 dst_sel:DWORD dst_unused:UNUSED_PAD src0_sel:WORD_1
	v_cvt_i32_f32_e32 v10, v0
	v_cvt_i32_f32_sdwa v11, v1 dst_sel:BYTE_1 dst_unused:UNUSED_PAD src0_sel:DWORD
	;;#ASMSTART
	v_pk_mul_f32 v[0:1], v[12:13], v[20:21]
	;;#ASMEND
	v_cvt_i32_f32_e32 v12, v0
	v_cvt_i32_f32_sdwa v13, v1 dst_sel:BYTE_1 dst_unused:UNUSED_PAD src0_sel:DWORD
	;;#ASMSTART
	v_pk_mul_f32 v[0:1], v[14:15], v[20:21]
	;;#ASMEND
	v_cvt_i32_f32_e32 v14, v0
	v_cvt_i32_f32_sdwa v15, v1 dst_sel:BYTE_1 dst_unused:UNUSED_PAD src0_sel:DWORD
	v_or_b32_sdwa v0, v16, v17 dst_sel:DWORD dst_unused:UNUSED_PAD src0_sel:BYTE_0 src1_sel:DWORD
	v_or_b32_sdwa v1, v2, v3 dst_sel:WORD_1 dst_unused:UNUSED_PAD src0_sel:BYTE_0 src1_sel:DWORD
	v_or_b32_sdwa v0, v0, v1 dst_sel:DWORD dst_unused:UNUSED_PAD src0_sel:WORD_0 src1_sel:DWORD
	v_or_b32_sdwa v1, v4, v5 dst_sel:DWORD dst_unused:UNUSED_PAD src0_sel:BYTE_0 src1_sel:DWORD
	v_or_b32_sdwa v2, v6, v7 dst_sel:WORD_1 dst_unused:UNUSED_PAD src0_sel:BYTE_0 src1_sel:DWORD
	v_or_b32_sdwa v1, v1, v2 dst_sel:DWORD dst_unused:UNUSED_PAD src0_sel:WORD_0 src1_sel:DWORD
	;; [unrolled: 3-line block ×4, first 2 shown]
	buffer_store_dwordx4 v[0:3], v26, s[0:3], 16 offen
	;;#ASMSTART
	s_nop 0
	;;#ASMEND
	s_endpgm
	.section	.rodata,"a",@progbits
	.p2align	6, 0x0
	.amdhsa_kernel _ZN5aiter37dynamic_per_group_scaled_quant_kernelIDF16_aLi32ELi32ELb1ELi64ELb0EEEvPT0_PfPKT_PKfliilPKii
		.amdhsa_group_segment_fixed_size 0
		.amdhsa_private_segment_fixed_size 0
		.amdhsa_kernarg_size 68
		.amdhsa_user_sgpr_count 6
		.amdhsa_user_sgpr_private_segment_buffer 1
		.amdhsa_user_sgpr_dispatch_ptr 0
		.amdhsa_user_sgpr_queue_ptr 0
		.amdhsa_user_sgpr_kernarg_segment_ptr 1
		.amdhsa_user_sgpr_dispatch_id 0
		.amdhsa_user_sgpr_flat_scratch_init 0
		.amdhsa_user_sgpr_kernarg_preload_length 0
		.amdhsa_user_sgpr_kernarg_preload_offset 0
		.amdhsa_user_sgpr_private_segment_size 0
		.amdhsa_uses_dynamic_stack 0
		.amdhsa_system_sgpr_private_segment_wavefront_offset 0
		.amdhsa_system_sgpr_workgroup_id_x 1
		.amdhsa_system_sgpr_workgroup_id_y 0
		.amdhsa_system_sgpr_workgroup_id_z 0
		.amdhsa_system_sgpr_workgroup_info 0
		.amdhsa_system_vgpr_workitem_id 0
		.amdhsa_next_free_vgpr 52
		.amdhsa_next_free_sgpr 18
		.amdhsa_accum_offset 52
		.amdhsa_reserve_vcc 1
		.amdhsa_reserve_flat_scratch 0
		.amdhsa_float_round_mode_32 0
		.amdhsa_float_round_mode_16_64 0
		.amdhsa_float_denorm_mode_32 3
		.amdhsa_float_denorm_mode_16_64 3
		.amdhsa_dx10_clamp 1
		.amdhsa_ieee_mode 1
		.amdhsa_fp16_overflow 0
		.amdhsa_tg_split 0
		.amdhsa_exception_fp_ieee_invalid_op 0
		.amdhsa_exception_fp_denorm_src 0
		.amdhsa_exception_fp_ieee_div_zero 0
		.amdhsa_exception_fp_ieee_overflow 0
		.amdhsa_exception_fp_ieee_underflow 0
		.amdhsa_exception_fp_ieee_inexact 0
		.amdhsa_exception_int_div_zero 0
	.end_amdhsa_kernel
	.section	.text._ZN5aiter37dynamic_per_group_scaled_quant_kernelIDF16_aLi32ELi32ELb1ELi64ELb0EEEvPT0_PfPKT_PKfliilPKii,"axG",@progbits,_ZN5aiter37dynamic_per_group_scaled_quant_kernelIDF16_aLi32ELi32ELb1ELi64ELb0EEEvPT0_PfPKT_PKfliilPKii,comdat
.Lfunc_end12:
	.size	_ZN5aiter37dynamic_per_group_scaled_quant_kernelIDF16_aLi32ELi32ELb1ELi64ELb0EEEvPT0_PfPKT_PKfliilPKii, .Lfunc_end12-_ZN5aiter37dynamic_per_group_scaled_quant_kernelIDF16_aLi32ELi32ELb1ELi64ELb0EEEvPT0_PfPKT_PKfliilPKii
                                        ; -- End function
	.section	.AMDGPU.csdata,"",@progbits
; Kernel info:
; codeLenInByte = 2464
; NumSgprs: 22
; NumVgprs: 52
; NumAgprs: 0
; TotalNumVgprs: 52
; ScratchSize: 0
; MemoryBound: 0
; FloatMode: 240
; IeeeMode: 1
; LDSByteSize: 0 bytes/workgroup (compile time only)
; SGPRBlocks: 2
; VGPRBlocks: 6
; NumSGPRsForWavesPerEU: 22
; NumVGPRsForWavesPerEU: 52
; AccumOffset: 52
; Occupancy: 8
; WaveLimiterHint : 0
; COMPUTE_PGM_RSRC2:SCRATCH_EN: 0
; COMPUTE_PGM_RSRC2:USER_SGPR: 6
; COMPUTE_PGM_RSRC2:TRAP_HANDLER: 0
; COMPUTE_PGM_RSRC2:TGID_X_EN: 1
; COMPUTE_PGM_RSRC2:TGID_Y_EN: 0
; COMPUTE_PGM_RSRC2:TGID_Z_EN: 0
; COMPUTE_PGM_RSRC2:TIDIG_COMP_CNT: 0
; COMPUTE_PGM_RSRC3_GFX90A:ACCUM_OFFSET: 12
; COMPUTE_PGM_RSRC3_GFX90A:TG_SPLIT: 0
	.section	.text._ZN5aiter37dynamic_per_group_scaled_quant_kernelItaLi32ELi32ELb1ELi64ELb0EEEvPT0_PfPKT_PKfliilPKii,"axG",@progbits,_ZN5aiter37dynamic_per_group_scaled_quant_kernelItaLi32ELi32ELb1ELi64ELb0EEEvPT0_PfPKT_PKfliilPKii,comdat
	.protected	_ZN5aiter37dynamic_per_group_scaled_quant_kernelItaLi32ELi32ELb1ELi64ELb0EEEvPT0_PfPKT_PKfliilPKii ; -- Begin function _ZN5aiter37dynamic_per_group_scaled_quant_kernelItaLi32ELi32ELb1ELi64ELb0EEEvPT0_PfPKT_PKfliilPKii
	.globl	_ZN5aiter37dynamic_per_group_scaled_quant_kernelItaLi32ELi32ELb1ELi64ELb0EEEvPT0_PfPKT_PKfliilPKii
	.p2align	8
	.type	_ZN5aiter37dynamic_per_group_scaled_quant_kernelItaLi32ELi32ELb1ELi64ELb0EEEvPT0_PfPKT_PKfliilPKii,@function
_ZN5aiter37dynamic_per_group_scaled_quant_kernelItaLi32ELi32ELb1ELi64ELb0EEEvPT0_PfPKT_PKfliilPKii: ; @_ZN5aiter37dynamic_per_group_scaled_quant_kernelItaLi32ELi32ELb1ELi64ELb0EEEvPT0_PfPKT_PKfliilPKii
; %bb.0:
	s_load_dwordx2 s[0:1], s[4:5], 0x38
	s_waitcnt lgkmcnt(0)
	s_cmp_eq_u64 s[0:1], 0
	s_cbranch_scc1 .LBB13_2
; %bb.1:
	s_load_dword s2, s[4:5], 0x40
	s_load_dword s3, s[0:1], 0x0
	s_waitcnt lgkmcnt(0)
	s_mul_hi_i32 s9, s3, s2
	s_mul_i32 s8, s3, s2
	s_branch .LBB13_3
.LBB13_2:
	s_load_dwordx2 s[8:9], s[4:5], 0x20
.LBB13_3:
	s_load_dwordx2 s[2:3], s[4:5], 0x28
	s_mov_b32 s7, 0
	s_lshl_b64 s[10:11], s[6:7], 6
	v_or_b32_e32 v2, s10, v0
                                        ; implicit-def: $vgpr0_vgpr1
	s_waitcnt lgkmcnt(0)
	s_ashr_i32 s0, s2, 31
	s_lshr_b32 s0, s0, 27
	s_add_i32 s0, s2, s0
	s_ashr_i32 s12, s0, 5
	s_ashr_i32 s13, s12, 31
	s_or_b64 s[0:1], s[10:11], s[12:13]
	s_mov_b32 s0, s7
	s_cmp_lg_u64 s[0:1], 0
	s_cselect_b64 s[0:1], -1, 0
	s_and_saveexec_b64 s[6:7], s[0:1]
	s_xor_b64 s[6:7], exec, s[6:7]
	s_cbranch_execnz .LBB13_7
; %bb.4:
	s_andn2_saveexec_b64 s[0:1], s[6:7]
	s_cbranch_execnz .LBB13_8
.LBB13_5:
	s_or_b64 exec, exec, s[0:1]
	v_cmp_gt_i64_e32 vcc, s[8:9], v[0:1]
	s_and_saveexec_b64 s[0:1], vcc
	s_cbranch_execnz .LBB13_9
.LBB13_6:
	s_endpgm
.LBB13_7:
	s_add_u32 s0, s12, s13
	s_mov_b32 s14, s13
	s_mov_b32 s15, s13
	s_addc_u32 s1, s13, s13
	s_xor_b64 s[16:17], s[0:1], s[14:15]
	v_cvt_f32_u32_e32 v0, s16
	v_cvt_f32_u32_e32 v1, s17
	s_sub_u32 s0, 0, s16
	s_subb_u32 s1, 0, s17
	v_madmk_f32 v0, v1, 0x4f800000, v0
	v_rcp_f32_e32 v0, v0
	v_mul_f32_e32 v0, 0x5f7ffffc, v0
	v_mul_f32_e32 v1, 0x2f800000, v0
	v_trunc_f32_e32 v1, v1
	v_madmk_f32 v0, v1, 0xcf800000, v0
	v_cvt_u32_f32_e32 v1, v1
	v_cvt_u32_f32_e32 v0, v0
	v_mul_lo_u32 v3, s0, v1
	v_mul_hi_u32 v5, s0, v0
	v_mul_lo_u32 v4, s1, v0
	v_add_u32_e32 v3, v5, v3
	v_mul_lo_u32 v6, s0, v0
	v_add_u32_e32 v3, v3, v4
	v_mul_lo_u32 v5, v0, v3
	v_mul_hi_u32 v7, v0, v6
	v_mul_hi_u32 v4, v0, v3
	v_add_co_u32_e32 v5, vcc, v7, v5
	v_addc_co_u32_e32 v4, vcc, 0, v4, vcc
	v_mul_hi_u32 v8, v1, v6
	v_mul_lo_u32 v6, v1, v6
	v_add_co_u32_e32 v5, vcc, v5, v6
	v_mul_hi_u32 v7, v1, v3
	v_addc_co_u32_e32 v4, vcc, v4, v8, vcc
	v_addc_co_u32_e32 v5, vcc, 0, v7, vcc
	v_mul_lo_u32 v3, v1, v3
	v_add_co_u32_e32 v3, vcc, v4, v3
	v_addc_co_u32_e32 v4, vcc, 0, v5, vcc
	v_add_co_u32_e32 v0, vcc, v0, v3
	v_addc_co_u32_e32 v1, vcc, v1, v4, vcc
	v_mul_lo_u32 v3, s0, v1
	v_mul_hi_u32 v4, s0, v0
	v_add_u32_e32 v3, v4, v3
	v_mul_lo_u32 v4, s1, v0
	v_add_u32_e32 v3, v3, v4
	v_mul_lo_u32 v5, s0, v0
	v_mul_hi_u32 v6, v1, v5
	v_mul_lo_u32 v7, v1, v5
	v_mul_lo_u32 v9, v0, v3
	v_mul_hi_u32 v5, v0, v5
	v_mul_hi_u32 v8, v0, v3
	v_add_co_u32_e32 v5, vcc, v5, v9
	v_addc_co_u32_e32 v8, vcc, 0, v8, vcc
	v_add_co_u32_e32 v5, vcc, v5, v7
	v_mul_hi_u32 v4, v1, v3
	v_addc_co_u32_e32 v5, vcc, v8, v6, vcc
	v_addc_co_u32_e32 v4, vcc, 0, v4, vcc
	v_mul_lo_u32 v3, v1, v3
	v_add_co_u32_e32 v3, vcc, v5, v3
	v_addc_co_u32_e32 v4, vcc, 0, v4, vcc
	v_add_co_u32_e32 v3, vcc, v0, v3
	v_addc_co_u32_e32 v4, vcc, v1, v4, vcc
	v_mad_u64_u32 v[0:1], s[0:1], v2, v4, 0
	v_mul_hi_u32 v5, v2, v3
	v_add_co_u32_e32 v6, vcc, v5, v0
	v_addc_co_u32_e32 v7, vcc, 0, v1, vcc
	v_mad_u64_u32 v[0:1], s[0:1], s11, v4, 0
	v_mad_u64_u32 v[4:5], s[0:1], s11, v3, 0
	v_add_co_u32_e32 v3, vcc, v6, v4
	v_addc_co_u32_e32 v3, vcc, v7, v5, vcc
	v_addc_co_u32_e32 v1, vcc, 0, v1, vcc
	v_add_co_u32_e32 v3, vcc, v3, v0
	v_addc_co_u32_e32 v4, vcc, 0, v1, vcc
	v_mul_lo_u32 v5, s17, v3
	v_mul_lo_u32 v6, s16, v4
	v_mad_u64_u32 v[0:1], s[0:1], s16, v3, 0
	v_add3_u32 v1, v1, v6, v5
	v_sub_u32_e32 v5, s11, v1
	v_mov_b32_e32 v6, s17
	v_sub_co_u32_e32 v0, vcc, v2, v0
	v_subb_co_u32_e64 v5, s[0:1], v5, v6, vcc
	v_subrev_co_u32_e64 v6, s[0:1], s16, v0
	v_subbrev_co_u32_e64 v5, s[0:1], 0, v5, s[0:1]
	v_cmp_le_u32_e64 s[0:1], s17, v5
	v_cndmask_b32_e64 v7, 0, -1, s[0:1]
	v_cmp_le_u32_e64 s[0:1], s16, v6
	v_cndmask_b32_e64 v6, 0, -1, s[0:1]
	v_cmp_eq_u32_e64 s[0:1], s17, v5
	v_cndmask_b32_e64 v5, v7, v6, s[0:1]
	v_add_co_u32_e64 v6, s[0:1], 2, v3
	v_addc_co_u32_e64 v7, s[0:1], 0, v4, s[0:1]
	v_mov_b32_e32 v8, s11
	v_add_co_u32_e64 v9, s[0:1], 1, v3
	v_addc_co_u32_e64 v10, s[0:1], 0, v4, s[0:1]
	v_subb_co_u32_e32 v1, vcc, v8, v1, vcc
	v_cmp_ne_u32_e64 s[0:1], 0, v5
	v_cmp_le_u32_e32 vcc, s17, v1
	v_cndmask_b32_e64 v5, v10, v7, s[0:1]
	v_cndmask_b32_e64 v7, 0, -1, vcc
	v_cmp_le_u32_e32 vcc, s16, v0
	v_cndmask_b32_e64 v0, 0, -1, vcc
	v_cmp_eq_u32_e32 vcc, s17, v1
	v_cndmask_b32_e32 v0, v7, v0, vcc
	v_cmp_ne_u32_e32 vcc, 0, v0
	v_cndmask_b32_e64 v1, v9, v6, s[0:1]
	v_cndmask_b32_e32 v0, v4, v5, vcc
	v_cndmask_b32_e32 v1, v3, v1, vcc
	v_xor_b32_e32 v3, s15, v0
	v_xor_b32_e32 v0, s14, v1
	v_mov_b32_e32 v1, s13
	v_subrev_co_u32_e32 v0, vcc, s14, v0
	v_subb_co_u32_e32 v1, vcc, v3, v1, vcc
	s_andn2_saveexec_b64 s[0:1], s[6:7]
	s_cbranch_execz .LBB13_5
.LBB13_8:
	v_cvt_f32_u32_e32 v0, s12
	s_sub_i32 s2, 0, s12
	v_rcp_iflag_f32_e32 v0, v0
	v_mul_f32_e32 v0, 0x4f7ffffe, v0
	v_cvt_u32_f32_e32 v0, v0
	v_mul_lo_u32 v1, s2, v0
	v_mul_hi_u32 v1, v0, v1
	v_add_u32_e32 v0, v0, v1
	v_mul_hi_u32 v0, v2, v0
	v_mul_lo_u32 v1, v0, s12
	v_sub_u32_e32 v1, v2, v1
	v_add_u32_e32 v3, 1, v0
	v_subrev_u32_e32 v4, s12, v1
	v_cmp_le_u32_e32 vcc, s12, v1
	v_cndmask_b32_e32 v1, v1, v4, vcc
	v_cndmask_b32_e32 v0, v0, v3, vcc
	v_add_u32_e32 v3, 1, v0
	v_cmp_le_u32_e32 vcc, s12, v1
	v_cndmask_b32_e32 v0, v0, v3, vcc
	v_mov_b32_e32 v1, 0
	s_or_b64 exec, exec, s[0:1]
	v_cmp_gt_i64_e32 vcc, s[8:9], v[0:1]
	s_and_saveexec_b64 s[0:1], vcc
	s_cbranch_execz .LBB13_6
.LBB13_9:
	s_load_dwordx2 s[0:1], s[4:5], 0x10
	v_mul_lo_u32 v3, v1, s12
	v_mul_lo_u32 v6, v0, s13
	v_mad_u64_u32 v[4:5], s[6:7], v0, s12, 0
	v_add3_u32 v3, v5, v6, v3
	v_mov_b32_e32 v5, s11
	v_sub_co_u32_e32 v22, vcc, v2, v4
	s_ashr_i32 s2, s3, 31
	v_subb_co_u32_e32 v23, vcc, v5, v3, vcc
	v_mul_lo_u32 v3, v1, s3
	v_mul_lo_u32 v6, v0, s2
	v_mad_u64_u32 v[4:5], s[2:3], v0, s3, 0
	v_add3_u32 v5, v5, v6, v3
	v_lshlrev_b64 v[4:5], 1, v[4:5]
	v_lshlrev_b32_e32 v6, 5, v22
	v_mov_b32_e32 v7, 0
	s_waitcnt lgkmcnt(0)
	v_mov_b32_e32 v3, s1
	v_add_co_u32_e32 v8, vcc, s0, v4
	v_addc_co_u32_e32 v3, vcc, v3, v5, vcc
	v_lshlrev_b64 v[4:5], 1, v[6:7]
	v_add_co_u32_e32 v20, vcc, v8, v4
	v_addc_co_u32_e32 v21, vcc, v3, v5, vcc
	global_load_dwordx4 v[4:7], v[20:21], off
	global_load_dwordx4 v[8:11], v[20:21], off offset:16
	global_load_dwordx4 v[12:15], v[20:21], off offset:32
	;; [unrolled: 1-line block ×3, first 2 shown]
	s_load_dwordx4 s[0:3], s[4:5], 0x0
	s_load_dword s6, s[4:5], 0x30
	v_lshlrev_b32_e32 v36, 5, v2
	v_mul_lo_u32 v20, v22, s9
	v_mad_u64_u32 v[2:3], s[4:5], v22, s8, 0
	v_mul_lo_u32 v21, v23, s8
	v_add3_u32 v3, v3, v20, v21
	v_lshlrev_b64 v[2:3], 2, v[2:3]
	s_waitcnt lgkmcnt(0)
	v_mov_b32_e32 v20, s3
	v_add_co_u32_e32 v2, vcc, s2, v2
	v_lshlrev_b64 v[0:1], 2, v[0:1]
	v_addc_co_u32_e32 v3, vcc, v20, v3, vcc
	v_add_co_u32_e32 v0, vcc, v2, v0
	v_addc_co_u32_e32 v1, vcc, v3, v1, vcc
	s_mov_b32 s7, 0x2edbe6ff
	s_and_b32 s1, s1, 0xffff
	s_mov_b32 s3, 0x20000
	s_mov_b32 s2, s6
	s_waitcnt vmcnt(3)
	v_cvt_f32_u32_sdwa v3, v4 dst_sel:DWORD dst_unused:UNUSED_PAD src0_sel:WORD_1
	v_cvt_f32_u32_sdwa v2, v4 dst_sel:DWORD dst_unused:UNUSED_PAD src0_sel:WORD_0
	v_cvt_f32_u32_sdwa v21, v5 dst_sel:DWORD dst_unused:UNUSED_PAD src0_sel:WORD_1
	v_cvt_f32_u32_sdwa v20, v5 dst_sel:DWORD dst_unused:UNUSED_PAD src0_sel:WORD_0
	v_cvt_f32_u32_sdwa v5, v6 dst_sel:DWORD dst_unused:UNUSED_PAD src0_sel:WORD_1
	v_cvt_f32_u32_sdwa v4, v6 dst_sel:DWORD dst_unused:UNUSED_PAD src0_sel:WORD_0
	v_cvt_f32_u32_sdwa v23, v7 dst_sel:DWORD dst_unused:UNUSED_PAD src0_sel:WORD_1
	v_cvt_f32_u32_sdwa v22, v7 dst_sel:DWORD dst_unused:UNUSED_PAD src0_sel:WORD_0
	s_waitcnt vmcnt(2)
	v_cvt_f32_u32_sdwa v7, v8 dst_sel:DWORD dst_unused:UNUSED_PAD src0_sel:WORD_1
	v_cvt_f32_u32_sdwa v6, v8 dst_sel:DWORD dst_unused:UNUSED_PAD src0_sel:WORD_0
	v_cvt_f32_u32_sdwa v25, v9 dst_sel:DWORD dst_unused:UNUSED_PAD src0_sel:WORD_1
	v_cvt_f32_u32_sdwa v24, v9 dst_sel:DWORD dst_unused:UNUSED_PAD src0_sel:WORD_0
	v_cvt_f32_u32_sdwa v9, v10 dst_sel:DWORD dst_unused:UNUSED_PAD src0_sel:WORD_1
	v_cvt_f32_u32_sdwa v8, v10 dst_sel:DWORD dst_unused:UNUSED_PAD src0_sel:WORD_0
	v_cvt_f32_u32_sdwa v27, v11 dst_sel:DWORD dst_unused:UNUSED_PAD src0_sel:WORD_1
	v_cvt_f32_u32_sdwa v26, v11 dst_sel:DWORD dst_unused:UNUSED_PAD src0_sel:WORD_0
	;; [unrolled: 9-line block ×3, first 2 shown]
	s_waitcnt vmcnt(0)
	v_cvt_f32_u32_sdwa v15, v16 dst_sel:DWORD dst_unused:UNUSED_PAD src0_sel:WORD_1
	v_cvt_f32_u32_sdwa v14, v16 dst_sel:DWORD dst_unused:UNUSED_PAD src0_sel:WORD_0
	v_cvt_f32_u32_sdwa v33, v17 dst_sel:DWORD dst_unused:UNUSED_PAD src0_sel:WORD_1
	v_cvt_f32_u32_sdwa v32, v17 dst_sel:DWORD dst_unused:UNUSED_PAD src0_sel:WORD_0
	v_cvt_f32_u32_sdwa v17, v18 dst_sel:DWORD dst_unused:UNUSED_PAD src0_sel:WORD_1
	v_cvt_f32_u32_sdwa v16, v18 dst_sel:DWORD dst_unused:UNUSED_PAD src0_sel:WORD_0
	v_max3_f32 v18, v2, s7, v3
	v_max3_f32 v18, v18, v20, v21
	;; [unrolled: 1-line block ×11, first 2 shown]
	v_cvt_f32_u32_sdwa v35, v19 dst_sel:DWORD dst_unused:UNUSED_PAD src0_sel:WORD_1
	v_cvt_f32_u32_sdwa v34, v19 dst_sel:DWORD dst_unused:UNUSED_PAD src0_sel:WORD_0
	v_max3_f32 v18, v18, v30, v31
	v_max3_f32 v18, v18, v14, v15
	;; [unrolled: 1-line block ×5, first 2 shown]
	v_mul_f32_e32 v18, 0x3c010204, v18
	v_div_scale_f32 v19, s[4:5], v18, v18, 1.0
	v_rcp_f32_e32 v37, v19
	global_store_dword v[0:1], v18, off
	v_div_scale_f32 v0, vcc, 1.0, v18, 1.0
	v_fma_f32 v1, -v19, v37, 1.0
	v_fmac_f32_e32 v37, v1, v37
	v_mul_f32_e32 v1, v0, v37
	v_fma_f32 v38, -v19, v1, v0
	v_fmac_f32_e32 v1, v38, v37
	v_fma_f32 v0, -v19, v1, v0
	v_div_fmas_f32 v0, v0, v37, v1
	v_div_fixup_f32 v18, v0, v18, 1.0
	v_mov_b32_e32 v19, v18
	;;#ASMSTART
	v_pk_mul_f32 v[0:1], v[2:3], v[18:19]
	;;#ASMEND
	v_cvt_i32_f32_e32 v2, v0
	v_cvt_i32_f32_sdwa v3, v1 dst_sel:BYTE_1 dst_unused:UNUSED_PAD src0_sel:DWORD
	;;#ASMSTART
	v_pk_mul_f32 v[0:1], v[20:21], v[18:19]
	;;#ASMEND
	v_cvt_i32_f32_e32 v20, v0
	v_cvt_i32_f32_sdwa v21, v1 dst_sel:BYTE_1 dst_unused:UNUSED_PAD src0_sel:DWORD
	;; [unrolled: 5-line block ×8, first 2 shown]
	v_or_b32_sdwa v0, v2, v3 dst_sel:DWORD dst_unused:UNUSED_PAD src0_sel:BYTE_0 src1_sel:DWORD
	v_or_b32_sdwa v1, v20, v21 dst_sel:WORD_1 dst_unused:UNUSED_PAD src0_sel:BYTE_0 src1_sel:DWORD
	v_or_b32_sdwa v0, v0, v1 dst_sel:DWORD dst_unused:UNUSED_PAD src0_sel:WORD_0 src1_sel:DWORD
	v_or_b32_sdwa v1, v4, v5 dst_sel:DWORD dst_unused:UNUSED_PAD src0_sel:BYTE_0 src1_sel:DWORD
	v_or_b32_sdwa v2, v22, v23 dst_sel:WORD_1 dst_unused:UNUSED_PAD src0_sel:BYTE_0 src1_sel:DWORD
	v_or_b32_sdwa v1, v1, v2 dst_sel:DWORD dst_unused:UNUSED_PAD src0_sel:WORD_0 src1_sel:DWORD
	;; [unrolled: 3-line block ×4, first 2 shown]
	buffer_store_dwordx4 v[0:3], v36, s[0:3], 0 offen
	;;#ASMSTART
	s_nop 0
	;;#ASMEND
	s_nop 0
	;;#ASMSTART
	v_pk_mul_f32 v[0:1], v[10:11], v[18:19]
	;;#ASMEND
	v_cvt_i32_f32_e32 v2, v0
	v_cvt_i32_f32_sdwa v3, v1 dst_sel:BYTE_1 dst_unused:UNUSED_PAD src0_sel:DWORD
	;;#ASMSTART
	v_pk_mul_f32 v[0:1], v[28:29], v[18:19]
	;;#ASMEND
	v_cvt_i32_f32_e32 v4, v0
	v_cvt_i32_f32_sdwa v5, v1 dst_sel:BYTE_1 dst_unused:UNUSED_PAD src0_sel:DWORD
	;; [unrolled: 5-line block ×8, first 2 shown]
	v_or_b32_sdwa v0, v2, v3 dst_sel:DWORD dst_unused:UNUSED_PAD src0_sel:BYTE_0 src1_sel:DWORD
	v_or_b32_sdwa v1, v4, v5 dst_sel:WORD_1 dst_unused:UNUSED_PAD src0_sel:BYTE_0 src1_sel:DWORD
	v_or_b32_sdwa v0, v0, v1 dst_sel:DWORD dst_unused:UNUSED_PAD src0_sel:WORD_0 src1_sel:DWORD
	v_or_b32_sdwa v1, v6, v7 dst_sel:DWORD dst_unused:UNUSED_PAD src0_sel:BYTE_0 src1_sel:DWORD
	v_or_b32_sdwa v2, v8, v9 dst_sel:WORD_1 dst_unused:UNUSED_PAD src0_sel:BYTE_0 src1_sel:DWORD
	v_or_b32_sdwa v1, v1, v2 dst_sel:DWORD dst_unused:UNUSED_PAD src0_sel:WORD_0 src1_sel:DWORD
	;; [unrolled: 3-line block ×4, first 2 shown]
	buffer_store_dwordx4 v[0:3], v36, s[0:3], 16 offen
	;;#ASMSTART
	s_nop 0
	;;#ASMEND
	s_endpgm
	.section	.rodata,"a",@progbits
	.p2align	6, 0x0
	.amdhsa_kernel _ZN5aiter37dynamic_per_group_scaled_quant_kernelItaLi32ELi32ELb1ELi64ELb0EEEvPT0_PfPKT_PKfliilPKii
		.amdhsa_group_segment_fixed_size 0
		.amdhsa_private_segment_fixed_size 0
		.amdhsa_kernarg_size 68
		.amdhsa_user_sgpr_count 6
		.amdhsa_user_sgpr_private_segment_buffer 1
		.amdhsa_user_sgpr_dispatch_ptr 0
		.amdhsa_user_sgpr_queue_ptr 0
		.amdhsa_user_sgpr_kernarg_segment_ptr 1
		.amdhsa_user_sgpr_dispatch_id 0
		.amdhsa_user_sgpr_flat_scratch_init 0
		.amdhsa_user_sgpr_kernarg_preload_length 0
		.amdhsa_user_sgpr_kernarg_preload_offset 0
		.amdhsa_user_sgpr_private_segment_size 0
		.amdhsa_uses_dynamic_stack 0
		.amdhsa_system_sgpr_private_segment_wavefront_offset 0
		.amdhsa_system_sgpr_workgroup_id_x 1
		.amdhsa_system_sgpr_workgroup_id_y 0
		.amdhsa_system_sgpr_workgroup_id_z 0
		.amdhsa_system_sgpr_workgroup_info 0
		.amdhsa_system_vgpr_workitem_id 0
		.amdhsa_next_free_vgpr 39
		.amdhsa_next_free_sgpr 18
		.amdhsa_accum_offset 40
		.amdhsa_reserve_vcc 1
		.amdhsa_reserve_flat_scratch 0
		.amdhsa_float_round_mode_32 0
		.amdhsa_float_round_mode_16_64 0
		.amdhsa_float_denorm_mode_32 3
		.amdhsa_float_denorm_mode_16_64 3
		.amdhsa_dx10_clamp 1
		.amdhsa_ieee_mode 1
		.amdhsa_fp16_overflow 0
		.amdhsa_tg_split 0
		.amdhsa_exception_fp_ieee_invalid_op 0
		.amdhsa_exception_fp_denorm_src 0
		.amdhsa_exception_fp_ieee_div_zero 0
		.amdhsa_exception_fp_ieee_overflow 0
		.amdhsa_exception_fp_ieee_underflow 0
		.amdhsa_exception_fp_ieee_inexact 0
		.amdhsa_exception_int_div_zero 0
	.end_amdhsa_kernel
	.section	.text._ZN5aiter37dynamic_per_group_scaled_quant_kernelItaLi32ELi32ELb1ELi64ELb0EEEvPT0_PfPKT_PKfliilPKii,"axG",@progbits,_ZN5aiter37dynamic_per_group_scaled_quant_kernelItaLi32ELi32ELb1ELi64ELb0EEEvPT0_PfPKT_PKfliilPKii,comdat
.Lfunc_end13:
	.size	_ZN5aiter37dynamic_per_group_scaled_quant_kernelItaLi32ELi32ELb1ELi64ELb0EEEvPT0_PfPKT_PKfliilPKii, .Lfunc_end13-_ZN5aiter37dynamic_per_group_scaled_quant_kernelItaLi32ELi32ELb1ELi64ELb0EEEvPT0_PfPKT_PKfliilPKii
                                        ; -- End function
	.section	.AMDGPU.csdata,"",@progbits
; Kernel info:
; codeLenInByte = 2276
; NumSgprs: 22
; NumVgprs: 39
; NumAgprs: 0
; TotalNumVgprs: 39
; ScratchSize: 0
; MemoryBound: 0
; FloatMode: 240
; IeeeMode: 1
; LDSByteSize: 0 bytes/workgroup (compile time only)
; SGPRBlocks: 2
; VGPRBlocks: 4
; NumSGPRsForWavesPerEU: 22
; NumVGPRsForWavesPerEU: 39
; AccumOffset: 40
; Occupancy: 8
; WaveLimiterHint : 0
; COMPUTE_PGM_RSRC2:SCRATCH_EN: 0
; COMPUTE_PGM_RSRC2:USER_SGPR: 6
; COMPUTE_PGM_RSRC2:TRAP_HANDLER: 0
; COMPUTE_PGM_RSRC2:TGID_X_EN: 1
; COMPUTE_PGM_RSRC2:TGID_Y_EN: 0
; COMPUTE_PGM_RSRC2:TGID_Z_EN: 0
; COMPUTE_PGM_RSRC2:TIDIG_COMP_CNT: 0
; COMPUTE_PGM_RSRC3_GFX90A:ACCUM_OFFSET: 9
; COMPUTE_PGM_RSRC3_GFX90A:TG_SPLIT: 0
	.section	.text._ZN5aiter37dynamic_per_group_scaled_quant_kernelIDF16_DB8_Li32ELi32ELb0ELi64ELb0EEEvPT0_PfPKT_PKfliilPKii,"axG",@progbits,_ZN5aiter37dynamic_per_group_scaled_quant_kernelIDF16_DB8_Li32ELi32ELb0ELi64ELb0EEEvPT0_PfPKT_PKfliilPKii,comdat
	.protected	_ZN5aiter37dynamic_per_group_scaled_quant_kernelIDF16_DB8_Li32ELi32ELb0ELi64ELb0EEEvPT0_PfPKT_PKfliilPKii ; -- Begin function _ZN5aiter37dynamic_per_group_scaled_quant_kernelIDF16_DB8_Li32ELi32ELb0ELi64ELb0EEEvPT0_PfPKT_PKfliilPKii
	.globl	_ZN5aiter37dynamic_per_group_scaled_quant_kernelIDF16_DB8_Li32ELi32ELb0ELi64ELb0EEEvPT0_PfPKT_PKfliilPKii
	.p2align	8
	.type	_ZN5aiter37dynamic_per_group_scaled_quant_kernelIDF16_DB8_Li32ELi32ELb0ELi64ELb0EEEvPT0_PfPKT_PKfliilPKii,@function
_ZN5aiter37dynamic_per_group_scaled_quant_kernelIDF16_DB8_Li32ELi32ELb0ELi64ELb0EEEvPT0_PfPKT_PKfliilPKii: ; @_ZN5aiter37dynamic_per_group_scaled_quant_kernelIDF16_DB8_Li32ELi32ELb0ELi64ELb0EEEvPT0_PfPKT_PKfliilPKii
; %bb.0:
	s_load_dwordx2 s[0:1], s[4:5], 0x38
	s_waitcnt lgkmcnt(0)
	s_cmp_eq_u64 s[0:1], 0
	s_cbranch_scc1 .LBB14_2
; %bb.1:
	s_load_dword s2, s[4:5], 0x40
	s_load_dword s3, s[0:1], 0x0
	s_waitcnt lgkmcnt(0)
	s_mul_hi_i32 s9, s3, s2
	s_mul_i32 s8, s3, s2
	s_branch .LBB14_3
.LBB14_2:
	s_load_dwordx2 s[8:9], s[4:5], 0x20
.LBB14_3:
	s_load_dwordx2 s[2:3], s[4:5], 0x28
	s_mov_b32 s7, 0
	s_lshl_b64 s[0:1], s[6:7], 6
	v_or_b32_e32 v8, s0, v0
	v_mov_b32_e32 v9, s1
	s_waitcnt lgkmcnt(0)
	s_ashr_i32 s6, s2, 31
	s_lshr_b32 s6, s6, 27
	s_add_i32 s2, s2, s6
	s_ashr_i32 s10, s2, 5
	s_ashr_i32 s11, s10, 31
	s_or_b64 s[0:1], s[0:1], s[10:11]
	s_mov_b32 s0, s7
	s_cmp_lg_u64 s[0:1], 0
	s_cselect_b64 s[0:1], -1, 0
                                        ; implicit-def: $vgpr0_vgpr1
	s_and_saveexec_b64 s[6:7], s[0:1]
	s_xor_b64 s[6:7], exec, s[6:7]
	s_cbranch_execnz .LBB14_7
; %bb.4:
	s_andn2_saveexec_b64 s[0:1], s[6:7]
	s_cbranch_execnz .LBB14_8
.LBB14_5:
	s_or_b64 exec, exec, s[0:1]
	v_cmp_gt_i64_e32 vcc, s[8:9], v[0:1]
	s_and_saveexec_b64 s[0:1], vcc
	s_cbranch_execnz .LBB14_9
.LBB14_6:
	s_endpgm
.LBB14_7:
	s_add_u32 s0, s10, s11
	s_mov_b32 s12, s11
	s_mov_b32 s13, s11
	s_addc_u32 s1, s11, s11
	s_xor_b64 s[14:15], s[0:1], s[12:13]
	v_cvt_f32_u32_e32 v0, s14
	v_cvt_f32_u32_e32 v1, s15
	s_sub_u32 s0, 0, s14
	s_subb_u32 s1, 0, s15
	v_madmk_f32 v0, v1, 0x4f800000, v0
	v_rcp_f32_e32 v0, v0
	v_mul_f32_e32 v0, 0x5f7ffffc, v0
	v_mul_f32_e32 v1, 0x2f800000, v0
	v_trunc_f32_e32 v1, v1
	v_madmk_f32 v0, v1, 0xcf800000, v0
	v_cvt_u32_f32_e32 v1, v1
	v_cvt_u32_f32_e32 v0, v0
	v_mul_lo_u32 v2, s0, v1
	v_mul_hi_u32 v4, s0, v0
	v_mul_lo_u32 v3, s1, v0
	v_add_u32_e32 v2, v4, v2
	v_mul_lo_u32 v5, s0, v0
	v_add_u32_e32 v2, v2, v3
	v_mul_lo_u32 v4, v0, v2
	v_mul_hi_u32 v6, v0, v5
	v_mul_hi_u32 v3, v0, v2
	v_add_co_u32_e32 v4, vcc, v6, v4
	v_addc_co_u32_e32 v3, vcc, 0, v3, vcc
	v_mul_hi_u32 v7, v1, v5
	v_mul_lo_u32 v5, v1, v5
	v_add_co_u32_e32 v4, vcc, v4, v5
	v_mul_hi_u32 v6, v1, v2
	v_addc_co_u32_e32 v3, vcc, v3, v7, vcc
	v_addc_co_u32_e32 v4, vcc, 0, v6, vcc
	v_mul_lo_u32 v2, v1, v2
	v_add_co_u32_e32 v2, vcc, v3, v2
	v_addc_co_u32_e32 v3, vcc, 0, v4, vcc
	v_add_co_u32_e32 v0, vcc, v0, v2
	v_addc_co_u32_e32 v1, vcc, v1, v3, vcc
	v_mul_lo_u32 v2, s0, v1
	v_mul_hi_u32 v3, s0, v0
	v_add_u32_e32 v2, v3, v2
	v_mul_lo_u32 v3, s1, v0
	v_add_u32_e32 v2, v2, v3
	v_mul_lo_u32 v4, s0, v0
	v_mul_hi_u32 v5, v1, v4
	v_mul_lo_u32 v6, v1, v4
	v_mul_lo_u32 v10, v0, v2
	v_mul_hi_u32 v4, v0, v4
	v_mul_hi_u32 v7, v0, v2
	v_add_co_u32_e32 v4, vcc, v4, v10
	v_addc_co_u32_e32 v7, vcc, 0, v7, vcc
	v_add_co_u32_e32 v4, vcc, v4, v6
	v_mul_hi_u32 v3, v1, v2
	v_addc_co_u32_e32 v4, vcc, v7, v5, vcc
	v_addc_co_u32_e32 v3, vcc, 0, v3, vcc
	v_mul_lo_u32 v2, v1, v2
	v_add_co_u32_e32 v2, vcc, v4, v2
	v_addc_co_u32_e32 v3, vcc, 0, v3, vcc
	v_add_co_u32_e32 v2, vcc, v0, v2
	v_addc_co_u32_e32 v3, vcc, v1, v3, vcc
	v_mad_u64_u32 v[0:1], s[0:1], v8, v3, 0
	v_mul_hi_u32 v4, v8, v2
	v_add_co_u32_e32 v4, vcc, v4, v0
	v_addc_co_u32_e32 v5, vcc, 0, v1, vcc
	v_mad_u64_u32 v[0:1], s[0:1], v9, v3, 0
	v_mad_u64_u32 v[2:3], s[0:1], v9, v2, 0
	v_add_co_u32_e32 v2, vcc, v4, v2
	v_addc_co_u32_e32 v2, vcc, v5, v3, vcc
	v_addc_co_u32_e32 v1, vcc, 0, v1, vcc
	v_add_co_u32_e32 v2, vcc, v2, v0
	v_addc_co_u32_e32 v3, vcc, 0, v1, vcc
	v_mul_lo_u32 v4, s15, v2
	v_mul_lo_u32 v5, s14, v3
	v_mad_u64_u32 v[0:1], s[0:1], s14, v2, 0
	v_add3_u32 v1, v1, v5, v4
	v_sub_u32_e32 v4, v9, v1
	v_mov_b32_e32 v5, s15
	v_sub_co_u32_e32 v0, vcc, v8, v0
	v_subb_co_u32_e64 v4, s[0:1], v4, v5, vcc
	v_subrev_co_u32_e64 v5, s[0:1], s14, v0
	v_subbrev_co_u32_e64 v4, s[0:1], 0, v4, s[0:1]
	v_cmp_le_u32_e64 s[0:1], s15, v4
	v_cndmask_b32_e64 v6, 0, -1, s[0:1]
	v_cmp_le_u32_e64 s[0:1], s14, v5
	v_cndmask_b32_e64 v5, 0, -1, s[0:1]
	v_cmp_eq_u32_e64 s[0:1], s15, v4
	v_cndmask_b32_e64 v4, v6, v5, s[0:1]
	v_add_co_u32_e64 v5, s[0:1], 2, v2
	v_addc_co_u32_e64 v6, s[0:1], 0, v3, s[0:1]
	v_add_co_u32_e64 v7, s[0:1], 1, v2
	v_addc_co_u32_e64 v10, s[0:1], 0, v3, s[0:1]
	v_subb_co_u32_e32 v1, vcc, v9, v1, vcc
	v_cmp_ne_u32_e64 s[0:1], 0, v4
	v_cmp_le_u32_e32 vcc, s15, v1
	v_cndmask_b32_e64 v4, v10, v6, s[0:1]
	v_cndmask_b32_e64 v6, 0, -1, vcc
	v_cmp_le_u32_e32 vcc, s14, v0
	v_cndmask_b32_e64 v0, 0, -1, vcc
	v_cmp_eq_u32_e32 vcc, s15, v1
	v_cndmask_b32_e32 v0, v6, v0, vcc
	v_cmp_ne_u32_e32 vcc, 0, v0
	v_cndmask_b32_e64 v1, v7, v5, s[0:1]
	v_cndmask_b32_e32 v0, v3, v4, vcc
	v_cndmask_b32_e32 v1, v2, v1, vcc
	v_xor_b32_e32 v2, s13, v0
	v_xor_b32_e32 v0, s12, v1
	v_mov_b32_e32 v1, s11
	v_subrev_co_u32_e32 v0, vcc, s12, v0
	v_subb_co_u32_e32 v1, vcc, v2, v1, vcc
	s_andn2_saveexec_b64 s[0:1], s[6:7]
	s_cbranch_execz .LBB14_5
.LBB14_8:
	v_cvt_f32_u32_e32 v0, s10
	s_sub_i32 s2, 0, s10
	v_rcp_iflag_f32_e32 v0, v0
	v_mul_f32_e32 v0, 0x4f7ffffe, v0
	v_cvt_u32_f32_e32 v0, v0
	v_mul_lo_u32 v1, s2, v0
	v_mul_hi_u32 v1, v0, v1
	v_add_u32_e32 v0, v0, v1
	v_mul_hi_u32 v0, v8, v0
	v_mul_lo_u32 v1, v0, s10
	v_sub_u32_e32 v1, v8, v1
	v_add_u32_e32 v2, 1, v0
	v_subrev_u32_e32 v3, s10, v1
	v_cmp_le_u32_e32 vcc, s10, v1
	v_cndmask_b32_e32 v1, v1, v3, vcc
	v_cndmask_b32_e32 v0, v0, v2, vcc
	v_add_u32_e32 v2, 1, v0
	v_cmp_le_u32_e32 vcc, s10, v1
	v_cndmask_b32_e32 v0, v0, v2, vcc
	v_mov_b32_e32 v1, 0
	s_or_b64 exec, exec, s[0:1]
	v_cmp_gt_i64_e32 vcc, s[8:9], v[0:1]
	s_and_saveexec_b64 s[0:1], vcc
	s_cbranch_execz .LBB14_6
.LBB14_9:
	s_load_dwordx2 s[0:1], s[4:5], 0x10
	s_ashr_i32 s2, s3, 31
	v_mul_lo_u32 v2, v0, s10
	v_mul_lo_u32 v3, v1, s3
	;; [unrolled: 1-line block ×3, first 2 shown]
	v_mad_u64_u32 v[0:1], s[2:3], v0, s3, 0
	v_add3_u32 v1, v1, v4, v3
	v_sub_u32_e32 v2, v8, v2
	v_lshlrev_b64 v[0:1], 1, v[0:1]
	v_lshlrev_b32_e32 v2, 5, v2
	v_mov_b32_e32 v3, 0
	s_waitcnt lgkmcnt(0)
	v_mov_b32_e32 v4, s1
	v_add_co_u32_e32 v5, vcc, s0, v0
	v_addc_co_u32_e32 v4, vcc, v4, v1, vcc
	v_lshlrev_b64 v[0:1], 1, v[2:3]
	v_add_co_u32_e32 v18, vcc, v5, v0
	v_addc_co_u32_e32 v19, vcc, v4, v1, vcc
	global_load_dwordx4 v[10:13], v[18:19], off
	global_load_dwordx4 v[14:17], v[18:19], off offset:16
	global_load_dwordx4 v[4:7], v[18:19], off offset:32
	;; [unrolled: 1-line block ×3, first 2 shown]
	s_load_dwordx4 s[0:3], s[4:5], 0x0
	s_load_dword s6, s[4:5], 0x30
	s_mov_b32 s4, 0x2edbe6ff
	v_lshlrev_b64 v[18:19], 2, v[8:9]
	v_lshlrev_b32_e32 v28, 5, v8
	s_waitcnt lgkmcnt(0)
	v_mov_b32_e32 v9, s3
	v_add_co_u32_e32 v8, vcc, s2, v18
	v_addc_co_u32_e32 v9, vcc, v9, v19, vcc
	v_mov_b32_e32 v29, 0xc3e00000
	v_mov_b32_e32 v30, 0x43e00000
	s_mov_b32 s2, s6
	s_mov_b32 s6, 0x1000504
	s_and_b32 s1, s1, 0xffff
	s_mov_b32 s3, 0x20000
	s_waitcnt vmcnt(3)
	v_cvt_f32_f16_e64 v26, |v10|
	v_cvt_f32_f16_sdwa v27, |v10| dst_sel:DWORD dst_unused:UNUSED_PAD src0_sel:WORD_1
	v_cvt_f32_f16_e64 v31, |v11|
	v_cvt_f32_f16_sdwa v32, |v11| dst_sel:DWORD dst_unused:UNUSED_PAD src0_sel:WORD_1
	;; [unrolled: 2-line block ×4, first 2 shown]
	s_waitcnt vmcnt(2)
	v_cvt_f32_f16_e64 v37, |v14|
	v_cvt_f32_f16_sdwa v38, |v14| dst_sel:DWORD dst_unused:UNUSED_PAD src0_sel:WORD_1
	v_max3_f32 v26, v26, s4, v27
	v_cvt_f32_f16_e64 v39, |v15|
	v_cvt_f32_f16_sdwa v40, |v15| dst_sel:DWORD dst_unused:UNUSED_PAD src0_sel:WORD_1
	v_max3_f32 v26, v26, v31, v32
	v_cvt_f32_f16_e64 v41, |v16|
	v_cvt_f32_f16_sdwa v42, |v16| dst_sel:DWORD dst_unused:UNUSED_PAD src0_sel:WORD_1
	v_max3_f32 v26, v26, v33, v34
	v_cvt_f32_f16_e64 v43, |v17|
	v_cvt_f32_f16_sdwa v44, |v17| dst_sel:DWORD dst_unused:UNUSED_PAD src0_sel:WORD_1
	v_max3_f32 v26, v26, v35, v36
	s_waitcnt vmcnt(1)
	v_cvt_f32_f16_e64 v45, |v4|
	v_cvt_f32_f16_sdwa v46, |v4| dst_sel:DWORD dst_unused:UNUSED_PAD src0_sel:WORD_1
	v_max3_f32 v26, v26, v37, v38
	v_cvt_f32_f16_e64 v47, |v5|
	v_cvt_f32_f16_sdwa v48, |v5| dst_sel:DWORD dst_unused:UNUSED_PAD src0_sel:WORD_1
	v_max3_f32 v26, v26, v39, v40
	v_cvt_f32_f16_e64 v49, |v6|
	v_cvt_f32_f16_sdwa v50, |v6| dst_sel:DWORD dst_unused:UNUSED_PAD src0_sel:WORD_1
	v_max3_f32 v26, v26, v41, v42
	v_cvt_f32_f16_e64 v51, |v7|
	v_cvt_f32_f16_sdwa v52, |v7| dst_sel:DWORD dst_unused:UNUSED_PAD src0_sel:WORD_1
	v_max3_f32 v26, v26, v43, v44
	;; [unrolled: 13-line block ×3, first 2 shown]
	v_max3_f32 v26, v26, v53, v54
	v_max3_f32 v26, v26, v55, v56
	;; [unrolled: 1-line block ×4, first 2 shown]
	v_mul_f32_e32 v26, 0x3b124925, v26
	v_div_scale_f32 v27, s[4:5], v26, v26, 1.0
	v_rcp_f32_e32 v31, v27
	global_store_dword v[8:9], v26, off
	v_div_scale_f32 v8, vcc, 1.0, v26, 1.0
	v_fma_f32 v9, -v27, v31, 1.0
	v_fmac_f32_e32 v31, v9, v31
	v_mul_f32_e32 v9, v8, v31
	v_fma_f32 v32, -v27, v9, v8
	v_fmac_f32_e32 v9, v32, v31
	v_fma_f32 v8, -v27, v9, v8
	v_div_fmas_f32 v8, v8, v31, v9
	v_div_fixup_f32 v26, v8, v26, 1.0
	v_cvt_f32_f16_e32 v18, v10
	v_cvt_f32_f16_sdwa v19, v10 dst_sel:DWORD dst_unused:UNUSED_PAD src0_sel:WORD_1
	v_mov_b32_e32 v27, v26
	;;#ASMSTART
	v_pk_mul_f32 v[8:9], v[18:19], v[26:27]
	;;#ASMEND
	;;#ASMSTART
	v_med3_f32 v8, v8, v29, v30
v_med3_f32 v9, v9, v29, v30
v_cvt_pk_fp8_f32 v18, v8, v9
	;;#ASMEND
	v_cvt_f32_f16_e32 v10, v11
	v_cvt_f32_f16_sdwa v11, v11 dst_sel:DWORD dst_unused:UNUSED_PAD src0_sel:WORD_1
	;;#ASMSTART
	v_pk_mul_f32 v[8:9], v[10:11], v[26:27]
	;;#ASMEND
	;;#ASMSTART
	v_med3_f32 v8, v8, v29, v30
v_med3_f32 v9, v9, v29, v30
v_cvt_pk_fp8_f32 v10, v8, v9
	;;#ASMEND
	s_mov_b32 s4, 0x5040100
	v_perm_b32 v8, v10, v18, s4
	s_mov_b32 s5, 0x1060504
	v_cvt_f32_f16_e32 v20, v12
	v_cvt_f32_f16_sdwa v21, v12 dst_sel:DWORD dst_unused:UNUSED_PAD src0_sel:WORD_1
	v_perm_b32 v8, v8, v10, s5
	;;#ASMSTART
	v_pk_mul_f32 v[10:11], v[20:21], v[26:27]
	;;#ASMEND
	v_mov_b32_e32 v9, v11
	;;#ASMSTART
	v_med3_f32 v10, v10, v29, v30
v_med3_f32 v9, v9, v29, v30
v_cvt_pk_fp8_f32 v18, v10, v9
	;;#ASMEND
	v_cvt_f32_f16_e32 v12, v13
	v_cvt_f32_f16_sdwa v13, v13 dst_sel:DWORD dst_unused:UNUSED_PAD src0_sel:WORD_1
	;;#ASMSTART
	v_pk_mul_f32 v[10:11], v[12:13], v[26:27]
	;;#ASMEND
	v_mov_b32_e32 v9, v11
	;;#ASMSTART
	v_med3_f32 v10, v10, v29, v30
v_med3_f32 v9, v9, v29, v30
v_cvt_pk_fp8_f32 v11, v10, v9
	;;#ASMEND
	v_cvt_f32_f16_e32 v22, v14
	v_cvt_f32_f16_sdwa v23, v14 dst_sel:DWORD dst_unused:UNUSED_PAD src0_sel:WORD_1
	v_perm_b32 v9, v18, v11, s6
	;;#ASMSTART
	v_pk_mul_f32 v[10:11], v[22:23], v[26:27]
	;;#ASMEND
	;;#ASMSTART
	v_med3_f32 v10, v10, v29, v30
v_med3_f32 v11, v11, v29, v30
v_cvt_pk_fp8_f32 v12, v10, v11
	;;#ASMEND
	v_cvt_f32_f16_e32 v14, v15
	v_cvt_f32_f16_sdwa v15, v15 dst_sel:DWORD dst_unused:UNUSED_PAD src0_sel:WORD_1
	;;#ASMSTART
	v_pk_mul_f32 v[10:11], v[14:15], v[26:27]
	;;#ASMEND
	;;#ASMSTART
	v_med3_f32 v10, v10, v29, v30
v_med3_f32 v11, v11, v29, v30
v_cvt_pk_fp8_f32 v13, v10, v11
	;;#ASMEND
	v_cvt_f32_f16_e32 v24, v16
	v_cvt_f32_f16_sdwa v25, v16 dst_sel:DWORD dst_unused:UNUSED_PAD src0_sel:WORD_1
	v_perm_b32 v10, v12, v13, s6
	;;#ASMSTART
	v_pk_mul_f32 v[12:13], v[24:25], v[26:27]
	;;#ASMEND
	v_mov_b32_e32 v11, v13
	;;#ASMSTART
	v_med3_f32 v12, v12, v29, v30
v_med3_f32 v11, v11, v29, v30
v_cvt_pk_fp8_f32 v14, v12, v11
	;;#ASMEND
	v_cvt_f32_f16_e32 v16, v17
	v_cvt_f32_f16_sdwa v17, v17 dst_sel:DWORD dst_unused:UNUSED_PAD src0_sel:WORD_1
	;;#ASMSTART
	v_pk_mul_f32 v[12:13], v[16:17], v[26:27]
	;;#ASMEND
	v_mov_b32_e32 v11, v13
	;;#ASMSTART
	v_med3_f32 v12, v12, v29, v30
v_med3_f32 v11, v11, v29, v30
v_cvt_pk_fp8_f32 v13, v12, v11
	;;#ASMEND
	v_perm_b32 v11, v14, v13, s6
	buffer_store_dwordx4 v[8:11], v28, s[0:3], 0 offen
	;;#ASMSTART
	s_nop 0
	;;#ASMEND
	v_cvt_f32_f16_e32 v12, v0
	v_cvt_f32_f16_e32 v8, v4
	v_cvt_f32_f16_sdwa v9, v4 dst_sel:DWORD dst_unused:UNUSED_PAD src0_sel:WORD_1
	v_cvt_f32_f16_sdwa v13, v0 dst_sel:DWORD dst_unused:UNUSED_PAD src0_sel:WORD_1
	v_cvt_f32_f16_e32 v14, v1
	v_cvt_f32_f16_sdwa v15, v1 dst_sel:DWORD dst_unused:UNUSED_PAD src0_sel:WORD_1
	;;#ASMSTART
	v_pk_mul_f32 v[0:1], v[8:9], v[26:27]
	;;#ASMEND
	v_cvt_f32_f16_e32 v16, v2
	v_cvt_f32_f16_sdwa v17, v2 dst_sel:DWORD dst_unused:UNUSED_PAD src0_sel:WORD_1
	;;#ASMSTART
	v_med3_f32 v0, v0, v29, v30
v_med3_f32 v1, v1, v29, v30
v_cvt_pk_fp8_f32 v2, v0, v1
	;;#ASMEND
	v_cvt_f32_f16_e32 v4, v5
	v_cvt_f32_f16_sdwa v5, v5 dst_sel:DWORD dst_unused:UNUSED_PAD src0_sel:WORD_1
	;;#ASMSTART
	v_pk_mul_f32 v[0:1], v[4:5], v[26:27]
	;;#ASMEND
	v_cvt_f32_f16_e32 v18, v3
	v_cvt_f32_f16_sdwa v19, v3 dst_sel:DWORD dst_unused:UNUSED_PAD src0_sel:WORD_1
	;;#ASMSTART
	v_med3_f32 v0, v0, v29, v30
v_med3_f32 v1, v1, v29, v30
v_cvt_pk_fp8_f32 v3, v0, v1
	;;#ASMEND
	v_perm_b32 v0, v3, v2, s4
	v_cvt_f32_f16_e32 v10, v6
	v_cvt_f32_f16_sdwa v11, v6 dst_sel:DWORD dst_unused:UNUSED_PAD src0_sel:WORD_1
	v_perm_b32 v0, v0, v3, s5
	;;#ASMSTART
	v_pk_mul_f32 v[2:3], v[10:11], v[26:27]
	;;#ASMEND
	v_mov_b32_e32 v1, v3
	;;#ASMSTART
	v_med3_f32 v2, v2, v29, v30
v_med3_f32 v1, v1, v29, v30
v_cvt_pk_fp8_f32 v4, v2, v1
	;;#ASMEND
	v_cvt_f32_f16_e32 v6, v7
	v_cvt_f32_f16_sdwa v7, v7 dst_sel:DWORD dst_unused:UNUSED_PAD src0_sel:WORD_1
	;;#ASMSTART
	v_pk_mul_f32 v[2:3], v[6:7], v[26:27]
	;;#ASMEND
	v_mov_b32_e32 v1, v3
	;;#ASMSTART
	v_med3_f32 v2, v2, v29, v30
v_med3_f32 v1, v1, v29, v30
v_cvt_pk_fp8_f32 v3, v2, v1
	;;#ASMEND
	v_perm_b32 v1, v4, v3, s6
	;;#ASMSTART
	v_pk_mul_f32 v[2:3], v[12:13], v[26:27]
	;;#ASMEND
	;;#ASMSTART
	v_med3_f32 v2, v2, v29, v30
v_med3_f32 v3, v3, v29, v30
v_cvt_pk_fp8_f32 v4, v2, v3
	;;#ASMEND
	;;#ASMSTART
	v_pk_mul_f32 v[2:3], v[14:15], v[26:27]
	;;#ASMEND
	;;#ASMSTART
	v_med3_f32 v2, v2, v29, v30
v_med3_f32 v3, v3, v29, v30
v_cvt_pk_fp8_f32 v5, v2, v3
	;;#ASMEND
	v_perm_b32 v2, v4, v5, s6
	;;#ASMSTART
	v_pk_mul_f32 v[4:5], v[16:17], v[26:27]
	;;#ASMEND
	v_mov_b32_e32 v3, v5
	;;#ASMSTART
	v_med3_f32 v4, v4, v29, v30
v_med3_f32 v3, v3, v29, v30
v_cvt_pk_fp8_f32 v6, v4, v3
	;;#ASMEND
	;;#ASMSTART
	v_pk_mul_f32 v[4:5], v[18:19], v[26:27]
	;;#ASMEND
	v_mov_b32_e32 v3, v5
	;;#ASMSTART
	v_med3_f32 v4, v4, v29, v30
v_med3_f32 v3, v3, v29, v30
v_cvt_pk_fp8_f32 v5, v4, v3
	;;#ASMEND
	v_perm_b32 v3, v6, v5, s6
	buffer_store_dwordx4 v[0:3], v28, s[0:3], 16 offen
	;;#ASMSTART
	s_nop 0
	;;#ASMEND
	s_endpgm
	.section	.rodata,"a",@progbits
	.p2align	6, 0x0
	.amdhsa_kernel _ZN5aiter37dynamic_per_group_scaled_quant_kernelIDF16_DB8_Li32ELi32ELb0ELi64ELb0EEEvPT0_PfPKT_PKfliilPKii
		.amdhsa_group_segment_fixed_size 0
		.amdhsa_private_segment_fixed_size 0
		.amdhsa_kernarg_size 68
		.amdhsa_user_sgpr_count 6
		.amdhsa_user_sgpr_private_segment_buffer 1
		.amdhsa_user_sgpr_dispatch_ptr 0
		.amdhsa_user_sgpr_queue_ptr 0
		.amdhsa_user_sgpr_kernarg_segment_ptr 1
		.amdhsa_user_sgpr_dispatch_id 0
		.amdhsa_user_sgpr_flat_scratch_init 0
		.amdhsa_user_sgpr_kernarg_preload_length 0
		.amdhsa_user_sgpr_kernarg_preload_offset 0
		.amdhsa_user_sgpr_private_segment_size 0
		.amdhsa_uses_dynamic_stack 0
		.amdhsa_system_sgpr_private_segment_wavefront_offset 0
		.amdhsa_system_sgpr_workgroup_id_x 1
		.amdhsa_system_sgpr_workgroup_id_y 0
		.amdhsa_system_sgpr_workgroup_id_z 0
		.amdhsa_system_sgpr_workgroup_info 0
		.amdhsa_system_vgpr_workitem_id 0
		.amdhsa_next_free_vgpr 60
		.amdhsa_next_free_sgpr 16
		.amdhsa_accum_offset 60
		.amdhsa_reserve_vcc 1
		.amdhsa_reserve_flat_scratch 0
		.amdhsa_float_round_mode_32 0
		.amdhsa_float_round_mode_16_64 0
		.amdhsa_float_denorm_mode_32 3
		.amdhsa_float_denorm_mode_16_64 3
		.amdhsa_dx10_clamp 1
		.amdhsa_ieee_mode 1
		.amdhsa_fp16_overflow 0
		.amdhsa_tg_split 0
		.amdhsa_exception_fp_ieee_invalid_op 0
		.amdhsa_exception_fp_denorm_src 0
		.amdhsa_exception_fp_ieee_div_zero 0
		.amdhsa_exception_fp_ieee_overflow 0
		.amdhsa_exception_fp_ieee_underflow 0
		.amdhsa_exception_fp_ieee_inexact 0
		.amdhsa_exception_int_div_zero 0
	.end_amdhsa_kernel
	.section	.text._ZN5aiter37dynamic_per_group_scaled_quant_kernelIDF16_DB8_Li32ELi32ELb0ELi64ELb0EEEvPT0_PfPKT_PKfliilPKii,"axG",@progbits,_ZN5aiter37dynamic_per_group_scaled_quant_kernelIDF16_DB8_Li32ELi32ELb0ELi64ELb0EEEvPT0_PfPKT_PKfliilPKii,comdat
.Lfunc_end14:
	.size	_ZN5aiter37dynamic_per_group_scaled_quant_kernelIDF16_DB8_Li32ELi32ELb0ELi64ELb0EEEvPT0_PfPKT_PKfliilPKii, .Lfunc_end14-_ZN5aiter37dynamic_per_group_scaled_quant_kernelIDF16_DB8_Li32ELi32ELb0ELi64ELb0EEEvPT0_PfPKT_PKfliilPKii
                                        ; -- End function
	.section	.AMDGPU.csdata,"",@progbits
; Kernel info:
; codeLenInByte = 2536
; NumSgprs: 20
; NumVgprs: 60
; NumAgprs: 0
; TotalNumVgprs: 60
; ScratchSize: 0
; MemoryBound: 0
; FloatMode: 240
; IeeeMode: 1
; LDSByteSize: 0 bytes/workgroup (compile time only)
; SGPRBlocks: 2
; VGPRBlocks: 7
; NumSGPRsForWavesPerEU: 20
; NumVGPRsForWavesPerEU: 60
; AccumOffset: 60
; Occupancy: 8
; WaveLimiterHint : 0
; COMPUTE_PGM_RSRC2:SCRATCH_EN: 0
; COMPUTE_PGM_RSRC2:USER_SGPR: 6
; COMPUTE_PGM_RSRC2:TRAP_HANDLER: 0
; COMPUTE_PGM_RSRC2:TGID_X_EN: 1
; COMPUTE_PGM_RSRC2:TGID_Y_EN: 0
; COMPUTE_PGM_RSRC2:TGID_Z_EN: 0
; COMPUTE_PGM_RSRC2:TIDIG_COMP_CNT: 0
; COMPUTE_PGM_RSRC3_GFX90A:ACCUM_OFFSET: 14
; COMPUTE_PGM_RSRC3_GFX90A:TG_SPLIT: 0
	.section	.text._ZN5aiter37dynamic_per_group_scaled_quant_kernelItDB8_Li32ELi32ELb0ELi64ELb0EEEvPT0_PfPKT_PKfliilPKii,"axG",@progbits,_ZN5aiter37dynamic_per_group_scaled_quant_kernelItDB8_Li32ELi32ELb0ELi64ELb0EEEvPT0_PfPKT_PKfliilPKii,comdat
	.protected	_ZN5aiter37dynamic_per_group_scaled_quant_kernelItDB8_Li32ELi32ELb0ELi64ELb0EEEvPT0_PfPKT_PKfliilPKii ; -- Begin function _ZN5aiter37dynamic_per_group_scaled_quant_kernelItDB8_Li32ELi32ELb0ELi64ELb0EEEvPT0_PfPKT_PKfliilPKii
	.globl	_ZN5aiter37dynamic_per_group_scaled_quant_kernelItDB8_Li32ELi32ELb0ELi64ELb0EEEvPT0_PfPKT_PKfliilPKii
	.p2align	8
	.type	_ZN5aiter37dynamic_per_group_scaled_quant_kernelItDB8_Li32ELi32ELb0ELi64ELb0EEEvPT0_PfPKT_PKfliilPKii,@function
_ZN5aiter37dynamic_per_group_scaled_quant_kernelItDB8_Li32ELi32ELb0ELi64ELb0EEEvPT0_PfPKT_PKfliilPKii: ; @_ZN5aiter37dynamic_per_group_scaled_quant_kernelItDB8_Li32ELi32ELb0ELi64ELb0EEEvPT0_PfPKT_PKfliilPKii
; %bb.0:
	s_load_dwordx2 s[0:1], s[4:5], 0x38
	s_waitcnt lgkmcnt(0)
	s_cmp_eq_u64 s[0:1], 0
	s_cbranch_scc1 .LBB15_2
; %bb.1:
	s_load_dword s2, s[4:5], 0x40
	s_load_dword s3, s[0:1], 0x0
	s_waitcnt lgkmcnt(0)
	s_mul_hi_i32 s9, s3, s2
	s_mul_i32 s8, s3, s2
	s_branch .LBB15_3
.LBB15_2:
	s_load_dwordx2 s[8:9], s[4:5], 0x20
.LBB15_3:
	s_load_dwordx2 s[2:3], s[4:5], 0x28
	s_mov_b32 s7, 0
	s_lshl_b64 s[0:1], s[6:7], 6
	v_or_b32_e32 v0, s0, v0
	v_mov_b32_e32 v1, s1
	s_waitcnt lgkmcnt(0)
	s_ashr_i32 s6, s2, 31
	s_lshr_b32 s6, s6, 27
	s_add_i32 s2, s2, s6
	s_ashr_i32 s10, s2, 5
	s_ashr_i32 s11, s10, 31
	s_or_b64 s[0:1], s[0:1], s[10:11]
	s_mov_b32 s0, s7
	s_cmp_lg_u64 s[0:1], 0
	s_cselect_b64 s[0:1], -1, 0
                                        ; implicit-def: $vgpr2_vgpr3
	s_and_saveexec_b64 s[6:7], s[0:1]
	s_xor_b64 s[6:7], exec, s[6:7]
	s_cbranch_execnz .LBB15_7
; %bb.4:
	s_andn2_saveexec_b64 s[0:1], s[6:7]
	s_cbranch_execnz .LBB15_8
.LBB15_5:
	s_or_b64 exec, exec, s[0:1]
	v_cmp_gt_i64_e32 vcc, s[8:9], v[2:3]
	s_and_saveexec_b64 s[0:1], vcc
	s_cbranch_execnz .LBB15_9
.LBB15_6:
	s_endpgm
.LBB15_7:
	s_add_u32 s0, s10, s11
	s_mov_b32 s12, s11
	s_mov_b32 s13, s11
	s_addc_u32 s1, s11, s11
	s_xor_b64 s[14:15], s[0:1], s[12:13]
	v_cvt_f32_u32_e32 v2, s14
	v_cvt_f32_u32_e32 v3, s15
	s_sub_u32 s0, 0, s14
	s_subb_u32 s1, 0, s15
	v_madmk_f32 v2, v3, 0x4f800000, v2
	v_rcp_f32_e32 v2, v2
	v_mul_f32_e32 v2, 0x5f7ffffc, v2
	v_mul_f32_e32 v3, 0x2f800000, v2
	v_trunc_f32_e32 v3, v3
	v_madmk_f32 v2, v3, 0xcf800000, v2
	v_cvt_u32_f32_e32 v3, v3
	v_cvt_u32_f32_e32 v2, v2
	v_mul_lo_u32 v4, s0, v3
	v_mul_hi_u32 v6, s0, v2
	v_mul_lo_u32 v5, s1, v2
	v_add_u32_e32 v4, v6, v4
	v_mul_lo_u32 v7, s0, v2
	v_add_u32_e32 v4, v4, v5
	v_mul_lo_u32 v6, v2, v4
	v_mul_hi_u32 v8, v2, v7
	v_mul_hi_u32 v5, v2, v4
	v_add_co_u32_e32 v6, vcc, v8, v6
	v_addc_co_u32_e32 v5, vcc, 0, v5, vcc
	v_mul_hi_u32 v9, v3, v7
	v_mul_lo_u32 v7, v3, v7
	v_add_co_u32_e32 v6, vcc, v6, v7
	v_mul_hi_u32 v8, v3, v4
	v_addc_co_u32_e32 v5, vcc, v5, v9, vcc
	v_addc_co_u32_e32 v6, vcc, 0, v8, vcc
	v_mul_lo_u32 v4, v3, v4
	v_add_co_u32_e32 v4, vcc, v5, v4
	v_addc_co_u32_e32 v5, vcc, 0, v6, vcc
	v_add_co_u32_e32 v2, vcc, v2, v4
	v_addc_co_u32_e32 v3, vcc, v3, v5, vcc
	v_mul_lo_u32 v4, s0, v3
	v_mul_hi_u32 v5, s0, v2
	v_add_u32_e32 v4, v5, v4
	v_mul_lo_u32 v5, s1, v2
	v_add_u32_e32 v4, v4, v5
	v_mul_lo_u32 v6, s0, v2
	v_mul_hi_u32 v7, v3, v6
	v_mul_lo_u32 v8, v3, v6
	v_mul_lo_u32 v10, v2, v4
	v_mul_hi_u32 v6, v2, v6
	v_mul_hi_u32 v9, v2, v4
	v_add_co_u32_e32 v6, vcc, v6, v10
	v_addc_co_u32_e32 v9, vcc, 0, v9, vcc
	v_add_co_u32_e32 v6, vcc, v6, v8
	v_mul_hi_u32 v5, v3, v4
	v_addc_co_u32_e32 v6, vcc, v9, v7, vcc
	v_addc_co_u32_e32 v5, vcc, 0, v5, vcc
	v_mul_lo_u32 v4, v3, v4
	v_add_co_u32_e32 v4, vcc, v6, v4
	v_addc_co_u32_e32 v5, vcc, 0, v5, vcc
	v_add_co_u32_e32 v4, vcc, v2, v4
	v_addc_co_u32_e32 v5, vcc, v3, v5, vcc
	v_mad_u64_u32 v[2:3], s[0:1], v0, v5, 0
	v_mul_hi_u32 v6, v0, v4
	v_add_co_u32_e32 v6, vcc, v6, v2
	v_addc_co_u32_e32 v7, vcc, 0, v3, vcc
	v_mad_u64_u32 v[2:3], s[0:1], v1, v5, 0
	v_mad_u64_u32 v[4:5], s[0:1], v1, v4, 0
	v_add_co_u32_e32 v4, vcc, v6, v4
	v_addc_co_u32_e32 v4, vcc, v7, v5, vcc
	v_addc_co_u32_e32 v3, vcc, 0, v3, vcc
	v_add_co_u32_e32 v4, vcc, v4, v2
	v_addc_co_u32_e32 v5, vcc, 0, v3, vcc
	v_mul_lo_u32 v6, s15, v4
	v_mul_lo_u32 v7, s14, v5
	v_mad_u64_u32 v[2:3], s[0:1], s14, v4, 0
	v_add3_u32 v3, v3, v7, v6
	v_sub_u32_e32 v6, v1, v3
	v_mov_b32_e32 v7, s15
	v_sub_co_u32_e32 v2, vcc, v0, v2
	v_subb_co_u32_e64 v6, s[0:1], v6, v7, vcc
	v_subrev_co_u32_e64 v7, s[0:1], s14, v2
	v_subbrev_co_u32_e64 v6, s[0:1], 0, v6, s[0:1]
	v_cmp_le_u32_e64 s[0:1], s15, v6
	v_cndmask_b32_e64 v8, 0, -1, s[0:1]
	v_cmp_le_u32_e64 s[0:1], s14, v7
	v_cndmask_b32_e64 v7, 0, -1, s[0:1]
	v_cmp_eq_u32_e64 s[0:1], s15, v6
	v_cndmask_b32_e64 v6, v8, v7, s[0:1]
	v_add_co_u32_e64 v7, s[0:1], 2, v4
	v_addc_co_u32_e64 v8, s[0:1], 0, v5, s[0:1]
	v_add_co_u32_e64 v9, s[0:1], 1, v4
	v_addc_co_u32_e64 v10, s[0:1], 0, v5, s[0:1]
	v_subb_co_u32_e32 v3, vcc, v1, v3, vcc
	v_cmp_ne_u32_e64 s[0:1], 0, v6
	v_cmp_le_u32_e32 vcc, s15, v3
	v_cndmask_b32_e64 v6, v10, v8, s[0:1]
	v_cndmask_b32_e64 v8, 0, -1, vcc
	v_cmp_le_u32_e32 vcc, s14, v2
	v_cndmask_b32_e64 v2, 0, -1, vcc
	v_cmp_eq_u32_e32 vcc, s15, v3
	v_cndmask_b32_e32 v2, v8, v2, vcc
	v_cmp_ne_u32_e32 vcc, 0, v2
	v_cndmask_b32_e64 v3, v9, v7, s[0:1]
	v_cndmask_b32_e32 v2, v5, v6, vcc
	v_cndmask_b32_e32 v3, v4, v3, vcc
	v_xor_b32_e32 v4, s13, v2
	v_xor_b32_e32 v2, s12, v3
	v_mov_b32_e32 v3, s11
	v_subrev_co_u32_e32 v2, vcc, s12, v2
	v_subb_co_u32_e32 v3, vcc, v4, v3, vcc
	s_andn2_saveexec_b64 s[0:1], s[6:7]
	s_cbranch_execz .LBB15_5
.LBB15_8:
	v_cvt_f32_u32_e32 v2, s10
	s_sub_i32 s2, 0, s10
	v_rcp_iflag_f32_e32 v2, v2
	v_mul_f32_e32 v2, 0x4f7ffffe, v2
	v_cvt_u32_f32_e32 v2, v2
	v_mul_lo_u32 v3, s2, v2
	v_mul_hi_u32 v3, v2, v3
	v_add_u32_e32 v2, v2, v3
	v_mul_hi_u32 v2, v0, v2
	v_mul_lo_u32 v3, v2, s10
	v_sub_u32_e32 v3, v0, v3
	v_add_u32_e32 v4, 1, v2
	v_subrev_u32_e32 v5, s10, v3
	v_cmp_le_u32_e32 vcc, s10, v3
	v_cndmask_b32_e32 v3, v3, v5, vcc
	v_cndmask_b32_e32 v2, v2, v4, vcc
	v_add_u32_e32 v4, 1, v2
	v_cmp_le_u32_e32 vcc, s10, v3
	v_cndmask_b32_e32 v2, v2, v4, vcc
	v_mov_b32_e32 v3, 0
	s_or_b64 exec, exec, s[0:1]
	v_cmp_gt_i64_e32 vcc, s[8:9], v[2:3]
	s_and_saveexec_b64 s[0:1], vcc
	s_cbranch_execz .LBB15_6
.LBB15_9:
	s_load_dwordx2 s[0:1], s[4:5], 0x10
	s_ashr_i32 s2, s3, 31
	v_mul_lo_u32 v4, v2, s10
	v_mul_lo_u32 v5, v3, s3
	;; [unrolled: 1-line block ×3, first 2 shown]
	v_mad_u64_u32 v[2:3], s[2:3], v2, s3, 0
	v_add3_u32 v3, v3, v6, v5
	v_sub_u32_e32 v4, v0, v4
	v_lshlrev_b64 v[2:3], 1, v[2:3]
	v_lshlrev_b32_e32 v4, 5, v4
	v_mov_b32_e32 v5, 0
	s_waitcnt lgkmcnt(0)
	v_mov_b32_e32 v6, s1
	v_add_co_u32_e32 v7, vcc, s0, v2
	v_addc_co_u32_e32 v6, vcc, v6, v3, vcc
	v_lshlrev_b64 v[2:3], 1, v[4:5]
	v_add_co_u32_e32 v18, vcc, v7, v2
	v_addc_co_u32_e32 v19, vcc, v6, v3, vcc
	global_load_dwordx4 v[2:5], v[18:19], off
	global_load_dwordx4 v[6:9], v[18:19], off offset:16
	global_load_dwordx4 v[10:13], v[18:19], off offset:32
	;; [unrolled: 1-line block ×3, first 2 shown]
	s_load_dwordx4 s[0:3], s[4:5], 0x0
	s_load_dword s6, s[4:5], 0x30
	v_lshlrev_b64 v[18:19], 2, v[0:1]
	v_lshlrev_b32_e32 v36, 5, v0
	s_mov_b32 s4, 0x2edbe6ff
	s_waitcnt lgkmcnt(0)
	v_mov_b32_e32 v1, s3
	v_add_co_u32_e32 v0, vcc, s2, v18
	v_addc_co_u32_e32 v1, vcc, v1, v19, vcc
	v_mov_b32_e32 v37, 0xc3e00000
	v_mov_b32_e32 v38, 0x43e00000
	s_mov_b32 s7, 0x5040100
	s_mov_b32 s8, 0x1060504
	;; [unrolled: 1-line block ×3, first 2 shown]
	s_and_b32 s1, s1, 0xffff
	s_mov_b32 s3, 0x20000
	s_mov_b32 s2, s6
	s_waitcnt vmcnt(3)
	v_cvt_f32_u32_sdwa v19, v2 dst_sel:DWORD dst_unused:UNUSED_PAD src0_sel:WORD_1
	v_cvt_f32_u32_sdwa v18, v2 dst_sel:DWORD dst_unused:UNUSED_PAD src0_sel:WORD_0
	v_cvt_f32_u32_sdwa v21, v3 dst_sel:DWORD dst_unused:UNUSED_PAD src0_sel:WORD_1
	v_cvt_f32_u32_sdwa v20, v3 dst_sel:DWORD dst_unused:UNUSED_PAD src0_sel:WORD_0
	v_cvt_f32_u32_sdwa v3, v4 dst_sel:DWORD dst_unused:UNUSED_PAD src0_sel:WORD_1
	v_cvt_f32_u32_sdwa v2, v4 dst_sel:DWORD dst_unused:UNUSED_PAD src0_sel:WORD_0
	v_cvt_f32_u32_sdwa v23, v5 dst_sel:DWORD dst_unused:UNUSED_PAD src0_sel:WORD_1
	v_cvt_f32_u32_sdwa v22, v5 dst_sel:DWORD dst_unused:UNUSED_PAD src0_sel:WORD_0
	s_waitcnt vmcnt(2)
	v_cvt_f32_u32_sdwa v5, v6 dst_sel:DWORD dst_unused:UNUSED_PAD src0_sel:WORD_1
	v_cvt_f32_u32_sdwa v4, v6 dst_sel:DWORD dst_unused:UNUSED_PAD src0_sel:WORD_0
	v_cvt_f32_u32_sdwa v25, v7 dst_sel:DWORD dst_unused:UNUSED_PAD src0_sel:WORD_1
	v_cvt_f32_u32_sdwa v24, v7 dst_sel:DWORD dst_unused:UNUSED_PAD src0_sel:WORD_0
	v_cvt_f32_u32_sdwa v7, v8 dst_sel:DWORD dst_unused:UNUSED_PAD src0_sel:WORD_1
	v_cvt_f32_u32_sdwa v6, v8 dst_sel:DWORD dst_unused:UNUSED_PAD src0_sel:WORD_0
	v_cvt_f32_u32_sdwa v27, v9 dst_sel:DWORD dst_unused:UNUSED_PAD src0_sel:WORD_1
	v_cvt_f32_u32_sdwa v26, v9 dst_sel:DWORD dst_unused:UNUSED_PAD src0_sel:WORD_0
	;; [unrolled: 9-line block ×3, first 2 shown]
	s_waitcnt vmcnt(0)
	v_cvt_f32_u32_sdwa v13, v14 dst_sel:DWORD dst_unused:UNUSED_PAD src0_sel:WORD_1
	v_cvt_f32_u32_sdwa v12, v14 dst_sel:DWORD dst_unused:UNUSED_PAD src0_sel:WORD_0
	v_cvt_f32_u32_sdwa v33, v15 dst_sel:DWORD dst_unused:UNUSED_PAD src0_sel:WORD_1
	v_cvt_f32_u32_sdwa v32, v15 dst_sel:DWORD dst_unused:UNUSED_PAD src0_sel:WORD_0
	;; [unrolled: 2-line block ×3, first 2 shown]
	v_max3_f32 v16, v18, s4, v19
	v_max3_f32 v16, v16, v20, v21
	v_max3_f32 v16, v16, v2, v3
	v_max3_f32 v16, v16, v22, v23
	v_max3_f32 v16, v16, v4, v5
	v_max3_f32 v16, v16, v24, v25
	v_max3_f32 v16, v16, v6, v7
	v_max3_f32 v16, v16, v26, v27
	v_max3_f32 v16, v16, v8, v9
	v_max3_f32 v16, v16, v28, v29
	v_max3_f32 v16, v16, v10, v11
	v_cvt_f32_u32_sdwa v35, v17 dst_sel:DWORD dst_unused:UNUSED_PAD src0_sel:WORD_1
	v_cvt_f32_u32_sdwa v34, v17 dst_sel:DWORD dst_unused:UNUSED_PAD src0_sel:WORD_0
	v_max3_f32 v16, v16, v30, v31
	v_max3_f32 v16, v16, v12, v13
	;; [unrolled: 1-line block ×5, first 2 shown]
	v_mul_f32_e32 v16, 0x3b124925, v16
	v_div_scale_f32 v17, s[4:5], v16, v16, 1.0
	v_rcp_f32_e32 v39, v17
	global_store_dword v[0:1], v16, off
	v_div_scale_f32 v0, vcc, 1.0, v16, 1.0
	v_fma_f32 v1, -v17, v39, 1.0
	v_fmac_f32_e32 v39, v1, v39
	v_mul_f32_e32 v1, v0, v39
	v_fma_f32 v40, -v17, v1, v0
	v_fmac_f32_e32 v1, v40, v39
	v_fma_f32 v0, -v17, v1, v0
	v_div_fmas_f32 v0, v0, v39, v1
	v_div_fixup_f32 v16, v0, v16, 1.0
	v_mov_b32_e32 v17, v16
	;;#ASMSTART
	v_pk_mul_f32 v[0:1], v[18:19], v[16:17]
	;;#ASMEND
	;;#ASMSTART
	v_med3_f32 v0, v0, v37, v38
v_med3_f32 v1, v1, v37, v38
v_cvt_pk_fp8_f32 v18, v0, v1
	;;#ASMEND
	;;#ASMSTART
	v_pk_mul_f32 v[0:1], v[20:21], v[16:17]
	;;#ASMEND
	;;#ASMSTART
	v_med3_f32 v0, v0, v37, v38
v_med3_f32 v1, v1, v37, v38
v_cvt_pk_fp8_f32 v19, v0, v1
	;;#ASMEND
	;;#ASMSTART
	v_pk_mul_f32 v[2:3], v[2:3], v[16:17]
	;;#ASMEND
	v_mov_b32_e32 v1, v3
	v_perm_b32 v0, v19, v18, s7
	;;#ASMSTART
	v_med3_f32 v2, v2, v37, v38
v_med3_f32 v1, v1, v37, v38
v_cvt_pk_fp8_f32 v18, v2, v1
	;;#ASMEND
	;;#ASMSTART
	v_pk_mul_f32 v[2:3], v[22:23], v[16:17]
	;;#ASMEND
	v_mov_b32_e32 v1, v3
	v_perm_b32 v0, v0, v19, s8
	;;#ASMSTART
	v_med3_f32 v2, v2, v37, v38
v_med3_f32 v1, v1, v37, v38
v_cvt_pk_fp8_f32 v19, v2, v1
	;;#ASMEND
	;;#ASMSTART
	v_pk_mul_f32 v[2:3], v[4:5], v[16:17]
	;;#ASMEND
	v_perm_b32 v1, v18, v19, s9
	;;#ASMSTART
	v_med3_f32 v2, v2, v37, v38
v_med3_f32 v3, v3, v37, v38
v_cvt_pk_fp8_f32 v18, v2, v3
	;;#ASMEND
	;;#ASMSTART
	v_pk_mul_f32 v[2:3], v[24:25], v[16:17]
	;;#ASMEND
	;;#ASMSTART
	v_med3_f32 v2, v2, v37, v38
v_med3_f32 v3, v3, v37, v38
v_cvt_pk_fp8_f32 v19, v2, v3
	;;#ASMEND
	;;#ASMSTART
	v_pk_mul_f32 v[4:5], v[6:7], v[16:17]
	;;#ASMEND
	v_mov_b32_e32 v3, v5
	;;#ASMSTART
	v_med3_f32 v4, v4, v37, v38
v_med3_f32 v3, v3, v37, v38
v_cvt_pk_fp8_f32 v6, v4, v3
	;;#ASMEND
	;;#ASMSTART
	v_pk_mul_f32 v[4:5], v[26:27], v[16:17]
	;;#ASMEND
	v_mov_b32_e32 v3, v5
	;;#ASMSTART
	v_med3_f32 v4, v4, v37, v38
v_med3_f32 v3, v3, v37, v38
v_cvt_pk_fp8_f32 v5, v4, v3
	;;#ASMEND
	v_perm_b32 v2, v18, v19, s9
	v_perm_b32 v3, v6, v5, s9
	buffer_store_dwordx4 v[0:3], v36, s[0:3], 0 offen
	;;#ASMSTART
	s_nop 0
	;;#ASMEND
	s_nop 0
	;;#ASMSTART
	v_pk_mul_f32 v[0:1], v[8:9], v[16:17]
	;;#ASMEND
	;;#ASMSTART
	v_med3_f32 v0, v0, v37, v38
v_med3_f32 v1, v1, v37, v38
v_cvt_pk_fp8_f32 v2, v0, v1
	;;#ASMEND
	;;#ASMSTART
	v_pk_mul_f32 v[0:1], v[28:29], v[16:17]
	;;#ASMEND
	;;#ASMSTART
	v_med3_f32 v0, v0, v37, v38
v_med3_f32 v1, v1, v37, v38
v_cvt_pk_fp8_f32 v3, v0, v1
	;;#ASMEND
	v_perm_b32 v0, v3, v2, s7
	v_perm_b32 v0, v0, v3, s8
	;;#ASMSTART
	v_pk_mul_f32 v[2:3], v[10:11], v[16:17]
	;;#ASMEND
	v_mov_b32_e32 v1, v3
	;;#ASMSTART
	v_med3_f32 v2, v2, v37, v38
v_med3_f32 v1, v1, v37, v38
v_cvt_pk_fp8_f32 v4, v2, v1
	;;#ASMEND
	;;#ASMSTART
	v_pk_mul_f32 v[2:3], v[30:31], v[16:17]
	;;#ASMEND
	v_mov_b32_e32 v1, v3
	;;#ASMSTART
	v_med3_f32 v2, v2, v37, v38
v_med3_f32 v1, v1, v37, v38
v_cvt_pk_fp8_f32 v3, v2, v1
	;;#ASMEND
	v_perm_b32 v1, v4, v3, s9
	;;#ASMSTART
	v_pk_mul_f32 v[2:3], v[12:13], v[16:17]
	;;#ASMEND
	;;#ASMSTART
	v_med3_f32 v2, v2, v37, v38
v_med3_f32 v3, v3, v37, v38
v_cvt_pk_fp8_f32 v4, v2, v3
	;;#ASMEND
	;;#ASMSTART
	v_pk_mul_f32 v[2:3], v[32:33], v[16:17]
	;;#ASMEND
	;;#ASMSTART
	v_med3_f32 v2, v2, v37, v38
v_med3_f32 v3, v3, v37, v38
v_cvt_pk_fp8_f32 v5, v2, v3
	;;#ASMEND
	v_perm_b32 v2, v4, v5, s9
	;;#ASMSTART
	v_pk_mul_f32 v[4:5], v[14:15], v[16:17]
	;;#ASMEND
	v_mov_b32_e32 v3, v5
	;;#ASMSTART
	v_med3_f32 v4, v4, v37, v38
v_med3_f32 v3, v3, v37, v38
v_cvt_pk_fp8_f32 v6, v4, v3
	;;#ASMEND
	;;#ASMSTART
	v_pk_mul_f32 v[4:5], v[34:35], v[16:17]
	;;#ASMEND
	v_mov_b32_e32 v3, v5
	;;#ASMSTART
	v_med3_f32 v4, v4, v37, v38
v_med3_f32 v3, v3, v37, v38
v_cvt_pk_fp8_f32 v5, v4, v3
	;;#ASMEND
	v_perm_b32 v3, v6, v5, s9
	buffer_store_dwordx4 v[0:3], v36, s[0:3], 16 offen
	;;#ASMSTART
	s_nop 0
	;;#ASMEND
	s_endpgm
	.section	.rodata,"a",@progbits
	.p2align	6, 0x0
	.amdhsa_kernel _ZN5aiter37dynamic_per_group_scaled_quant_kernelItDB8_Li32ELi32ELb0ELi64ELb0EEEvPT0_PfPKT_PKfliilPKii
		.amdhsa_group_segment_fixed_size 0
		.amdhsa_private_segment_fixed_size 0
		.amdhsa_kernarg_size 68
		.amdhsa_user_sgpr_count 6
		.amdhsa_user_sgpr_private_segment_buffer 1
		.amdhsa_user_sgpr_dispatch_ptr 0
		.amdhsa_user_sgpr_queue_ptr 0
		.amdhsa_user_sgpr_kernarg_segment_ptr 1
		.amdhsa_user_sgpr_dispatch_id 0
		.amdhsa_user_sgpr_flat_scratch_init 0
		.amdhsa_user_sgpr_kernarg_preload_length 0
		.amdhsa_user_sgpr_kernarg_preload_offset 0
		.amdhsa_user_sgpr_private_segment_size 0
		.amdhsa_uses_dynamic_stack 0
		.amdhsa_system_sgpr_private_segment_wavefront_offset 0
		.amdhsa_system_sgpr_workgroup_id_x 1
		.amdhsa_system_sgpr_workgroup_id_y 0
		.amdhsa_system_sgpr_workgroup_id_z 0
		.amdhsa_system_sgpr_workgroup_info 0
		.amdhsa_system_vgpr_workitem_id 0
		.amdhsa_next_free_vgpr 41
		.amdhsa_next_free_sgpr 16
		.amdhsa_accum_offset 44
		.amdhsa_reserve_vcc 1
		.amdhsa_reserve_flat_scratch 0
		.amdhsa_float_round_mode_32 0
		.amdhsa_float_round_mode_16_64 0
		.amdhsa_float_denorm_mode_32 3
		.amdhsa_float_denorm_mode_16_64 3
		.amdhsa_dx10_clamp 1
		.amdhsa_ieee_mode 1
		.amdhsa_fp16_overflow 0
		.amdhsa_tg_split 0
		.amdhsa_exception_fp_ieee_invalid_op 0
		.amdhsa_exception_fp_denorm_src 0
		.amdhsa_exception_fp_ieee_div_zero 0
		.amdhsa_exception_fp_ieee_overflow 0
		.amdhsa_exception_fp_ieee_underflow 0
		.amdhsa_exception_fp_ieee_inexact 0
		.amdhsa_exception_int_div_zero 0
	.end_amdhsa_kernel
	.section	.text._ZN5aiter37dynamic_per_group_scaled_quant_kernelItDB8_Li32ELi32ELb0ELi64ELb0EEEvPT0_PfPKT_PKfliilPKii,"axG",@progbits,_ZN5aiter37dynamic_per_group_scaled_quant_kernelItDB8_Li32ELi32ELb0ELi64ELb0EEEvPT0_PfPKT_PKfliilPKii,comdat
.Lfunc_end15:
	.size	_ZN5aiter37dynamic_per_group_scaled_quant_kernelItDB8_Li32ELi32ELb0ELi64ELb0EEEvPT0_PfPKT_PKfliilPKii, .Lfunc_end15-_ZN5aiter37dynamic_per_group_scaled_quant_kernelItDB8_Li32ELi32ELb0ELi64ELb0EEEvPT0_PfPKT_PKfliilPKii
                                        ; -- End function
	.section	.AMDGPU.csdata,"",@progbits
; Kernel info:
; codeLenInByte = 2348
; NumSgprs: 20
; NumVgprs: 41
; NumAgprs: 0
; TotalNumVgprs: 41
; ScratchSize: 0
; MemoryBound: 0
; FloatMode: 240
; IeeeMode: 1
; LDSByteSize: 0 bytes/workgroup (compile time only)
; SGPRBlocks: 2
; VGPRBlocks: 5
; NumSGPRsForWavesPerEU: 20
; NumVGPRsForWavesPerEU: 41
; AccumOffset: 44
; Occupancy: 8
; WaveLimiterHint : 0
; COMPUTE_PGM_RSRC2:SCRATCH_EN: 0
; COMPUTE_PGM_RSRC2:USER_SGPR: 6
; COMPUTE_PGM_RSRC2:TRAP_HANDLER: 0
; COMPUTE_PGM_RSRC2:TGID_X_EN: 1
; COMPUTE_PGM_RSRC2:TGID_Y_EN: 0
; COMPUTE_PGM_RSRC2:TGID_Z_EN: 0
; COMPUTE_PGM_RSRC2:TIDIG_COMP_CNT: 0
; COMPUTE_PGM_RSRC3_GFX90A:ACCUM_OFFSET: 10
; COMPUTE_PGM_RSRC3_GFX90A:TG_SPLIT: 0
	.section	.text._ZN5aiter37dynamic_per_group_scaled_quant_kernelIDF16_aLi32ELi32ELb0ELi64ELb0EEEvPT0_PfPKT_PKfliilPKii,"axG",@progbits,_ZN5aiter37dynamic_per_group_scaled_quant_kernelIDF16_aLi32ELi32ELb0ELi64ELb0EEEvPT0_PfPKT_PKfliilPKii,comdat
	.protected	_ZN5aiter37dynamic_per_group_scaled_quant_kernelIDF16_aLi32ELi32ELb0ELi64ELb0EEEvPT0_PfPKT_PKfliilPKii ; -- Begin function _ZN5aiter37dynamic_per_group_scaled_quant_kernelIDF16_aLi32ELi32ELb0ELi64ELb0EEEvPT0_PfPKT_PKfliilPKii
	.globl	_ZN5aiter37dynamic_per_group_scaled_quant_kernelIDF16_aLi32ELi32ELb0ELi64ELb0EEEvPT0_PfPKT_PKfliilPKii
	.p2align	8
	.type	_ZN5aiter37dynamic_per_group_scaled_quant_kernelIDF16_aLi32ELi32ELb0ELi64ELb0EEEvPT0_PfPKT_PKfliilPKii,@function
_ZN5aiter37dynamic_per_group_scaled_quant_kernelIDF16_aLi32ELi32ELb0ELi64ELb0EEEvPT0_PfPKT_PKfliilPKii: ; @_ZN5aiter37dynamic_per_group_scaled_quant_kernelIDF16_aLi32ELi32ELb0ELi64ELb0EEEvPT0_PfPKT_PKfliilPKii
; %bb.0:
	s_load_dwordx2 s[0:1], s[4:5], 0x38
	s_waitcnt lgkmcnt(0)
	s_cmp_eq_u64 s[0:1], 0
	s_cbranch_scc1 .LBB16_2
; %bb.1:
	s_load_dword s2, s[4:5], 0x40
	s_load_dword s3, s[0:1], 0x0
	s_waitcnt lgkmcnt(0)
	s_mul_hi_i32 s9, s3, s2
	s_mul_i32 s8, s3, s2
	s_branch .LBB16_3
.LBB16_2:
	s_load_dwordx2 s[8:9], s[4:5], 0x20
.LBB16_3:
	s_load_dwordx2 s[2:3], s[4:5], 0x28
	s_mov_b32 s7, 0
	s_lshl_b64 s[0:1], s[6:7], 6
	v_or_b32_e32 v0, s0, v0
	v_mov_b32_e32 v1, s1
	s_waitcnt lgkmcnt(0)
	s_ashr_i32 s6, s2, 31
	s_lshr_b32 s6, s6, 27
	s_add_i32 s2, s2, s6
	s_ashr_i32 s10, s2, 5
	s_ashr_i32 s11, s10, 31
	s_or_b64 s[0:1], s[0:1], s[10:11]
	s_mov_b32 s0, s7
	s_cmp_lg_u64 s[0:1], 0
	s_cselect_b64 s[0:1], -1, 0
                                        ; implicit-def: $vgpr2_vgpr3
	s_and_saveexec_b64 s[6:7], s[0:1]
	s_xor_b64 s[6:7], exec, s[6:7]
	s_cbranch_execnz .LBB16_7
; %bb.4:
	s_andn2_saveexec_b64 s[0:1], s[6:7]
	s_cbranch_execnz .LBB16_8
.LBB16_5:
	s_or_b64 exec, exec, s[0:1]
	v_cmp_gt_i64_e32 vcc, s[8:9], v[2:3]
	s_and_saveexec_b64 s[0:1], vcc
	s_cbranch_execnz .LBB16_9
.LBB16_6:
	s_endpgm
.LBB16_7:
	s_add_u32 s0, s10, s11
	s_mov_b32 s12, s11
	s_mov_b32 s13, s11
	s_addc_u32 s1, s11, s11
	s_xor_b64 s[14:15], s[0:1], s[12:13]
	v_cvt_f32_u32_e32 v2, s14
	v_cvt_f32_u32_e32 v3, s15
	s_sub_u32 s0, 0, s14
	s_subb_u32 s1, 0, s15
	v_madmk_f32 v2, v3, 0x4f800000, v2
	v_rcp_f32_e32 v2, v2
	v_mul_f32_e32 v2, 0x5f7ffffc, v2
	v_mul_f32_e32 v3, 0x2f800000, v2
	v_trunc_f32_e32 v3, v3
	v_madmk_f32 v2, v3, 0xcf800000, v2
	v_cvt_u32_f32_e32 v3, v3
	v_cvt_u32_f32_e32 v2, v2
	v_mul_lo_u32 v4, s0, v3
	v_mul_hi_u32 v6, s0, v2
	v_mul_lo_u32 v5, s1, v2
	v_add_u32_e32 v4, v6, v4
	v_mul_lo_u32 v7, s0, v2
	v_add_u32_e32 v4, v4, v5
	v_mul_lo_u32 v6, v2, v4
	v_mul_hi_u32 v8, v2, v7
	v_mul_hi_u32 v5, v2, v4
	v_add_co_u32_e32 v6, vcc, v8, v6
	v_addc_co_u32_e32 v5, vcc, 0, v5, vcc
	v_mul_hi_u32 v9, v3, v7
	v_mul_lo_u32 v7, v3, v7
	v_add_co_u32_e32 v6, vcc, v6, v7
	v_mul_hi_u32 v8, v3, v4
	v_addc_co_u32_e32 v5, vcc, v5, v9, vcc
	v_addc_co_u32_e32 v6, vcc, 0, v8, vcc
	v_mul_lo_u32 v4, v3, v4
	v_add_co_u32_e32 v4, vcc, v5, v4
	v_addc_co_u32_e32 v5, vcc, 0, v6, vcc
	v_add_co_u32_e32 v2, vcc, v2, v4
	v_addc_co_u32_e32 v3, vcc, v3, v5, vcc
	v_mul_lo_u32 v4, s0, v3
	v_mul_hi_u32 v5, s0, v2
	v_add_u32_e32 v4, v5, v4
	v_mul_lo_u32 v5, s1, v2
	v_add_u32_e32 v4, v4, v5
	v_mul_lo_u32 v6, s0, v2
	v_mul_hi_u32 v7, v3, v6
	v_mul_lo_u32 v8, v3, v6
	v_mul_lo_u32 v10, v2, v4
	v_mul_hi_u32 v6, v2, v6
	v_mul_hi_u32 v9, v2, v4
	v_add_co_u32_e32 v6, vcc, v6, v10
	v_addc_co_u32_e32 v9, vcc, 0, v9, vcc
	v_add_co_u32_e32 v6, vcc, v6, v8
	v_mul_hi_u32 v5, v3, v4
	v_addc_co_u32_e32 v6, vcc, v9, v7, vcc
	v_addc_co_u32_e32 v5, vcc, 0, v5, vcc
	v_mul_lo_u32 v4, v3, v4
	v_add_co_u32_e32 v4, vcc, v6, v4
	v_addc_co_u32_e32 v5, vcc, 0, v5, vcc
	v_add_co_u32_e32 v4, vcc, v2, v4
	v_addc_co_u32_e32 v5, vcc, v3, v5, vcc
	v_mad_u64_u32 v[2:3], s[0:1], v0, v5, 0
	v_mul_hi_u32 v6, v0, v4
	v_add_co_u32_e32 v6, vcc, v6, v2
	v_addc_co_u32_e32 v7, vcc, 0, v3, vcc
	v_mad_u64_u32 v[2:3], s[0:1], v1, v5, 0
	v_mad_u64_u32 v[4:5], s[0:1], v1, v4, 0
	v_add_co_u32_e32 v4, vcc, v6, v4
	v_addc_co_u32_e32 v4, vcc, v7, v5, vcc
	v_addc_co_u32_e32 v3, vcc, 0, v3, vcc
	v_add_co_u32_e32 v4, vcc, v4, v2
	v_addc_co_u32_e32 v5, vcc, 0, v3, vcc
	v_mul_lo_u32 v6, s15, v4
	v_mul_lo_u32 v7, s14, v5
	v_mad_u64_u32 v[2:3], s[0:1], s14, v4, 0
	v_add3_u32 v3, v3, v7, v6
	v_sub_u32_e32 v6, v1, v3
	v_mov_b32_e32 v7, s15
	v_sub_co_u32_e32 v2, vcc, v0, v2
	v_subb_co_u32_e64 v6, s[0:1], v6, v7, vcc
	v_subrev_co_u32_e64 v7, s[0:1], s14, v2
	v_subbrev_co_u32_e64 v6, s[0:1], 0, v6, s[0:1]
	v_cmp_le_u32_e64 s[0:1], s15, v6
	v_cndmask_b32_e64 v8, 0, -1, s[0:1]
	v_cmp_le_u32_e64 s[0:1], s14, v7
	v_cndmask_b32_e64 v7, 0, -1, s[0:1]
	v_cmp_eq_u32_e64 s[0:1], s15, v6
	v_cndmask_b32_e64 v6, v8, v7, s[0:1]
	v_add_co_u32_e64 v7, s[0:1], 2, v4
	v_addc_co_u32_e64 v8, s[0:1], 0, v5, s[0:1]
	v_add_co_u32_e64 v9, s[0:1], 1, v4
	v_addc_co_u32_e64 v10, s[0:1], 0, v5, s[0:1]
	v_subb_co_u32_e32 v3, vcc, v1, v3, vcc
	v_cmp_ne_u32_e64 s[0:1], 0, v6
	v_cmp_le_u32_e32 vcc, s15, v3
	v_cndmask_b32_e64 v6, v10, v8, s[0:1]
	v_cndmask_b32_e64 v8, 0, -1, vcc
	v_cmp_le_u32_e32 vcc, s14, v2
	v_cndmask_b32_e64 v2, 0, -1, vcc
	v_cmp_eq_u32_e32 vcc, s15, v3
	v_cndmask_b32_e32 v2, v8, v2, vcc
	v_cmp_ne_u32_e32 vcc, 0, v2
	v_cndmask_b32_e64 v3, v9, v7, s[0:1]
	v_cndmask_b32_e32 v2, v5, v6, vcc
	v_cndmask_b32_e32 v3, v4, v3, vcc
	v_xor_b32_e32 v4, s13, v2
	v_xor_b32_e32 v2, s12, v3
	v_mov_b32_e32 v3, s11
	v_subrev_co_u32_e32 v2, vcc, s12, v2
	v_subb_co_u32_e32 v3, vcc, v4, v3, vcc
	s_andn2_saveexec_b64 s[0:1], s[6:7]
	s_cbranch_execz .LBB16_5
.LBB16_8:
	v_cvt_f32_u32_e32 v2, s10
	s_sub_i32 s2, 0, s10
	v_rcp_iflag_f32_e32 v2, v2
	v_mul_f32_e32 v2, 0x4f7ffffe, v2
	v_cvt_u32_f32_e32 v2, v2
	v_mul_lo_u32 v3, s2, v2
	v_mul_hi_u32 v3, v2, v3
	v_add_u32_e32 v2, v2, v3
	v_mul_hi_u32 v2, v0, v2
	v_mul_lo_u32 v3, v2, s10
	v_sub_u32_e32 v3, v0, v3
	v_add_u32_e32 v4, 1, v2
	v_subrev_u32_e32 v5, s10, v3
	v_cmp_le_u32_e32 vcc, s10, v3
	v_cndmask_b32_e32 v3, v3, v5, vcc
	v_cndmask_b32_e32 v2, v2, v4, vcc
	v_add_u32_e32 v4, 1, v2
	v_cmp_le_u32_e32 vcc, s10, v3
	v_cndmask_b32_e32 v2, v2, v4, vcc
	v_mov_b32_e32 v3, 0
	s_or_b64 exec, exec, s[0:1]
	v_cmp_gt_i64_e32 vcc, s[8:9], v[2:3]
	s_and_saveexec_b64 s[0:1], vcc
	s_cbranch_execz .LBB16_6
.LBB16_9:
	s_load_dwordx2 s[0:1], s[4:5], 0x10
	s_ashr_i32 s2, s3, 31
	v_mul_lo_u32 v4, v2, s10
	v_mul_lo_u32 v5, v3, s3
	;; [unrolled: 1-line block ×3, first 2 shown]
	v_mad_u64_u32 v[2:3], s[2:3], v2, s3, 0
	v_add3_u32 v3, v3, v6, v5
	v_sub_u32_e32 v4, v0, v4
	v_lshlrev_b64 v[2:3], 1, v[2:3]
	v_lshlrev_b32_e32 v4, 5, v4
	v_mov_b32_e32 v5, 0
	s_waitcnt lgkmcnt(0)
	v_mov_b32_e32 v6, s1
	v_add_co_u32_e32 v7, vcc, s0, v2
	v_addc_co_u32_e32 v6, vcc, v6, v3, vcc
	v_lshlrev_b64 v[2:3], 1, v[4:5]
	v_add_co_u32_e32 v18, vcc, v7, v2
	v_addc_co_u32_e32 v19, vcc, v6, v3, vcc
	global_load_dwordx4 v[2:5], v[18:19], off
	global_load_dwordx4 v[6:9], v[18:19], off offset:16
	global_load_dwordx4 v[10:13], v[18:19], off offset:32
	;; [unrolled: 1-line block ×3, first 2 shown]
	s_load_dwordx4 s[0:3], s[4:5], 0x0
	s_load_dword s6, s[4:5], 0x30
	s_mov_b32 s4, 0x2edbe6ff
	v_lshlrev_b64 v[18:19], 2, v[0:1]
	v_lshlrev_b32_e32 v28, 5, v0
	s_waitcnt lgkmcnt(0)
	v_mov_b32_e32 v1, s3
	v_add_co_u32_e32 v0, vcc, s2, v18
	v_addc_co_u32_e32 v1, vcc, v1, v19, vcc
	s_and_b32 s1, s1, 0xffff
	s_mov_b32 s3, 0x20000
	s_mov_b32 s2, s6
	s_waitcnt vmcnt(3)
	v_cvt_f32_f16_e64 v26, |v2|
	v_cvt_f32_f16_sdwa v27, |v2| dst_sel:DWORD dst_unused:UNUSED_PAD src0_sel:WORD_1
	v_cvt_f32_f16_e64 v29, |v3|
	v_cvt_f32_f16_sdwa v30, |v3| dst_sel:DWORD dst_unused:UNUSED_PAD src0_sel:WORD_1
	v_cvt_f32_f16_e64 v31, |v4|
	v_cvt_f32_f16_sdwa v32, |v4| dst_sel:DWORD dst_unused:UNUSED_PAD src0_sel:WORD_1
	v_cvt_f32_f16_e64 v33, |v5|
	v_cvt_f32_f16_sdwa v34, |v5| dst_sel:DWORD dst_unused:UNUSED_PAD src0_sel:WORD_1
	s_waitcnt vmcnt(2)
	v_cvt_f32_f16_e64 v35, |v6|
	v_cvt_f32_f16_sdwa v36, |v6| dst_sel:DWORD dst_unused:UNUSED_PAD src0_sel:WORD_1
	v_max3_f32 v26, v26, s4, v27
	v_cvt_f32_f16_e64 v37, |v7|
	v_cvt_f32_f16_sdwa v38, |v7| dst_sel:DWORD dst_unused:UNUSED_PAD src0_sel:WORD_1
	v_max3_f32 v26, v26, v29, v30
	v_cvt_f32_f16_e64 v39, |v8|
	v_cvt_f32_f16_sdwa v40, |v8| dst_sel:DWORD dst_unused:UNUSED_PAD src0_sel:WORD_1
	v_max3_f32 v26, v26, v31, v32
	v_cvt_f32_f16_e64 v41, |v9|
	v_cvt_f32_f16_sdwa v42, |v9| dst_sel:DWORD dst_unused:UNUSED_PAD src0_sel:WORD_1
	v_max3_f32 v26, v26, v33, v34
	s_waitcnt vmcnt(1)
	v_cvt_f32_f16_e64 v43, |v10|
	v_cvt_f32_f16_sdwa v44, |v10| dst_sel:DWORD dst_unused:UNUSED_PAD src0_sel:WORD_1
	v_max3_f32 v26, v26, v35, v36
	v_cvt_f32_f16_e64 v45, |v11|
	v_cvt_f32_f16_sdwa v46, |v11| dst_sel:DWORD dst_unused:UNUSED_PAD src0_sel:WORD_1
	v_max3_f32 v26, v26, v37, v38
	v_cvt_f32_f16_e64 v47, |v12|
	v_cvt_f32_f16_sdwa v48, |v12| dst_sel:DWORD dst_unused:UNUSED_PAD src0_sel:WORD_1
	v_max3_f32 v26, v26, v39, v40
	v_cvt_f32_f16_e64 v49, |v13|
	v_cvt_f32_f16_sdwa v50, |v13| dst_sel:DWORD dst_unused:UNUSED_PAD src0_sel:WORD_1
	v_max3_f32 v26, v26, v41, v42
	;; [unrolled: 13-line block ×3, first 2 shown]
	v_max3_f32 v26, v26, v51, v52
	v_max3_f32 v26, v26, v53, v54
	;; [unrolled: 1-line block ×4, first 2 shown]
	v_mul_f32_e32 v26, 0x3c010204, v26
	v_div_scale_f32 v27, s[4:5], v26, v26, 1.0
	v_rcp_f32_e32 v29, v27
	global_store_dword v[0:1], v26, off
	v_div_scale_f32 v0, vcc, 1.0, v26, 1.0
	v_fma_f32 v1, -v27, v29, 1.0
	v_fmac_f32_e32 v29, v1, v29
	v_mul_f32_e32 v1, v0, v29
	v_fma_f32 v30, -v27, v1, v0
	v_fmac_f32_e32 v1, v30, v29
	v_fma_f32 v0, -v27, v1, v0
	v_div_fmas_f32 v0, v0, v29, v1
	v_div_fixup_f32 v26, v0, v26, 1.0
	v_cvt_f32_f16_e32 v18, v2
	v_cvt_f32_f16_sdwa v19, v2 dst_sel:DWORD dst_unused:UNUSED_PAD src0_sel:WORD_1
	v_cvt_f32_f16_e32 v2, v3
	v_cvt_f32_f16_sdwa v3, v3 dst_sel:DWORD dst_unused:UNUSED_PAD src0_sel:WORD_1
	v_mov_b32_e32 v27, v26
	;;#ASMSTART
	v_pk_mul_f32 v[0:1], v[18:19], v[26:27]
	;;#ASMEND
	v_cvt_f32_f16_e32 v20, v4
	v_cvt_f32_f16_sdwa v21, v4 dst_sel:DWORD dst_unused:UNUSED_PAD src0_sel:WORD_1
	;;#ASMSTART
	v_pk_mul_f32 v[2:3], v[2:3], v[26:27]
	;;#ASMEND
	v_cvt_i32_f32_e32 v18, v0
	v_cvt_i32_f32_sdwa v19, v1 dst_sel:BYTE_1 dst_unused:UNUSED_PAD src0_sel:DWORD
	;;#ASMSTART
	v_pk_mul_f32 v[0:1], v[20:21], v[26:27]
	;;#ASMEND
	v_cvt_f32_f16_e32 v4, v5
	v_cvt_f32_f16_sdwa v5, v5 dst_sel:DWORD dst_unused:UNUSED_PAD src0_sel:WORD_1
	v_cvt_i32_f32_e32 v20, v0
	v_cvt_i32_f32_sdwa v21, v1 dst_sel:BYTE_1 dst_unused:UNUSED_PAD src0_sel:DWORD
	;;#ASMSTART
	v_pk_mul_f32 v[0:1], v[4:5], v[26:27]
	;;#ASMEND
	v_cvt_f32_f16_e32 v22, v6
	v_cvt_f32_f16_sdwa v23, v6 dst_sel:DWORD dst_unused:UNUSED_PAD src0_sel:WORD_1
	v_cvt_i32_f32_e32 v2, v2
	v_cvt_i32_f32_sdwa v3, v3 dst_sel:BYTE_1 dst_unused:UNUSED_PAD src0_sel:DWORD
	v_cvt_i32_f32_e32 v4, v0
	v_cvt_i32_f32_sdwa v5, v1 dst_sel:BYTE_1 dst_unused:UNUSED_PAD src0_sel:DWORD
	;;#ASMSTART
	v_pk_mul_f32 v[0:1], v[22:23], v[26:27]
	;;#ASMEND
	v_cvt_f32_f16_e32 v6, v7
	v_cvt_f32_f16_sdwa v7, v7 dst_sel:DWORD dst_unused:UNUSED_PAD src0_sel:WORD_1
	v_cvt_i32_f32_e32 v22, v0
	v_cvt_i32_f32_sdwa v23, v1 dst_sel:BYTE_1 dst_unused:UNUSED_PAD src0_sel:DWORD
	;;#ASMSTART
	v_pk_mul_f32 v[0:1], v[6:7], v[26:27]
	;;#ASMEND
	v_cvt_f32_f16_e32 v24, v8
	v_cvt_f32_f16_sdwa v25, v8 dst_sel:DWORD dst_unused:UNUSED_PAD src0_sel:WORD_1
	v_cvt_f32_f16_e32 v8, v9
	v_cvt_f32_f16_sdwa v9, v9 dst_sel:DWORD dst_unused:UNUSED_PAD src0_sel:WORD_1
	v_cvt_i32_f32_e32 v6, v0
	v_cvt_i32_f32_sdwa v7, v1 dst_sel:BYTE_1 dst_unused:UNUSED_PAD src0_sel:DWORD
	;;#ASMSTART
	v_pk_mul_f32 v[0:1], v[24:25], v[26:27]
	;;#ASMEND
	v_cvt_i32_f32_e32 v24, v0
	v_cvt_i32_f32_sdwa v25, v1 dst_sel:BYTE_1 dst_unused:UNUSED_PAD src0_sel:DWORD
	;;#ASMSTART
	v_pk_mul_f32 v[0:1], v[8:9], v[26:27]
	;;#ASMEND
	v_cvt_i32_f32_e32 v8, v0
	v_cvt_i32_f32_sdwa v9, v1 dst_sel:BYTE_1 dst_unused:UNUSED_PAD src0_sel:DWORD
	v_or_b32_sdwa v0, v18, v19 dst_sel:DWORD dst_unused:UNUSED_PAD src0_sel:BYTE_0 src1_sel:DWORD
	v_or_b32_sdwa v1, v2, v3 dst_sel:WORD_1 dst_unused:UNUSED_PAD src0_sel:BYTE_0 src1_sel:DWORD
	v_or_b32_sdwa v0, v0, v1 dst_sel:DWORD dst_unused:UNUSED_PAD src0_sel:WORD_0 src1_sel:DWORD
	v_or_b32_sdwa v1, v20, v21 dst_sel:DWORD dst_unused:UNUSED_PAD src0_sel:BYTE_0 src1_sel:DWORD
	v_or_b32_sdwa v2, v4, v5 dst_sel:WORD_1 dst_unused:UNUSED_PAD src0_sel:BYTE_0 src1_sel:DWORD
	v_or_b32_sdwa v1, v1, v2 dst_sel:DWORD dst_unused:UNUSED_PAD src0_sel:WORD_0 src1_sel:DWORD
	;; [unrolled: 3-line block ×4, first 2 shown]
	buffer_store_dwordx4 v[0:3], v28, s[0:3], 0 offen
	;;#ASMSTART
	s_nop 0
	;;#ASMEND
	v_cvt_f32_f16_e32 v4, v12
	v_cvt_f32_f16_e32 v0, v10
	v_cvt_f32_f16_sdwa v1, v10 dst_sel:DWORD dst_unused:UNUSED_PAD src0_sel:WORD_1
	;;#ASMSTART
	v_pk_mul_f32 v[0:1], v[0:1], v[26:27]
	;;#ASMEND
	v_cvt_f32_f16_e32 v2, v11
	v_cvt_f32_f16_sdwa v3, v11 dst_sel:DWORD dst_unused:UNUSED_PAD src0_sel:WORD_1
	v_cvt_f32_f16_sdwa v5, v12 dst_sel:DWORD dst_unused:UNUSED_PAD src0_sel:WORD_1
	v_cvt_f32_f16_e32 v6, v13
	v_cvt_f32_f16_sdwa v7, v13 dst_sel:DWORD dst_unused:UNUSED_PAD src0_sel:WORD_1
	v_cvt_f32_f16_e32 v8, v14
	;; [unrolled: 2-line block ×5, first 2 shown]
	v_cvt_f32_f16_sdwa v15, v17 dst_sel:DWORD dst_unused:UNUSED_PAD src0_sel:WORD_1
	v_cvt_i32_f32_e32 v16, v0
	v_cvt_i32_f32_sdwa v17, v1 dst_sel:BYTE_1 dst_unused:UNUSED_PAD src0_sel:DWORD
	;;#ASMSTART
	v_pk_mul_f32 v[0:1], v[2:3], v[26:27]
	;;#ASMEND
	v_cvt_i32_f32_e32 v2, v0
	v_cvt_i32_f32_sdwa v3, v1 dst_sel:BYTE_1 dst_unused:UNUSED_PAD src0_sel:DWORD
	;;#ASMSTART
	v_pk_mul_f32 v[0:1], v[4:5], v[26:27]
	;;#ASMEND
	v_cvt_i32_f32_e32 v4, v0
	v_cvt_i32_f32_sdwa v5, v1 dst_sel:BYTE_1 dst_unused:UNUSED_PAD src0_sel:DWORD
	;;#ASMSTART
	v_pk_mul_f32 v[0:1], v[6:7], v[26:27]
	;;#ASMEND
	v_cvt_i32_f32_e32 v6, v0
	v_cvt_i32_f32_sdwa v7, v1 dst_sel:BYTE_1 dst_unused:UNUSED_PAD src0_sel:DWORD
	;;#ASMSTART
	v_pk_mul_f32 v[0:1], v[8:9], v[26:27]
	;;#ASMEND
	v_cvt_i32_f32_e32 v8, v0
	v_cvt_i32_f32_sdwa v9, v1 dst_sel:BYTE_1 dst_unused:UNUSED_PAD src0_sel:DWORD
	;;#ASMSTART
	v_pk_mul_f32 v[0:1], v[10:11], v[26:27]
	;;#ASMEND
	v_cvt_i32_f32_e32 v10, v0
	v_cvt_i32_f32_sdwa v11, v1 dst_sel:BYTE_1 dst_unused:UNUSED_PAD src0_sel:DWORD
	;;#ASMSTART
	v_pk_mul_f32 v[0:1], v[12:13], v[26:27]
	;;#ASMEND
	v_cvt_i32_f32_e32 v12, v0
	v_cvt_i32_f32_sdwa v13, v1 dst_sel:BYTE_1 dst_unused:UNUSED_PAD src0_sel:DWORD
	;;#ASMSTART
	v_pk_mul_f32 v[0:1], v[14:15], v[26:27]
	;;#ASMEND
	v_cvt_i32_f32_e32 v14, v0
	v_cvt_i32_f32_sdwa v15, v1 dst_sel:BYTE_1 dst_unused:UNUSED_PAD src0_sel:DWORD
	v_or_b32_sdwa v0, v16, v17 dst_sel:DWORD dst_unused:UNUSED_PAD src0_sel:BYTE_0 src1_sel:DWORD
	v_or_b32_sdwa v1, v2, v3 dst_sel:WORD_1 dst_unused:UNUSED_PAD src0_sel:BYTE_0 src1_sel:DWORD
	v_or_b32_sdwa v0, v0, v1 dst_sel:DWORD dst_unused:UNUSED_PAD src0_sel:WORD_0 src1_sel:DWORD
	v_or_b32_sdwa v1, v4, v5 dst_sel:DWORD dst_unused:UNUSED_PAD src0_sel:BYTE_0 src1_sel:DWORD
	v_or_b32_sdwa v2, v6, v7 dst_sel:WORD_1 dst_unused:UNUSED_PAD src0_sel:BYTE_0 src1_sel:DWORD
	v_or_b32_sdwa v1, v1, v2 dst_sel:DWORD dst_unused:UNUSED_PAD src0_sel:WORD_0 src1_sel:DWORD
	;; [unrolled: 3-line block ×4, first 2 shown]
	buffer_store_dwordx4 v[0:3], v28, s[0:3], 16 offen
	;;#ASMSTART
	s_nop 0
	;;#ASMEND
	s_endpgm
	.section	.rodata,"a",@progbits
	.p2align	6, 0x0
	.amdhsa_kernel _ZN5aiter37dynamic_per_group_scaled_quant_kernelIDF16_aLi32ELi32ELb0ELi64ELb0EEEvPT0_PfPKT_PKfliilPKii
		.amdhsa_group_segment_fixed_size 0
		.amdhsa_private_segment_fixed_size 0
		.amdhsa_kernarg_size 68
		.amdhsa_user_sgpr_count 6
		.amdhsa_user_sgpr_private_segment_buffer 1
		.amdhsa_user_sgpr_dispatch_ptr 0
		.amdhsa_user_sgpr_queue_ptr 0
		.amdhsa_user_sgpr_kernarg_segment_ptr 1
		.amdhsa_user_sgpr_dispatch_id 0
		.amdhsa_user_sgpr_flat_scratch_init 0
		.amdhsa_user_sgpr_kernarg_preload_length 0
		.amdhsa_user_sgpr_kernarg_preload_offset 0
		.amdhsa_user_sgpr_private_segment_size 0
		.amdhsa_uses_dynamic_stack 0
		.amdhsa_system_sgpr_private_segment_wavefront_offset 0
		.amdhsa_system_sgpr_workgroup_id_x 1
		.amdhsa_system_sgpr_workgroup_id_y 0
		.amdhsa_system_sgpr_workgroup_id_z 0
		.amdhsa_system_sgpr_workgroup_info 0
		.amdhsa_system_vgpr_workitem_id 0
		.amdhsa_next_free_vgpr 59
		.amdhsa_next_free_sgpr 16
		.amdhsa_accum_offset 60
		.amdhsa_reserve_vcc 1
		.amdhsa_reserve_flat_scratch 0
		.amdhsa_float_round_mode_32 0
		.amdhsa_float_round_mode_16_64 0
		.amdhsa_float_denorm_mode_32 3
		.amdhsa_float_denorm_mode_16_64 3
		.amdhsa_dx10_clamp 1
		.amdhsa_ieee_mode 1
		.amdhsa_fp16_overflow 0
		.amdhsa_tg_split 0
		.amdhsa_exception_fp_ieee_invalid_op 0
		.amdhsa_exception_fp_denorm_src 0
		.amdhsa_exception_fp_ieee_div_zero 0
		.amdhsa_exception_fp_ieee_overflow 0
		.amdhsa_exception_fp_ieee_underflow 0
		.amdhsa_exception_fp_ieee_inexact 0
		.amdhsa_exception_int_div_zero 0
	.end_amdhsa_kernel
	.section	.text._ZN5aiter37dynamic_per_group_scaled_quant_kernelIDF16_aLi32ELi32ELb0ELi64ELb0EEEvPT0_PfPKT_PKfliilPKii,"axG",@progbits,_ZN5aiter37dynamic_per_group_scaled_quant_kernelIDF16_aLi32ELi32ELb0ELi64ELb0EEEvPT0_PfPKT_PKfliilPKii,comdat
.Lfunc_end16:
	.size	_ZN5aiter37dynamic_per_group_scaled_quant_kernelIDF16_aLi32ELi32ELb0ELi64ELb0EEEvPT0_PfPKT_PKfliilPKii, .Lfunc_end16-_ZN5aiter37dynamic_per_group_scaled_quant_kernelIDF16_aLi32ELi32ELb0ELi64ELb0EEEvPT0_PfPKT_PKfliilPKii
                                        ; -- End function
	.section	.AMDGPU.csdata,"",@progbits
; Kernel info:
; codeLenInByte = 2384
; NumSgprs: 20
; NumVgprs: 59
; NumAgprs: 0
; TotalNumVgprs: 59
; ScratchSize: 0
; MemoryBound: 0
; FloatMode: 240
; IeeeMode: 1
; LDSByteSize: 0 bytes/workgroup (compile time only)
; SGPRBlocks: 2
; VGPRBlocks: 7
; NumSGPRsForWavesPerEU: 20
; NumVGPRsForWavesPerEU: 59
; AccumOffset: 60
; Occupancy: 8
; WaveLimiterHint : 0
; COMPUTE_PGM_RSRC2:SCRATCH_EN: 0
; COMPUTE_PGM_RSRC2:USER_SGPR: 6
; COMPUTE_PGM_RSRC2:TRAP_HANDLER: 0
; COMPUTE_PGM_RSRC2:TGID_X_EN: 1
; COMPUTE_PGM_RSRC2:TGID_Y_EN: 0
; COMPUTE_PGM_RSRC2:TGID_Z_EN: 0
; COMPUTE_PGM_RSRC2:TIDIG_COMP_CNT: 0
; COMPUTE_PGM_RSRC3_GFX90A:ACCUM_OFFSET: 14
; COMPUTE_PGM_RSRC3_GFX90A:TG_SPLIT: 0
	.section	.text._ZN5aiter37dynamic_per_group_scaled_quant_kernelItaLi32ELi32ELb0ELi64ELb0EEEvPT0_PfPKT_PKfliilPKii,"axG",@progbits,_ZN5aiter37dynamic_per_group_scaled_quant_kernelItaLi32ELi32ELb0ELi64ELb0EEEvPT0_PfPKT_PKfliilPKii,comdat
	.protected	_ZN5aiter37dynamic_per_group_scaled_quant_kernelItaLi32ELi32ELb0ELi64ELb0EEEvPT0_PfPKT_PKfliilPKii ; -- Begin function _ZN5aiter37dynamic_per_group_scaled_quant_kernelItaLi32ELi32ELb0ELi64ELb0EEEvPT0_PfPKT_PKfliilPKii
	.globl	_ZN5aiter37dynamic_per_group_scaled_quant_kernelItaLi32ELi32ELb0ELi64ELb0EEEvPT0_PfPKT_PKfliilPKii
	.p2align	8
	.type	_ZN5aiter37dynamic_per_group_scaled_quant_kernelItaLi32ELi32ELb0ELi64ELb0EEEvPT0_PfPKT_PKfliilPKii,@function
_ZN5aiter37dynamic_per_group_scaled_quant_kernelItaLi32ELi32ELb0ELi64ELb0EEEvPT0_PfPKT_PKfliilPKii: ; @_ZN5aiter37dynamic_per_group_scaled_quant_kernelItaLi32ELi32ELb0ELi64ELb0EEEvPT0_PfPKT_PKfliilPKii
; %bb.0:
	s_load_dwordx2 s[0:1], s[4:5], 0x38
	s_waitcnt lgkmcnt(0)
	s_cmp_eq_u64 s[0:1], 0
	s_cbranch_scc1 .LBB17_2
; %bb.1:
	s_load_dword s2, s[4:5], 0x40
	s_load_dword s3, s[0:1], 0x0
	s_waitcnt lgkmcnt(0)
	s_mul_hi_i32 s9, s3, s2
	s_mul_i32 s8, s3, s2
	s_branch .LBB17_3
.LBB17_2:
	s_load_dwordx2 s[8:9], s[4:5], 0x20
.LBB17_3:
	s_load_dwordx2 s[2:3], s[4:5], 0x28
	s_mov_b32 s7, 0
	s_lshl_b64 s[0:1], s[6:7], 6
	v_or_b32_e32 v0, s0, v0
	v_mov_b32_e32 v1, s1
	s_waitcnt lgkmcnt(0)
	s_ashr_i32 s6, s2, 31
	s_lshr_b32 s6, s6, 27
	s_add_i32 s2, s2, s6
	s_ashr_i32 s10, s2, 5
	s_ashr_i32 s11, s10, 31
	s_or_b64 s[0:1], s[0:1], s[10:11]
	s_mov_b32 s0, s7
	s_cmp_lg_u64 s[0:1], 0
	s_cselect_b64 s[0:1], -1, 0
                                        ; implicit-def: $vgpr2_vgpr3
	s_and_saveexec_b64 s[6:7], s[0:1]
	s_xor_b64 s[6:7], exec, s[6:7]
	s_cbranch_execnz .LBB17_7
; %bb.4:
	s_andn2_saveexec_b64 s[0:1], s[6:7]
	s_cbranch_execnz .LBB17_8
.LBB17_5:
	s_or_b64 exec, exec, s[0:1]
	v_cmp_gt_i64_e32 vcc, s[8:9], v[2:3]
	s_and_saveexec_b64 s[0:1], vcc
	s_cbranch_execnz .LBB17_9
.LBB17_6:
	s_endpgm
.LBB17_7:
	s_add_u32 s0, s10, s11
	s_mov_b32 s12, s11
	s_mov_b32 s13, s11
	s_addc_u32 s1, s11, s11
	s_xor_b64 s[14:15], s[0:1], s[12:13]
	v_cvt_f32_u32_e32 v2, s14
	v_cvt_f32_u32_e32 v3, s15
	s_sub_u32 s0, 0, s14
	s_subb_u32 s1, 0, s15
	v_madmk_f32 v2, v3, 0x4f800000, v2
	v_rcp_f32_e32 v2, v2
	v_mul_f32_e32 v2, 0x5f7ffffc, v2
	v_mul_f32_e32 v3, 0x2f800000, v2
	v_trunc_f32_e32 v3, v3
	v_madmk_f32 v2, v3, 0xcf800000, v2
	v_cvt_u32_f32_e32 v3, v3
	v_cvt_u32_f32_e32 v2, v2
	v_mul_lo_u32 v4, s0, v3
	v_mul_hi_u32 v6, s0, v2
	v_mul_lo_u32 v5, s1, v2
	v_add_u32_e32 v4, v6, v4
	v_mul_lo_u32 v7, s0, v2
	v_add_u32_e32 v4, v4, v5
	v_mul_lo_u32 v6, v2, v4
	v_mul_hi_u32 v8, v2, v7
	v_mul_hi_u32 v5, v2, v4
	v_add_co_u32_e32 v6, vcc, v8, v6
	v_addc_co_u32_e32 v5, vcc, 0, v5, vcc
	v_mul_hi_u32 v9, v3, v7
	v_mul_lo_u32 v7, v3, v7
	v_add_co_u32_e32 v6, vcc, v6, v7
	v_mul_hi_u32 v8, v3, v4
	v_addc_co_u32_e32 v5, vcc, v5, v9, vcc
	v_addc_co_u32_e32 v6, vcc, 0, v8, vcc
	v_mul_lo_u32 v4, v3, v4
	v_add_co_u32_e32 v4, vcc, v5, v4
	v_addc_co_u32_e32 v5, vcc, 0, v6, vcc
	v_add_co_u32_e32 v2, vcc, v2, v4
	v_addc_co_u32_e32 v3, vcc, v3, v5, vcc
	v_mul_lo_u32 v4, s0, v3
	v_mul_hi_u32 v5, s0, v2
	v_add_u32_e32 v4, v5, v4
	v_mul_lo_u32 v5, s1, v2
	v_add_u32_e32 v4, v4, v5
	v_mul_lo_u32 v6, s0, v2
	v_mul_hi_u32 v7, v3, v6
	v_mul_lo_u32 v8, v3, v6
	v_mul_lo_u32 v10, v2, v4
	v_mul_hi_u32 v6, v2, v6
	v_mul_hi_u32 v9, v2, v4
	v_add_co_u32_e32 v6, vcc, v6, v10
	v_addc_co_u32_e32 v9, vcc, 0, v9, vcc
	v_add_co_u32_e32 v6, vcc, v6, v8
	v_mul_hi_u32 v5, v3, v4
	v_addc_co_u32_e32 v6, vcc, v9, v7, vcc
	v_addc_co_u32_e32 v5, vcc, 0, v5, vcc
	v_mul_lo_u32 v4, v3, v4
	v_add_co_u32_e32 v4, vcc, v6, v4
	v_addc_co_u32_e32 v5, vcc, 0, v5, vcc
	v_add_co_u32_e32 v4, vcc, v2, v4
	v_addc_co_u32_e32 v5, vcc, v3, v5, vcc
	v_mad_u64_u32 v[2:3], s[0:1], v0, v5, 0
	v_mul_hi_u32 v6, v0, v4
	v_add_co_u32_e32 v6, vcc, v6, v2
	v_addc_co_u32_e32 v7, vcc, 0, v3, vcc
	v_mad_u64_u32 v[2:3], s[0:1], v1, v5, 0
	v_mad_u64_u32 v[4:5], s[0:1], v1, v4, 0
	v_add_co_u32_e32 v4, vcc, v6, v4
	v_addc_co_u32_e32 v4, vcc, v7, v5, vcc
	v_addc_co_u32_e32 v3, vcc, 0, v3, vcc
	v_add_co_u32_e32 v4, vcc, v4, v2
	v_addc_co_u32_e32 v5, vcc, 0, v3, vcc
	v_mul_lo_u32 v6, s15, v4
	v_mul_lo_u32 v7, s14, v5
	v_mad_u64_u32 v[2:3], s[0:1], s14, v4, 0
	v_add3_u32 v3, v3, v7, v6
	v_sub_u32_e32 v6, v1, v3
	v_mov_b32_e32 v7, s15
	v_sub_co_u32_e32 v2, vcc, v0, v2
	v_subb_co_u32_e64 v6, s[0:1], v6, v7, vcc
	v_subrev_co_u32_e64 v7, s[0:1], s14, v2
	v_subbrev_co_u32_e64 v6, s[0:1], 0, v6, s[0:1]
	v_cmp_le_u32_e64 s[0:1], s15, v6
	v_cndmask_b32_e64 v8, 0, -1, s[0:1]
	v_cmp_le_u32_e64 s[0:1], s14, v7
	v_cndmask_b32_e64 v7, 0, -1, s[0:1]
	v_cmp_eq_u32_e64 s[0:1], s15, v6
	v_cndmask_b32_e64 v6, v8, v7, s[0:1]
	v_add_co_u32_e64 v7, s[0:1], 2, v4
	v_addc_co_u32_e64 v8, s[0:1], 0, v5, s[0:1]
	v_add_co_u32_e64 v9, s[0:1], 1, v4
	v_addc_co_u32_e64 v10, s[0:1], 0, v5, s[0:1]
	v_subb_co_u32_e32 v3, vcc, v1, v3, vcc
	v_cmp_ne_u32_e64 s[0:1], 0, v6
	v_cmp_le_u32_e32 vcc, s15, v3
	v_cndmask_b32_e64 v6, v10, v8, s[0:1]
	v_cndmask_b32_e64 v8, 0, -1, vcc
	v_cmp_le_u32_e32 vcc, s14, v2
	v_cndmask_b32_e64 v2, 0, -1, vcc
	v_cmp_eq_u32_e32 vcc, s15, v3
	v_cndmask_b32_e32 v2, v8, v2, vcc
	v_cmp_ne_u32_e32 vcc, 0, v2
	v_cndmask_b32_e64 v3, v9, v7, s[0:1]
	v_cndmask_b32_e32 v2, v5, v6, vcc
	v_cndmask_b32_e32 v3, v4, v3, vcc
	v_xor_b32_e32 v4, s13, v2
	v_xor_b32_e32 v2, s12, v3
	v_mov_b32_e32 v3, s11
	v_subrev_co_u32_e32 v2, vcc, s12, v2
	v_subb_co_u32_e32 v3, vcc, v4, v3, vcc
	s_andn2_saveexec_b64 s[0:1], s[6:7]
	s_cbranch_execz .LBB17_5
.LBB17_8:
	v_cvt_f32_u32_e32 v2, s10
	s_sub_i32 s2, 0, s10
	v_rcp_iflag_f32_e32 v2, v2
	v_mul_f32_e32 v2, 0x4f7ffffe, v2
	v_cvt_u32_f32_e32 v2, v2
	v_mul_lo_u32 v3, s2, v2
	v_mul_hi_u32 v3, v2, v3
	v_add_u32_e32 v2, v2, v3
	v_mul_hi_u32 v2, v0, v2
	v_mul_lo_u32 v3, v2, s10
	v_sub_u32_e32 v3, v0, v3
	v_add_u32_e32 v4, 1, v2
	v_subrev_u32_e32 v5, s10, v3
	v_cmp_le_u32_e32 vcc, s10, v3
	v_cndmask_b32_e32 v3, v3, v5, vcc
	v_cndmask_b32_e32 v2, v2, v4, vcc
	v_add_u32_e32 v4, 1, v2
	v_cmp_le_u32_e32 vcc, s10, v3
	v_cndmask_b32_e32 v2, v2, v4, vcc
	v_mov_b32_e32 v3, 0
	s_or_b64 exec, exec, s[0:1]
	v_cmp_gt_i64_e32 vcc, s[8:9], v[2:3]
	s_and_saveexec_b64 s[0:1], vcc
	s_cbranch_execz .LBB17_6
.LBB17_9:
	s_load_dwordx2 s[0:1], s[4:5], 0x10
	s_ashr_i32 s2, s3, 31
	v_mul_lo_u32 v4, v2, s10
	v_mul_lo_u32 v5, v3, s3
	;; [unrolled: 1-line block ×3, first 2 shown]
	v_mad_u64_u32 v[2:3], s[2:3], v2, s3, 0
	v_add3_u32 v3, v3, v6, v5
	v_sub_u32_e32 v4, v0, v4
	v_lshlrev_b64 v[2:3], 1, v[2:3]
	v_lshlrev_b32_e32 v4, 5, v4
	v_mov_b32_e32 v5, 0
	s_waitcnt lgkmcnt(0)
	v_mov_b32_e32 v6, s1
	v_add_co_u32_e32 v7, vcc, s0, v2
	v_addc_co_u32_e32 v6, vcc, v6, v3, vcc
	v_lshlrev_b64 v[2:3], 1, v[4:5]
	v_add_co_u32_e32 v18, vcc, v7, v2
	v_addc_co_u32_e32 v19, vcc, v6, v3, vcc
	global_load_dwordx4 v[2:5], v[18:19], off
	global_load_dwordx4 v[6:9], v[18:19], off offset:16
	global_load_dwordx4 v[10:13], v[18:19], off offset:32
	;; [unrolled: 1-line block ×3, first 2 shown]
	s_load_dwordx4 s[0:3], s[4:5], 0x0
	s_load_dword s6, s[4:5], 0x30
	v_lshlrev_b64 v[18:19], 2, v[0:1]
	v_lshlrev_b32_e32 v36, 5, v0
	s_mov_b32 s4, 0x2edbe6ff
	s_waitcnt lgkmcnt(0)
	v_mov_b32_e32 v1, s3
	v_add_co_u32_e32 v0, vcc, s2, v18
	v_addc_co_u32_e32 v1, vcc, v1, v19, vcc
	s_and_b32 s1, s1, 0xffff
	s_mov_b32 s3, 0x20000
	s_mov_b32 s2, s6
	s_waitcnt vmcnt(3)
	v_cvt_f32_u32_sdwa v19, v2 dst_sel:DWORD dst_unused:UNUSED_PAD src0_sel:WORD_1
	v_cvt_f32_u32_sdwa v18, v2 dst_sel:DWORD dst_unused:UNUSED_PAD src0_sel:WORD_0
	v_cvt_f32_u32_sdwa v21, v3 dst_sel:DWORD dst_unused:UNUSED_PAD src0_sel:WORD_1
	v_cvt_f32_u32_sdwa v20, v3 dst_sel:DWORD dst_unused:UNUSED_PAD src0_sel:WORD_0
	v_cvt_f32_u32_sdwa v3, v4 dst_sel:DWORD dst_unused:UNUSED_PAD src0_sel:WORD_1
	v_cvt_f32_u32_sdwa v2, v4 dst_sel:DWORD dst_unused:UNUSED_PAD src0_sel:WORD_0
	v_cvt_f32_u32_sdwa v23, v5 dst_sel:DWORD dst_unused:UNUSED_PAD src0_sel:WORD_1
	v_cvt_f32_u32_sdwa v22, v5 dst_sel:DWORD dst_unused:UNUSED_PAD src0_sel:WORD_0
	s_waitcnt vmcnt(2)
	v_cvt_f32_u32_sdwa v5, v6 dst_sel:DWORD dst_unused:UNUSED_PAD src0_sel:WORD_1
	v_cvt_f32_u32_sdwa v4, v6 dst_sel:DWORD dst_unused:UNUSED_PAD src0_sel:WORD_0
	v_cvt_f32_u32_sdwa v25, v7 dst_sel:DWORD dst_unused:UNUSED_PAD src0_sel:WORD_1
	v_cvt_f32_u32_sdwa v24, v7 dst_sel:DWORD dst_unused:UNUSED_PAD src0_sel:WORD_0
	v_cvt_f32_u32_sdwa v7, v8 dst_sel:DWORD dst_unused:UNUSED_PAD src0_sel:WORD_1
	v_cvt_f32_u32_sdwa v6, v8 dst_sel:DWORD dst_unused:UNUSED_PAD src0_sel:WORD_0
	v_cvt_f32_u32_sdwa v27, v9 dst_sel:DWORD dst_unused:UNUSED_PAD src0_sel:WORD_1
	v_cvt_f32_u32_sdwa v26, v9 dst_sel:DWORD dst_unused:UNUSED_PAD src0_sel:WORD_0
	;; [unrolled: 9-line block ×3, first 2 shown]
	s_waitcnt vmcnt(0)
	v_cvt_f32_u32_sdwa v13, v14 dst_sel:DWORD dst_unused:UNUSED_PAD src0_sel:WORD_1
	v_cvt_f32_u32_sdwa v12, v14 dst_sel:DWORD dst_unused:UNUSED_PAD src0_sel:WORD_0
	v_cvt_f32_u32_sdwa v33, v15 dst_sel:DWORD dst_unused:UNUSED_PAD src0_sel:WORD_1
	v_cvt_f32_u32_sdwa v32, v15 dst_sel:DWORD dst_unused:UNUSED_PAD src0_sel:WORD_0
	v_cvt_f32_u32_sdwa v15, v16 dst_sel:DWORD dst_unused:UNUSED_PAD src0_sel:WORD_1
	v_cvt_f32_u32_sdwa v14, v16 dst_sel:DWORD dst_unused:UNUSED_PAD src0_sel:WORD_0
	v_max3_f32 v16, v18, s4, v19
	v_max3_f32 v16, v16, v20, v21
	;; [unrolled: 1-line block ×11, first 2 shown]
	v_cvt_f32_u32_sdwa v35, v17 dst_sel:DWORD dst_unused:UNUSED_PAD src0_sel:WORD_1
	v_cvt_f32_u32_sdwa v34, v17 dst_sel:DWORD dst_unused:UNUSED_PAD src0_sel:WORD_0
	v_max3_f32 v16, v16, v30, v31
	v_max3_f32 v16, v16, v12, v13
	;; [unrolled: 1-line block ×5, first 2 shown]
	v_mul_f32_e32 v16, 0x3c010204, v16
	v_div_scale_f32 v17, s[4:5], v16, v16, 1.0
	v_rcp_f32_e32 v37, v17
	global_store_dword v[0:1], v16, off
	v_div_scale_f32 v0, vcc, 1.0, v16, 1.0
	v_fma_f32 v1, -v17, v37, 1.0
	v_fmac_f32_e32 v37, v1, v37
	v_mul_f32_e32 v1, v0, v37
	v_fma_f32 v38, -v17, v1, v0
	v_fmac_f32_e32 v1, v38, v37
	v_fma_f32 v0, -v17, v1, v0
	v_div_fmas_f32 v0, v0, v37, v1
	v_div_fixup_f32 v16, v0, v16, 1.0
	v_mov_b32_e32 v17, v16
	;;#ASMSTART
	v_pk_mul_f32 v[0:1], v[18:19], v[16:17]
	;;#ASMEND
	;;#ASMSTART
	v_pk_mul_f32 v[18:19], v[20:21], v[16:17]
	;;#ASMEND
	;; [unrolled: 3-line block ×4, first 2 shown]
	v_cvt_i32_f32_e32 v0, v0
	v_cvt_i32_f32_sdwa v1, v1 dst_sel:BYTE_1 dst_unused:UNUSED_PAD src0_sel:DWORD
	v_cvt_i32_f32_e32 v18, v18
	v_cvt_i32_f32_sdwa v19, v19 dst_sel:BYTE_1 dst_unused:UNUSED_PAD src0_sel:DWORD
	;;#ASMSTART
	v_pk_mul_f32 v[4:5], v[4:5], v[16:17]
	;;#ASMEND
	;;#ASMSTART
	v_pk_mul_f32 v[22:23], v[24:25], v[16:17]
	;;#ASMEND
	v_cvt_i32_f32_e32 v2, v2
	v_cvt_i32_f32_sdwa v3, v3 dst_sel:BYTE_1 dst_unused:UNUSED_PAD src0_sel:DWORD
	v_cvt_i32_f32_e32 v20, v20
	v_cvt_i32_f32_sdwa v21, v21 dst_sel:BYTE_1 dst_unused:UNUSED_PAD src0_sel:DWORD
	;;#ASMSTART
	v_pk_mul_f32 v[6:7], v[6:7], v[16:17]
	;;#ASMEND
	;;#ASMSTART
	v_pk_mul_f32 v[24:25], v[26:27], v[16:17]
	;;#ASMEND
	v_cvt_i32_f32_e32 v4, v4
	v_cvt_i32_f32_sdwa v5, v5 dst_sel:BYTE_1 dst_unused:UNUSED_PAD src0_sel:DWORD
	v_cvt_i32_f32_e32 v22, v22
	v_cvt_i32_f32_sdwa v23, v23 dst_sel:BYTE_1 dst_unused:UNUSED_PAD src0_sel:DWORD
	;; [unrolled: 2-line block ×4, first 2 shown]
	v_or_b32_sdwa v0, v0, v1 dst_sel:DWORD dst_unused:UNUSED_PAD src0_sel:BYTE_0 src1_sel:DWORD
	v_or_b32_sdwa v1, v18, v19 dst_sel:WORD_1 dst_unused:UNUSED_PAD src0_sel:BYTE_0 src1_sel:DWORD
	v_or_b32_sdwa v0, v0, v1 dst_sel:DWORD dst_unused:UNUSED_PAD src0_sel:WORD_0 src1_sel:DWORD
	v_or_b32_sdwa v1, v2, v3 dst_sel:DWORD dst_unused:UNUSED_PAD src0_sel:BYTE_0 src1_sel:DWORD
	v_or_b32_sdwa v2, v20, v21 dst_sel:WORD_1 dst_unused:UNUSED_PAD src0_sel:BYTE_0 src1_sel:DWORD
	v_or_b32_sdwa v1, v1, v2 dst_sel:DWORD dst_unused:UNUSED_PAD src0_sel:WORD_0 src1_sel:DWORD
	;; [unrolled: 3-line block ×4, first 2 shown]
	buffer_store_dwordx4 v[0:3], v36, s[0:3], 0 offen
	;;#ASMSTART
	s_nop 0
	;;#ASMEND
	s_nop 0
	;;#ASMSTART
	v_pk_mul_f32 v[0:1], v[8:9], v[16:17]
	;;#ASMEND
	v_cvt_i32_f32_e32 v2, v0
	v_cvt_i32_f32_sdwa v3, v1 dst_sel:BYTE_1 dst_unused:UNUSED_PAD src0_sel:DWORD
	;;#ASMSTART
	v_pk_mul_f32 v[0:1], v[28:29], v[16:17]
	;;#ASMEND
	v_cvt_i32_f32_e32 v4, v0
	v_cvt_i32_f32_sdwa v5, v1 dst_sel:BYTE_1 dst_unused:UNUSED_PAD src0_sel:DWORD
	;; [unrolled: 5-line block ×8, first 2 shown]
	v_or_b32_sdwa v0, v2, v3 dst_sel:DWORD dst_unused:UNUSED_PAD src0_sel:BYTE_0 src1_sel:DWORD
	v_or_b32_sdwa v1, v4, v5 dst_sel:WORD_1 dst_unused:UNUSED_PAD src0_sel:BYTE_0 src1_sel:DWORD
	v_or_b32_sdwa v0, v0, v1 dst_sel:DWORD dst_unused:UNUSED_PAD src0_sel:WORD_0 src1_sel:DWORD
	v_or_b32_sdwa v1, v6, v7 dst_sel:DWORD dst_unused:UNUSED_PAD src0_sel:BYTE_0 src1_sel:DWORD
	v_or_b32_sdwa v2, v8, v9 dst_sel:WORD_1 dst_unused:UNUSED_PAD src0_sel:BYTE_0 src1_sel:DWORD
	v_or_b32_sdwa v1, v1, v2 dst_sel:DWORD dst_unused:UNUSED_PAD src0_sel:WORD_0 src1_sel:DWORD
	;; [unrolled: 3-line block ×4, first 2 shown]
	buffer_store_dwordx4 v[0:3], v36, s[0:3], 16 offen
	;;#ASMSTART
	s_nop 0
	;;#ASMEND
	s_endpgm
	.section	.rodata,"a",@progbits
	.p2align	6, 0x0
	.amdhsa_kernel _ZN5aiter37dynamic_per_group_scaled_quant_kernelItaLi32ELi32ELb0ELi64ELb0EEEvPT0_PfPKT_PKfliilPKii
		.amdhsa_group_segment_fixed_size 0
		.amdhsa_private_segment_fixed_size 0
		.amdhsa_kernarg_size 68
		.amdhsa_user_sgpr_count 6
		.amdhsa_user_sgpr_private_segment_buffer 1
		.amdhsa_user_sgpr_dispatch_ptr 0
		.amdhsa_user_sgpr_queue_ptr 0
		.amdhsa_user_sgpr_kernarg_segment_ptr 1
		.amdhsa_user_sgpr_dispatch_id 0
		.amdhsa_user_sgpr_flat_scratch_init 0
		.amdhsa_user_sgpr_kernarg_preload_length 0
		.amdhsa_user_sgpr_kernarg_preload_offset 0
		.amdhsa_user_sgpr_private_segment_size 0
		.amdhsa_uses_dynamic_stack 0
		.amdhsa_system_sgpr_private_segment_wavefront_offset 0
		.amdhsa_system_sgpr_workgroup_id_x 1
		.amdhsa_system_sgpr_workgroup_id_y 0
		.amdhsa_system_sgpr_workgroup_id_z 0
		.amdhsa_system_sgpr_workgroup_info 0
		.amdhsa_system_vgpr_workitem_id 0
		.amdhsa_next_free_vgpr 39
		.amdhsa_next_free_sgpr 16
		.amdhsa_accum_offset 40
		.amdhsa_reserve_vcc 1
		.amdhsa_reserve_flat_scratch 0
		.amdhsa_float_round_mode_32 0
		.amdhsa_float_round_mode_16_64 0
		.amdhsa_float_denorm_mode_32 3
		.amdhsa_float_denorm_mode_16_64 3
		.amdhsa_dx10_clamp 1
		.amdhsa_ieee_mode 1
		.amdhsa_fp16_overflow 0
		.amdhsa_tg_split 0
		.amdhsa_exception_fp_ieee_invalid_op 0
		.amdhsa_exception_fp_denorm_src 0
		.amdhsa_exception_fp_ieee_div_zero 0
		.amdhsa_exception_fp_ieee_overflow 0
		.amdhsa_exception_fp_ieee_underflow 0
		.amdhsa_exception_fp_ieee_inexact 0
		.amdhsa_exception_int_div_zero 0
	.end_amdhsa_kernel
	.section	.text._ZN5aiter37dynamic_per_group_scaled_quant_kernelItaLi32ELi32ELb0ELi64ELb0EEEvPT0_PfPKT_PKfliilPKii,"axG",@progbits,_ZN5aiter37dynamic_per_group_scaled_quant_kernelItaLi32ELi32ELb0ELi64ELb0EEEvPT0_PfPKT_PKfliilPKii,comdat
.Lfunc_end17:
	.size	_ZN5aiter37dynamic_per_group_scaled_quant_kernelItaLi32ELi32ELb0ELi64ELb0EEEvPT0_PfPKT_PKfliilPKii, .Lfunc_end17-_ZN5aiter37dynamic_per_group_scaled_quant_kernelItaLi32ELi32ELb0ELi64ELb0EEEvPT0_PfPKT_PKfliilPKii
                                        ; -- End function
	.section	.AMDGPU.csdata,"",@progbits
; Kernel info:
; codeLenInByte = 2196
; NumSgprs: 20
; NumVgprs: 39
; NumAgprs: 0
; TotalNumVgprs: 39
; ScratchSize: 0
; MemoryBound: 0
; FloatMode: 240
; IeeeMode: 1
; LDSByteSize: 0 bytes/workgroup (compile time only)
; SGPRBlocks: 2
; VGPRBlocks: 4
; NumSGPRsForWavesPerEU: 20
; NumVGPRsForWavesPerEU: 39
; AccumOffset: 40
; Occupancy: 8
; WaveLimiterHint : 0
; COMPUTE_PGM_RSRC2:SCRATCH_EN: 0
; COMPUTE_PGM_RSRC2:USER_SGPR: 6
; COMPUTE_PGM_RSRC2:TRAP_HANDLER: 0
; COMPUTE_PGM_RSRC2:TGID_X_EN: 1
; COMPUTE_PGM_RSRC2:TGID_Y_EN: 0
; COMPUTE_PGM_RSRC2:TGID_Z_EN: 0
; COMPUTE_PGM_RSRC2:TIDIG_COMP_CNT: 0
; COMPUTE_PGM_RSRC3_GFX90A:ACCUM_OFFSET: 9
; COMPUTE_PGM_RSRC3_GFX90A:TG_SPLIT: 0
	.section	.text._ZN5aiter37dynamic_per_group_scaled_quant_kernelIDF16_DB8_Li32ELi64ELb1ELi64ELb0EEEvPT0_PfPKT_PKfliilPKii,"axG",@progbits,_ZN5aiter37dynamic_per_group_scaled_quant_kernelIDF16_DB8_Li32ELi64ELb1ELi64ELb0EEEvPT0_PfPKT_PKfliilPKii,comdat
	.protected	_ZN5aiter37dynamic_per_group_scaled_quant_kernelIDF16_DB8_Li32ELi64ELb1ELi64ELb0EEEvPT0_PfPKT_PKfliilPKii ; -- Begin function _ZN5aiter37dynamic_per_group_scaled_quant_kernelIDF16_DB8_Li32ELi64ELb1ELi64ELb0EEEvPT0_PfPKT_PKfliilPKii
	.globl	_ZN5aiter37dynamic_per_group_scaled_quant_kernelIDF16_DB8_Li32ELi64ELb1ELi64ELb0EEEvPT0_PfPKT_PKfliilPKii
	.p2align	8
	.type	_ZN5aiter37dynamic_per_group_scaled_quant_kernelIDF16_DB8_Li32ELi64ELb1ELi64ELb0EEEvPT0_PfPKT_PKfliilPKii,@function
_ZN5aiter37dynamic_per_group_scaled_quant_kernelIDF16_DB8_Li32ELi64ELb1ELi64ELb0EEEvPT0_PfPKT_PKfliilPKii: ; @_ZN5aiter37dynamic_per_group_scaled_quant_kernelIDF16_DB8_Li32ELi64ELb1ELi64ELb0EEEvPT0_PfPKT_PKfliilPKii
; %bb.0:
	s_load_dwordx2 s[0:1], s[4:5], 0x38
	s_waitcnt lgkmcnt(0)
	s_cmp_eq_u64 s[0:1], 0
	s_cbranch_scc1 .LBB18_2
; %bb.1:
	s_load_dword s2, s[4:5], 0x40
	s_load_dword s7, s[0:1], 0x0
	s_waitcnt lgkmcnt(0)
	s_mul_hi_i32 s3, s7, s2
	s_mul_i32 s2, s7, s2
	s_branch .LBB18_3
.LBB18_2:
	s_load_dwordx2 s[2:3], s[4:5], 0x20
.LBB18_3:
	s_load_dwordx2 s[8:9], s[4:5], 0x28
	s_mov_b32 s7, 0
	s_lshl_b64 s[0:1], s[6:7], 6
	v_or_b32_e32 v2, s0, v0
	v_mov_b32_e32 v3, s1
	s_waitcnt lgkmcnt(0)
	s_ashr_i32 s0, s8, 31
	s_lshr_b32 s0, s0, 26
	s_add_i32 s0, s8, s0
	s_ashr_i32 s8, s0, 6
	v_lshrrev_b64 v[18:19], 1, v[2:3]
	s_ashr_i32 s14, s8, 31
	v_or_b32_e32 v5, s14, v19
	v_mov_b32_e32 v4, 0
	v_cmp_ne_u64_e32 vcc, 0, v[4:5]
                                        ; implicit-def: $vgpr20_vgpr21
	s_and_saveexec_b64 s[0:1], vcc
	s_xor_b64 s[6:7], exec, s[0:1]
	s_cbranch_execnz .LBB18_7
; %bb.4:
	s_andn2_saveexec_b64 s[0:1], s[6:7]
	s_cbranch_execnz .LBB18_8
.LBB18_5:
	s_or_b64 exec, exec, s[0:1]
	v_cmp_gt_i64_e32 vcc, s[2:3], v[20:21]
	s_and_saveexec_b64 s[0:1], vcc
	s_cbranch_execnz .LBB18_9
.LBB18_6:
	s_endpgm
.LBB18_7:
	s_add_u32 s0, s8, s14
	s_mov_b32 s10, s14
	s_mov_b32 s11, s14
	s_addc_u32 s1, s14, s14
	s_xor_b64 s[12:13], s[0:1], s[10:11]
	v_cvt_f32_u32_e32 v1, s12
	v_cvt_f32_u32_e32 v2, s13
	s_sub_u32 s0, 0, s12
	s_subb_u32 s1, 0, s13
	v_madmk_f32 v1, v2, 0x4f800000, v1
	v_rcp_f32_e32 v1, v1
	v_mul_f32_e32 v1, 0x5f7ffffc, v1
	v_mul_f32_e32 v2, 0x2f800000, v1
	v_trunc_f32_e32 v2, v2
	v_madmk_f32 v1, v2, 0xcf800000, v1
	v_cvt_u32_f32_e32 v2, v2
	v_cvt_u32_f32_e32 v1, v1
	v_mul_lo_u32 v3, s0, v2
	v_mul_hi_u32 v5, s0, v1
	v_mul_lo_u32 v4, s1, v1
	v_add_u32_e32 v3, v5, v3
	v_mul_lo_u32 v6, s0, v1
	v_add_u32_e32 v3, v3, v4
	v_mul_lo_u32 v5, v1, v3
	v_mul_hi_u32 v7, v1, v6
	v_mul_hi_u32 v4, v1, v3
	v_add_co_u32_e32 v5, vcc, v7, v5
	v_addc_co_u32_e32 v4, vcc, 0, v4, vcc
	v_mul_hi_u32 v8, v2, v6
	v_mul_lo_u32 v6, v2, v6
	v_add_co_u32_e32 v5, vcc, v5, v6
	v_mul_hi_u32 v7, v2, v3
	v_addc_co_u32_e32 v4, vcc, v4, v8, vcc
	v_addc_co_u32_e32 v5, vcc, 0, v7, vcc
	v_mul_lo_u32 v3, v2, v3
	v_add_co_u32_e32 v3, vcc, v4, v3
	v_addc_co_u32_e32 v4, vcc, 0, v5, vcc
	v_add_co_u32_e32 v1, vcc, v1, v3
	v_addc_co_u32_e32 v2, vcc, v2, v4, vcc
	v_mul_lo_u32 v3, s0, v2
	v_mul_hi_u32 v4, s0, v1
	v_add_u32_e32 v3, v4, v3
	v_mul_lo_u32 v4, s1, v1
	v_add_u32_e32 v3, v3, v4
	v_mul_lo_u32 v5, s0, v1
	v_mul_hi_u32 v6, v2, v5
	v_mul_lo_u32 v7, v2, v5
	v_mul_lo_u32 v9, v1, v3
	v_mul_hi_u32 v5, v1, v5
	v_mul_hi_u32 v8, v1, v3
	v_add_co_u32_e32 v5, vcc, v5, v9
	v_addc_co_u32_e32 v8, vcc, 0, v8, vcc
	v_add_co_u32_e32 v5, vcc, v5, v7
	v_mul_hi_u32 v4, v2, v3
	v_addc_co_u32_e32 v5, vcc, v8, v6, vcc
	v_addc_co_u32_e32 v4, vcc, 0, v4, vcc
	v_mul_lo_u32 v3, v2, v3
	v_add_co_u32_e32 v3, vcc, v5, v3
	v_addc_co_u32_e32 v4, vcc, 0, v4, vcc
	v_add_co_u32_e32 v1, vcc, v1, v3
	v_addc_co_u32_e32 v4, vcc, v2, v4, vcc
	v_mad_u64_u32 v[2:3], s[0:1], v18, v4, 0
	v_mul_hi_u32 v5, v18, v1
	v_add_co_u32_e32 v6, vcc, v5, v2
	v_addc_co_u32_e32 v7, vcc, 0, v3, vcc
	v_mad_u64_u32 v[2:3], s[0:1], v19, v4, 0
	v_mad_u64_u32 v[4:5], s[0:1], v19, v1, 0
	v_add_co_u32_e32 v1, vcc, v6, v4
	v_addc_co_u32_e32 v1, vcc, v7, v5, vcc
	v_addc_co_u32_e32 v3, vcc, 0, v3, vcc
	v_add_co_u32_e32 v1, vcc, v1, v2
	v_addc_co_u32_e32 v4, vcc, 0, v3, vcc
	v_mul_lo_u32 v5, s13, v1
	v_mul_lo_u32 v6, s12, v4
	v_mad_u64_u32 v[2:3], s[0:1], s12, v1, 0
	v_add3_u32 v3, v3, v6, v5
	v_sub_u32_e32 v5, v19, v3
	v_mov_b32_e32 v6, s13
	v_sub_co_u32_e32 v2, vcc, v18, v2
	v_subb_co_u32_e64 v5, s[0:1], v5, v6, vcc
	v_subrev_co_u32_e64 v6, s[0:1], s12, v2
	v_subbrev_co_u32_e64 v5, s[0:1], 0, v5, s[0:1]
	v_cmp_le_u32_e64 s[0:1], s13, v5
	v_cndmask_b32_e64 v7, 0, -1, s[0:1]
	v_cmp_le_u32_e64 s[0:1], s12, v6
	v_cndmask_b32_e64 v6, 0, -1, s[0:1]
	v_cmp_eq_u32_e64 s[0:1], s13, v5
	v_cndmask_b32_e64 v5, v7, v6, s[0:1]
	v_add_co_u32_e64 v6, s[0:1], 2, v1
	v_addc_co_u32_e64 v7, s[0:1], 0, v4, s[0:1]
	v_add_co_u32_e64 v8, s[0:1], 1, v1
	v_addc_co_u32_e64 v9, s[0:1], 0, v4, s[0:1]
	v_subb_co_u32_e32 v3, vcc, v19, v3, vcc
	v_cmp_ne_u32_e64 s[0:1], 0, v5
	v_cmp_le_u32_e32 vcc, s13, v3
	v_cndmask_b32_e64 v5, v9, v7, s[0:1]
	v_cndmask_b32_e64 v7, 0, -1, vcc
	v_cmp_le_u32_e32 vcc, s12, v2
	v_cndmask_b32_e64 v2, 0, -1, vcc
	v_cmp_eq_u32_e32 vcc, s13, v3
	v_cndmask_b32_e32 v2, v7, v2, vcc
	v_cmp_ne_u32_e32 vcc, 0, v2
	v_cndmask_b32_e64 v3, v8, v6, s[0:1]
	v_cndmask_b32_e32 v1, v1, v3, vcc
	v_cndmask_b32_e32 v2, v4, v5, vcc
	v_xor_b32_e32 v1, s10, v1
	v_xor_b32_e32 v2, s11, v2
	v_mov_b32_e32 v3, s14
	v_subrev_co_u32_e32 v20, vcc, s10, v1
	v_subb_co_u32_e32 v21, vcc, v2, v3, vcc
                                        ; implicit-def: $vgpr2_vgpr3
	s_andn2_saveexec_b64 s[0:1], s[6:7]
	s_cbranch_execz .LBB18_5
.LBB18_8:
	v_cvt_f32_u32_e32 v1, s8
	s_sub_i32 s6, 0, s8
	v_alignbit_b32 v2, v3, v2, 1
	v_mov_b32_e32 v21, 0
	v_rcp_iflag_f32_e32 v1, v1
	v_mul_f32_e32 v1, 0x4f7ffffe, v1
	v_cvt_u32_f32_e32 v1, v1
	v_mul_lo_u32 v3, s6, v1
	v_mul_hi_u32 v3, v1, v3
	v_add_u32_e32 v1, v1, v3
	v_mul_hi_u32 v1, v2, v1
	v_mul_lo_u32 v3, v1, s8
	v_sub_u32_e32 v2, v2, v3
	v_add_u32_e32 v4, 1, v1
	v_subrev_u32_e32 v3, s8, v2
	v_cmp_le_u32_e32 vcc, s8, v2
	v_cndmask_b32_e32 v2, v2, v3, vcc
	v_cndmask_b32_e32 v1, v1, v4, vcc
	v_add_u32_e32 v3, 1, v1
	v_cmp_le_u32_e32 vcc, s8, v2
	v_cndmask_b32_e32 v20, v1, v3, vcc
	s_or_b64 exec, exec, s[0:1]
	v_cmp_gt_i64_e32 vcc, s[2:3], v[20:21]
	s_and_saveexec_b64 s[0:1], vcc
	s_cbranch_execz .LBB18_6
.LBB18_9:
	s_load_dwordx2 s[0:1], s[4:5], 0x10
	v_mul_lo_u32 v1, v21, s8
	v_mul_lo_u32 v4, v20, s14
	v_mad_u64_u32 v[2:3], s[6:7], v20, s8, 0
	v_add3_u32 v3, v3, v4, v1
	v_sub_co_u32_e32 v1, vcc, v18, v2
	s_ashr_i32 s6, s9, 31
	v_subb_co_u32_e32 v19, vcc, v19, v3, vcc
	v_mul_lo_u32 v4, v21, s9
	v_mul_lo_u32 v5, v20, s6
	v_mad_u64_u32 v[2:3], s[6:7], v20, s9, 0
	v_add3_u32 v3, v3, v5, v4
	v_lshlrev_b64 v[2:3], 1, v[2:3]
	v_lshlrev_b32_e32 v4, 6, v1
	v_mov_b32_e32 v5, 0
	s_waitcnt lgkmcnt(0)
	v_mov_b32_e32 v6, s1
	v_add_co_u32_e32 v7, vcc, s0, v2
	v_addc_co_u32_e32 v6, vcc, v6, v3, vcc
	v_lshlrev_b64 v[2:3], 1, v[4:5]
	v_add_co_u32_e32 v2, vcc, v7, v2
	v_and_b32_e32 v24, 1, v0
	v_addc_co_u32_e32 v3, vcc, v6, v3, vcc
	v_lshlrev_b32_e32 v4, 6, v24
	v_add_co_u32_e32 v22, vcc, v2, v4
	v_addc_co_u32_e32 v23, vcc, 0, v3, vcc
	global_load_dwordx4 v[14:17], v[22:23], off
	global_load_dwordx4 v[10:13], v[22:23], off offset:16
	global_load_dwordx4 v[6:9], v[22:23], off offset:32
	;; [unrolled: 1-line block ×3, first 2 shown]
	s_mov_b32 s6, 0x2edbe6ff
	s_load_dwordx2 s[0:1], s[4:5], 0x0
	s_waitcnt vmcnt(3)
	v_cvt_f32_f16_e64 v22, |v14|
	v_cvt_f32_f16_sdwa v23, |v14| dst_sel:DWORD dst_unused:UNUSED_PAD src0_sel:WORD_1
	v_cvt_f32_f16_e64 v25, |v15|
	v_cvt_f32_f16_sdwa v26, |v15| dst_sel:DWORD dst_unused:UNUSED_PAD src0_sel:WORD_1
	;; [unrolled: 2-line block ×4, first 2 shown]
	s_waitcnt vmcnt(2)
	v_cvt_f32_f16_e64 v31, |v10|
	v_cvt_f32_f16_sdwa v32, |v10| dst_sel:DWORD dst_unused:UNUSED_PAD src0_sel:WORD_1
	v_max3_f32 v22, v22, s6, v23
	v_cvt_f32_f16_e64 v33, |v11|
	v_cvt_f32_f16_sdwa v34, |v11| dst_sel:DWORD dst_unused:UNUSED_PAD src0_sel:WORD_1
	v_max3_f32 v22, v22, v25, v26
	v_cvt_f32_f16_e64 v35, |v12|
	v_cvt_f32_f16_sdwa v36, |v12| dst_sel:DWORD dst_unused:UNUSED_PAD src0_sel:WORD_1
	v_max3_f32 v22, v22, v27, v28
	v_cvt_f32_f16_e64 v37, |v13|
	v_cvt_f32_f16_sdwa v38, |v13| dst_sel:DWORD dst_unused:UNUSED_PAD src0_sel:WORD_1
	v_max3_f32 v22, v22, v29, v30
	s_waitcnt vmcnt(1)
	v_cvt_f32_f16_e64 v39, |v6|
	v_cvt_f32_f16_sdwa v40, |v6| dst_sel:DWORD dst_unused:UNUSED_PAD src0_sel:WORD_1
	v_max3_f32 v22, v22, v31, v32
	v_cvt_f32_f16_e64 v41, |v7|
	v_cvt_f32_f16_sdwa v42, |v7| dst_sel:DWORD dst_unused:UNUSED_PAD src0_sel:WORD_1
	v_max3_f32 v22, v22, v33, v34
	v_cvt_f32_f16_e64 v43, |v8|
	v_cvt_f32_f16_sdwa v44, |v8| dst_sel:DWORD dst_unused:UNUSED_PAD src0_sel:WORD_1
	v_max3_f32 v22, v22, v35, v36
	v_cvt_f32_f16_e64 v45, |v9|
	v_cvt_f32_f16_sdwa v46, |v9| dst_sel:DWORD dst_unused:UNUSED_PAD src0_sel:WORD_1
	v_max3_f32 v22, v22, v37, v38
	;; [unrolled: 13-line block ×3, first 2 shown]
	v_max3_f32 v22, v22, v47, v48
	v_max3_f32 v22, v22, v49, v50
	;; [unrolled: 1-line block ×4, first 2 shown]
	s_nop 1
	v_mov_b32_dpp v23, v22 quad_perm:[1,0,3,2] row_mask:0xf bank_mask:0xf
	v_cmp_gt_f32_e32 vcc, v22, v23
	v_cndmask_b32_e32 v22, v23, v22, vcc
	v_mul_f32_e32 v22, 0x3b124925, v22
	v_cmp_eq_u32_e32 vcc, 0, v24
	s_and_saveexec_b64 s[6:7], vcc
	s_cbranch_execz .LBB18_11
; %bb.10:
	s_load_dwordx2 s[8:9], s[4:5], 0x8
	v_mul_lo_u32 v19, v19, s2
	v_mul_lo_u32 v23, v1, s3
	v_mad_u64_u32 v[24:25], s[2:3], v1, s2, 0
	v_add3_u32 v25, v25, v23, v19
	v_lshlrev_b64 v[24:25], 2, v[24:25]
	s_waitcnt lgkmcnt(0)
	v_mov_b32_e32 v1, s9
	v_add_co_u32_e32 v19, vcc, s8, v24
	v_addc_co_u32_e32 v1, vcc, v1, v25, vcc
	v_lshlrev_b64 v[20:21], 2, v[20:21]
	v_add_co_u32_e32 v20, vcc, v19, v20
	v_addc_co_u32_e32 v21, vcc, v1, v21, vcc
	global_store_dword v[20:21], v22, off
.LBB18_11:
	s_or_b64 exec, exec, s[6:7]
	v_div_scale_f32 v1, s[2:3], v22, v22, 1.0
	v_rcp_f32_e32 v19, v1
	v_lshlrev_b32_e32 v20, 6, v18
	v_lshlrev_b32_e32 v0, 5, v0
	v_and_or_b32 v30, v0, 32, v20
	v_fma_f32 v18, -v1, v19, 1.0
	v_fmac_f32_e32 v19, v18, v19
	v_div_scale_f32 v18, vcc, 1.0, v22, 1.0
	v_mul_f32_e32 v21, v18, v19
	v_fma_f32 v23, -v1, v21, v18
	v_fmac_f32_e32 v21, v23, v19
	v_fma_f32 v1, -v1, v21, v18
	v_div_fmas_f32 v1, v1, v19, v21
	v_div_fixup_f32 v18, v1, v22, 1.0
	v_cvt_f32_f16_e32 v0, v14
	v_cvt_f32_f16_sdwa v1, v14 dst_sel:DWORD dst_unused:UNUSED_PAD src0_sel:WORD_1
	v_mov_b32_e32 v19, v18
	;;#ASMSTART
	v_pk_mul_f32 v[0:1], v[0:1], v[18:19]
	;;#ASMEND
	v_cvt_f32_f16_e32 v22, v10
	v_cvt_f32_f16_sdwa v23, v10 dst_sel:DWORD dst_unused:UNUSED_PAD src0_sel:WORD_1
	v_mov_b32_e32 v31, 0xc3e00000
	v_mov_b32_e32 v32, 0x43e00000
	;;#ASMSTART
	v_med3_f32 v0, v0, v31, v32
v_med3_f32 v1, v1, v31, v32
v_cvt_pk_fp8_f32 v10, v0, v1
	;;#ASMEND
	v_cvt_f32_f16_e32 v14, v15
	v_cvt_f32_f16_sdwa v15, v15 dst_sel:DWORD dst_unused:UNUSED_PAD src0_sel:WORD_1
	;;#ASMSTART
	v_pk_mul_f32 v[0:1], v[14:15], v[18:19]
	;;#ASMEND
	s_load_dword s2, s[4:5], 0x30
	v_cvt_f32_f16_e32 v24, v11
	v_cvt_f32_f16_sdwa v25, v11 dst_sel:DWORD dst_unused:UNUSED_PAD src0_sel:WORD_1
	;;#ASMSTART
	v_med3_f32 v0, v0, v31, v32
v_med3_f32 v1, v1, v31, v32
v_cvt_pk_fp8_f32 v11, v0, v1
	;;#ASMEND
	s_mov_b32 s4, 0x5040100
	v_perm_b32 v0, v11, v10, s4
	s_mov_b32 s5, 0x1060504
	v_cvt_f32_f16_e32 v20, v16
	v_cvt_f32_f16_sdwa v21, v16 dst_sel:DWORD dst_unused:UNUSED_PAD src0_sel:WORD_1
	v_perm_b32 v10, v0, v11, s5
	;;#ASMSTART
	v_pk_mul_f32 v[0:1], v[20:21], v[18:19]
	;;#ASMEND
	;;#ASMSTART
	v_med3_f32 v0, v0, v31, v32
v_med3_f32 v1, v1, v31, v32
v_cvt_pk_fp8_f32 v11, v0, v1
	;;#ASMEND
	v_cvt_f32_f16_e32 v16, v17
	v_cvt_f32_f16_sdwa v17, v17 dst_sel:DWORD dst_unused:UNUSED_PAD src0_sel:WORD_1
	;;#ASMSTART
	v_pk_mul_f32 v[0:1], v[16:17], v[18:19]
	;;#ASMEND
	v_cvt_f32_f16_e32 v26, v12
	v_cvt_f32_f16_sdwa v27, v12 dst_sel:DWORD dst_unused:UNUSED_PAD src0_sel:WORD_1
	;;#ASMSTART
	v_med3_f32 v0, v0, v31, v32
v_med3_f32 v1, v1, v31, v32
v_cvt_pk_fp8_f32 v12, v0, v1
	;;#ASMEND
	s_mov_b32 s6, 0x1000504
	;;#ASMSTART
	v_pk_mul_f32 v[0:1], v[22:23], v[18:19]
	;;#ASMEND
	v_perm_b32 v11, v11, v12, s6
	;;#ASMSTART
	v_med3_f32 v0, v0, v31, v32
v_med3_f32 v1, v1, v31, v32
v_cvt_pk_fp8_f32 v12, v0, v1
	;;#ASMEND
	;;#ASMSTART
	v_pk_mul_f32 v[0:1], v[24:25], v[18:19]
	;;#ASMEND
	v_cvt_f32_f16_e32 v28, v13
	v_cvt_f32_f16_sdwa v29, v13 dst_sel:DWORD dst_unused:UNUSED_PAD src0_sel:WORD_1
	;;#ASMSTART
	v_med3_f32 v0, v0, v31, v32
v_med3_f32 v1, v1, v31, v32
v_cvt_pk_fp8_f32 v13, v0, v1
	;;#ASMEND
	;;#ASMSTART
	v_pk_mul_f32 v[0:1], v[26:27], v[18:19]
	;;#ASMEND
	v_perm_b32 v12, v12, v13, s6
	;;#ASMSTART
	v_med3_f32 v0, v0, v31, v32
v_med3_f32 v1, v1, v31, v32
v_cvt_pk_fp8_f32 v13, v0, v1
	;;#ASMEND
	;;#ASMSTART
	v_pk_mul_f32 v[0:1], v[28:29], v[18:19]
	;;#ASMEND
	;;#ASMSTART
	v_med3_f32 v0, v0, v31, v32
v_med3_f32 v1, v1, v31, v32
v_cvt_pk_fp8_f32 v14, v0, v1
	;;#ASMEND
	s_waitcnt lgkmcnt(0)
	s_and_b32 s1, s1, 0xffff
	s_mov_b32 s3, 0x20000
	v_perm_b32 v13, v13, v14, s6
	v_cvt_f32_f16_e32 v0, v6
	v_cvt_f32_f16_sdwa v1, v6 dst_sel:DWORD dst_unused:UNUSED_PAD src0_sel:WORD_1
	buffer_store_dwordx4 v[10:13], v30, s[0:3], 0 offen
	;;#ASMSTART
	s_nop 0
	;;#ASMEND
	;;#ASMSTART
	v_pk_mul_f32 v[0:1], v[0:1], v[18:19]
	;;#ASMEND
	;;#ASMSTART
	v_med3_f32 v0, v0, v31, v32
v_med3_f32 v1, v1, v31, v32
v_cvt_pk_fp8_f32 v16, v0, v1
	;;#ASMEND
	v_cvt_f32_f16_e32 v6, v7
	v_cvt_f32_f16_sdwa v7, v7 dst_sel:DWORD dst_unused:UNUSED_PAD src0_sel:WORD_1
	;;#ASMSTART
	v_pk_mul_f32 v[0:1], v[6:7], v[18:19]
	;;#ASMEND
	;;#ASMSTART
	v_med3_f32 v0, v0, v31, v32
v_med3_f32 v1, v1, v31, v32
v_cvt_pk_fp8_f32 v6, v0, v1
	;;#ASMEND
	v_perm_b32 v0, v6, v16, s4
	v_cvt_f32_f16_e32 v10, v8
	v_cvt_f32_f16_sdwa v11, v8 dst_sel:DWORD dst_unused:UNUSED_PAD src0_sel:WORD_1
	v_perm_b32 v0, v0, v6, s5
	;;#ASMSTART
	v_pk_mul_f32 v[6:7], v[10:11], v[18:19]
	;;#ASMEND
	v_mov_b32_e32 v1, v7
	;;#ASMSTART
	v_med3_f32 v6, v6, v31, v32
v_med3_f32 v1, v1, v31, v32
v_cvt_pk_fp8_f32 v10, v6, v1
	;;#ASMEND
	v_cvt_f32_f16_e32 v8, v9
	v_cvt_f32_f16_sdwa v9, v9 dst_sel:DWORD dst_unused:UNUSED_PAD src0_sel:WORD_1
	;;#ASMSTART
	v_pk_mul_f32 v[6:7], v[8:9], v[18:19]
	;;#ASMEND
	v_mov_b32_e32 v1, v7
	;;#ASMSTART
	v_med3_f32 v6, v6, v31, v32
v_med3_f32 v1, v1, v31, v32
v_cvt_pk_fp8_f32 v7, v6, v1
	;;#ASMEND
	v_cvt_f32_f16_e32 v12, v2
	v_cvt_f32_f16_sdwa v13, v2 dst_sel:DWORD dst_unused:UNUSED_PAD src0_sel:WORD_1
	v_cvt_f32_f16_e32 v2, v3
	v_cvt_f32_f16_sdwa v3, v3 dst_sel:DWORD dst_unused:UNUSED_PAD src0_sel:WORD_1
	v_perm_b32 v1, v10, v7, s6
	;;#ASMSTART
	v_pk_mul_f32 v[6:7], v[12:13], v[18:19]
	;;#ASMEND
	;;#ASMSTART
	v_med3_f32 v6, v6, v31, v32
v_med3_f32 v7, v7, v31, v32
v_cvt_pk_fp8_f32 v8, v6, v7
	;;#ASMEND
	;;#ASMSTART
	v_pk_mul_f32 v[2:3], v[2:3], v[18:19]
	;;#ASMEND
	;;#ASMSTART
	v_med3_f32 v2, v2, v31, v32
v_med3_f32 v3, v3, v31, v32
v_cvt_pk_fp8_f32 v6, v2, v3
	;;#ASMEND
	v_cvt_f32_f16_e32 v14, v4
	v_cvt_f32_f16_sdwa v15, v4 dst_sel:DWORD dst_unused:UNUSED_PAD src0_sel:WORD_1
	v_perm_b32 v2, v8, v6, s6
	;;#ASMSTART
	v_pk_mul_f32 v[6:7], v[14:15], v[18:19]
	;;#ASMEND
	v_mov_b32_e32 v3, v7
	v_cvt_f32_f16_e32 v4, v5
	v_cvt_f32_f16_sdwa v5, v5 dst_sel:DWORD dst_unused:UNUSED_PAD src0_sel:WORD_1
	;;#ASMSTART
	v_med3_f32 v6, v6, v31, v32
v_med3_f32 v3, v3, v31, v32
v_cvt_pk_fp8_f32 v7, v6, v3
	;;#ASMEND
	;;#ASMSTART
	v_pk_mul_f32 v[4:5], v[4:5], v[18:19]
	;;#ASMEND
	v_mov_b32_e32 v3, v5
	;;#ASMSTART
	v_med3_f32 v4, v4, v31, v32
v_med3_f32 v3, v3, v31, v32
v_cvt_pk_fp8_f32 v5, v4, v3
	;;#ASMEND
	v_perm_b32 v3, v7, v5, s6
	buffer_store_dwordx4 v[0:3], v30, s[0:3], 16 offen
	;;#ASMSTART
	s_nop 0
	;;#ASMEND
	s_endpgm
	.section	.rodata,"a",@progbits
	.p2align	6, 0x0
	.amdhsa_kernel _ZN5aiter37dynamic_per_group_scaled_quant_kernelIDF16_DB8_Li32ELi64ELb1ELi64ELb0EEEvPT0_PfPKT_PKfliilPKii
		.amdhsa_group_segment_fixed_size 0
		.amdhsa_private_segment_fixed_size 0
		.amdhsa_kernarg_size 68
		.amdhsa_user_sgpr_count 6
		.amdhsa_user_sgpr_private_segment_buffer 1
		.amdhsa_user_sgpr_dispatch_ptr 0
		.amdhsa_user_sgpr_queue_ptr 0
		.amdhsa_user_sgpr_kernarg_segment_ptr 1
		.amdhsa_user_sgpr_dispatch_id 0
		.amdhsa_user_sgpr_flat_scratch_init 0
		.amdhsa_user_sgpr_kernarg_preload_length 0
		.amdhsa_user_sgpr_kernarg_preload_offset 0
		.amdhsa_user_sgpr_private_segment_size 0
		.amdhsa_uses_dynamic_stack 0
		.amdhsa_system_sgpr_private_segment_wavefront_offset 0
		.amdhsa_system_sgpr_workgroup_id_x 1
		.amdhsa_system_sgpr_workgroup_id_y 0
		.amdhsa_system_sgpr_workgroup_id_z 0
		.amdhsa_system_sgpr_workgroup_info 0
		.amdhsa_system_vgpr_workitem_id 0
		.amdhsa_next_free_vgpr 55
		.amdhsa_next_free_sgpr 15
		.amdhsa_accum_offset 56
		.amdhsa_reserve_vcc 1
		.amdhsa_reserve_flat_scratch 0
		.amdhsa_float_round_mode_32 0
		.amdhsa_float_round_mode_16_64 0
		.amdhsa_float_denorm_mode_32 3
		.amdhsa_float_denorm_mode_16_64 3
		.amdhsa_dx10_clamp 1
		.amdhsa_ieee_mode 1
		.amdhsa_fp16_overflow 0
		.amdhsa_tg_split 0
		.amdhsa_exception_fp_ieee_invalid_op 0
		.amdhsa_exception_fp_denorm_src 0
		.amdhsa_exception_fp_ieee_div_zero 0
		.amdhsa_exception_fp_ieee_overflow 0
		.amdhsa_exception_fp_ieee_underflow 0
		.amdhsa_exception_fp_ieee_inexact 0
		.amdhsa_exception_int_div_zero 0
	.end_amdhsa_kernel
	.section	.text._ZN5aiter37dynamic_per_group_scaled_quant_kernelIDF16_DB8_Li32ELi64ELb1ELi64ELb0EEEvPT0_PfPKT_PKfliilPKii,"axG",@progbits,_ZN5aiter37dynamic_per_group_scaled_quant_kernelIDF16_DB8_Li32ELi64ELb1ELi64ELb0EEEvPT0_PfPKT_PKfliilPKii,comdat
.Lfunc_end18:
	.size	_ZN5aiter37dynamic_per_group_scaled_quant_kernelIDF16_DB8_Li32ELi64ELb1ELi64ELb0EEEvPT0_PfPKT_PKfliilPKii, .Lfunc_end18-_ZN5aiter37dynamic_per_group_scaled_quant_kernelIDF16_DB8_Li32ELi64ELb1ELi64ELb0EEEvPT0_PfPKT_PKfliilPKii
                                        ; -- End function
	.section	.AMDGPU.csdata,"",@progbits
; Kernel info:
; codeLenInByte = 2680
; NumSgprs: 19
; NumVgprs: 55
; NumAgprs: 0
; TotalNumVgprs: 55
; ScratchSize: 0
; MemoryBound: 0
; FloatMode: 240
; IeeeMode: 1
; LDSByteSize: 0 bytes/workgroup (compile time only)
; SGPRBlocks: 2
; VGPRBlocks: 6
; NumSGPRsForWavesPerEU: 19
; NumVGPRsForWavesPerEU: 55
; AccumOffset: 56
; Occupancy: 8
; WaveLimiterHint : 0
; COMPUTE_PGM_RSRC2:SCRATCH_EN: 0
; COMPUTE_PGM_RSRC2:USER_SGPR: 6
; COMPUTE_PGM_RSRC2:TRAP_HANDLER: 0
; COMPUTE_PGM_RSRC2:TGID_X_EN: 1
; COMPUTE_PGM_RSRC2:TGID_Y_EN: 0
; COMPUTE_PGM_RSRC2:TGID_Z_EN: 0
; COMPUTE_PGM_RSRC2:TIDIG_COMP_CNT: 0
; COMPUTE_PGM_RSRC3_GFX90A:ACCUM_OFFSET: 13
; COMPUTE_PGM_RSRC3_GFX90A:TG_SPLIT: 0
	.section	.text._ZN5aiter37dynamic_per_group_scaled_quant_kernelItDB8_Li32ELi64ELb1ELi64ELb0EEEvPT0_PfPKT_PKfliilPKii,"axG",@progbits,_ZN5aiter37dynamic_per_group_scaled_quant_kernelItDB8_Li32ELi64ELb1ELi64ELb0EEEvPT0_PfPKT_PKfliilPKii,comdat
	.protected	_ZN5aiter37dynamic_per_group_scaled_quant_kernelItDB8_Li32ELi64ELb1ELi64ELb0EEEvPT0_PfPKT_PKfliilPKii ; -- Begin function _ZN5aiter37dynamic_per_group_scaled_quant_kernelItDB8_Li32ELi64ELb1ELi64ELb0EEEvPT0_PfPKT_PKfliilPKii
	.globl	_ZN5aiter37dynamic_per_group_scaled_quant_kernelItDB8_Li32ELi64ELb1ELi64ELb0EEEvPT0_PfPKT_PKfliilPKii
	.p2align	8
	.type	_ZN5aiter37dynamic_per_group_scaled_quant_kernelItDB8_Li32ELi64ELb1ELi64ELb0EEEvPT0_PfPKT_PKfliilPKii,@function
_ZN5aiter37dynamic_per_group_scaled_quant_kernelItDB8_Li32ELi64ELb1ELi64ELb0EEEvPT0_PfPKT_PKfliilPKii: ; @_ZN5aiter37dynamic_per_group_scaled_quant_kernelItDB8_Li32ELi64ELb1ELi64ELb0EEEvPT0_PfPKT_PKfliilPKii
; %bb.0:
	s_load_dwordx2 s[0:1], s[4:5], 0x38
	s_waitcnt lgkmcnt(0)
	s_cmp_eq_u64 s[0:1], 0
	s_cbranch_scc1 .LBB19_2
; %bb.1:
	s_load_dword s2, s[4:5], 0x40
	s_load_dword s7, s[0:1], 0x0
	s_waitcnt lgkmcnt(0)
	s_mul_hi_i32 s3, s7, s2
	s_mul_i32 s2, s7, s2
	s_branch .LBB19_3
.LBB19_2:
	s_load_dwordx2 s[2:3], s[4:5], 0x20
.LBB19_3:
	s_load_dwordx2 s[8:9], s[4:5], 0x28
	s_mov_b32 s7, 0
	s_lshl_b64 s[0:1], s[6:7], 6
	v_or_b32_e32 v4, s0, v0
	v_mov_b32_e32 v5, s1
	s_waitcnt lgkmcnt(0)
	s_ashr_i32 s0, s8, 31
	s_lshr_b32 s0, s0, 26
	s_add_i32 s0, s8, s0
	s_ashr_i32 s8, s0, 6
	v_lshrrev_b64 v[2:3], 1, v[4:5]
	s_ashr_i32 s14, s8, 31
	v_or_b32_e32 v7, s14, v3
	v_mov_b32_e32 v6, 0
	v_cmp_ne_u64_e32 vcc, 0, v[6:7]
                                        ; implicit-def: $vgpr8_vgpr9
	s_and_saveexec_b64 s[0:1], vcc
	s_xor_b64 s[6:7], exec, s[0:1]
	s_cbranch_execnz .LBB19_7
; %bb.4:
	s_andn2_saveexec_b64 s[0:1], s[6:7]
	s_cbranch_execnz .LBB19_8
.LBB19_5:
	s_or_b64 exec, exec, s[0:1]
	v_cmp_gt_i64_e32 vcc, s[2:3], v[8:9]
	s_and_saveexec_b64 s[0:1], vcc
	s_cbranch_execnz .LBB19_9
.LBB19_6:
	s_endpgm
.LBB19_7:
	s_add_u32 s0, s8, s14
	s_mov_b32 s10, s14
	s_mov_b32 s11, s14
	s_addc_u32 s1, s14, s14
	s_xor_b64 s[12:13], s[0:1], s[10:11]
	v_cvt_f32_u32_e32 v1, s12
	v_cvt_f32_u32_e32 v4, s13
	s_sub_u32 s0, 0, s12
	s_subb_u32 s1, 0, s13
	v_madmk_f32 v1, v4, 0x4f800000, v1
	v_rcp_f32_e32 v1, v1
	v_mul_f32_e32 v1, 0x5f7ffffc, v1
	v_mul_f32_e32 v4, 0x2f800000, v1
	v_trunc_f32_e32 v4, v4
	v_madmk_f32 v1, v4, 0xcf800000, v1
	v_cvt_u32_f32_e32 v4, v4
	v_cvt_u32_f32_e32 v1, v1
	v_mul_lo_u32 v5, s0, v4
	v_mul_hi_u32 v7, s0, v1
	v_mul_lo_u32 v6, s1, v1
	v_add_u32_e32 v5, v7, v5
	v_mul_lo_u32 v8, s0, v1
	v_add_u32_e32 v5, v5, v6
	v_mul_lo_u32 v7, v1, v5
	v_mul_hi_u32 v9, v1, v8
	v_mul_hi_u32 v6, v1, v5
	v_add_co_u32_e32 v7, vcc, v9, v7
	v_addc_co_u32_e32 v6, vcc, 0, v6, vcc
	v_mul_hi_u32 v10, v4, v8
	v_mul_lo_u32 v8, v4, v8
	v_add_co_u32_e32 v7, vcc, v7, v8
	v_mul_hi_u32 v9, v4, v5
	v_addc_co_u32_e32 v6, vcc, v6, v10, vcc
	v_addc_co_u32_e32 v7, vcc, 0, v9, vcc
	v_mul_lo_u32 v5, v4, v5
	v_add_co_u32_e32 v5, vcc, v6, v5
	v_addc_co_u32_e32 v6, vcc, 0, v7, vcc
	v_add_co_u32_e32 v1, vcc, v1, v5
	v_addc_co_u32_e32 v4, vcc, v4, v6, vcc
	v_mul_lo_u32 v5, s0, v4
	v_mul_hi_u32 v6, s0, v1
	v_add_u32_e32 v5, v6, v5
	v_mul_lo_u32 v6, s1, v1
	v_add_u32_e32 v5, v5, v6
	v_mul_lo_u32 v7, s0, v1
	v_mul_hi_u32 v8, v4, v7
	v_mul_lo_u32 v9, v4, v7
	v_mul_lo_u32 v11, v1, v5
	v_mul_hi_u32 v7, v1, v7
	v_mul_hi_u32 v10, v1, v5
	v_add_co_u32_e32 v7, vcc, v7, v11
	v_addc_co_u32_e32 v10, vcc, 0, v10, vcc
	v_add_co_u32_e32 v7, vcc, v7, v9
	v_mul_hi_u32 v6, v4, v5
	v_addc_co_u32_e32 v7, vcc, v10, v8, vcc
	v_addc_co_u32_e32 v6, vcc, 0, v6, vcc
	v_mul_lo_u32 v5, v4, v5
	v_add_co_u32_e32 v5, vcc, v7, v5
	v_addc_co_u32_e32 v6, vcc, 0, v6, vcc
	v_add_co_u32_e32 v1, vcc, v1, v5
	v_addc_co_u32_e32 v6, vcc, v4, v6, vcc
	v_mad_u64_u32 v[4:5], s[0:1], v2, v6, 0
	v_mul_hi_u32 v7, v2, v1
	v_add_co_u32_e32 v8, vcc, v7, v4
	v_addc_co_u32_e32 v9, vcc, 0, v5, vcc
	v_mad_u64_u32 v[4:5], s[0:1], v3, v6, 0
	v_mad_u64_u32 v[6:7], s[0:1], v3, v1, 0
	v_add_co_u32_e32 v1, vcc, v8, v6
	v_addc_co_u32_e32 v1, vcc, v9, v7, vcc
	v_addc_co_u32_e32 v5, vcc, 0, v5, vcc
	v_add_co_u32_e32 v1, vcc, v1, v4
	v_addc_co_u32_e32 v6, vcc, 0, v5, vcc
	v_mul_lo_u32 v7, s13, v1
	v_mul_lo_u32 v8, s12, v6
	v_mad_u64_u32 v[4:5], s[0:1], s12, v1, 0
	v_add3_u32 v5, v5, v8, v7
	v_sub_u32_e32 v7, v3, v5
	v_mov_b32_e32 v8, s13
	v_sub_co_u32_e32 v4, vcc, v2, v4
	v_subb_co_u32_e64 v7, s[0:1], v7, v8, vcc
	v_subrev_co_u32_e64 v8, s[0:1], s12, v4
	v_subbrev_co_u32_e64 v7, s[0:1], 0, v7, s[0:1]
	v_cmp_le_u32_e64 s[0:1], s13, v7
	v_cndmask_b32_e64 v9, 0, -1, s[0:1]
	v_cmp_le_u32_e64 s[0:1], s12, v8
	v_cndmask_b32_e64 v8, 0, -1, s[0:1]
	v_cmp_eq_u32_e64 s[0:1], s13, v7
	v_cndmask_b32_e64 v7, v9, v8, s[0:1]
	v_add_co_u32_e64 v8, s[0:1], 2, v1
	v_addc_co_u32_e64 v9, s[0:1], 0, v6, s[0:1]
	v_add_co_u32_e64 v10, s[0:1], 1, v1
	v_addc_co_u32_e64 v11, s[0:1], 0, v6, s[0:1]
	v_subb_co_u32_e32 v5, vcc, v3, v5, vcc
	v_cmp_ne_u32_e64 s[0:1], 0, v7
	v_cmp_le_u32_e32 vcc, s13, v5
	v_cndmask_b32_e64 v7, v11, v9, s[0:1]
	v_cndmask_b32_e64 v9, 0, -1, vcc
	v_cmp_le_u32_e32 vcc, s12, v4
	v_cndmask_b32_e64 v4, 0, -1, vcc
	v_cmp_eq_u32_e32 vcc, s13, v5
	v_cndmask_b32_e32 v4, v9, v4, vcc
	v_cmp_ne_u32_e32 vcc, 0, v4
	v_cndmask_b32_e64 v5, v10, v8, s[0:1]
	v_cndmask_b32_e32 v1, v1, v5, vcc
	v_cndmask_b32_e32 v4, v6, v7, vcc
	v_xor_b32_e32 v1, s10, v1
	v_xor_b32_e32 v4, s11, v4
	v_mov_b32_e32 v5, s14
	v_subrev_co_u32_e32 v8, vcc, s10, v1
	v_subb_co_u32_e32 v9, vcc, v4, v5, vcc
                                        ; implicit-def: $vgpr4_vgpr5
	s_andn2_saveexec_b64 s[0:1], s[6:7]
	s_cbranch_execz .LBB19_5
.LBB19_8:
	v_cvt_f32_u32_e32 v1, s8
	s_sub_i32 s6, 0, s8
	v_alignbit_b32 v4, v5, v4, 1
	v_mov_b32_e32 v9, 0
	v_rcp_iflag_f32_e32 v1, v1
	v_mul_f32_e32 v1, 0x4f7ffffe, v1
	v_cvt_u32_f32_e32 v1, v1
	v_mul_lo_u32 v5, s6, v1
	v_mul_hi_u32 v5, v1, v5
	v_add_u32_e32 v1, v1, v5
	v_mul_hi_u32 v1, v4, v1
	v_mul_lo_u32 v5, v1, s8
	v_sub_u32_e32 v4, v4, v5
	v_add_u32_e32 v6, 1, v1
	v_subrev_u32_e32 v5, s8, v4
	v_cmp_le_u32_e32 vcc, s8, v4
	v_cndmask_b32_e32 v4, v4, v5, vcc
	v_cndmask_b32_e32 v1, v1, v6, vcc
	v_add_u32_e32 v5, 1, v1
	v_cmp_le_u32_e32 vcc, s8, v4
	v_cndmask_b32_e32 v8, v1, v5, vcc
	s_or_b64 exec, exec, s[0:1]
	v_cmp_gt_i64_e32 vcc, s[2:3], v[8:9]
	s_and_saveexec_b64 s[0:1], vcc
	s_cbranch_execz .LBB19_6
.LBB19_9:
	s_load_dwordx2 s[0:1], s[4:5], 0x10
	v_mul_lo_u32 v1, v9, s8
	v_mul_lo_u32 v6, v8, s14
	v_mad_u64_u32 v[4:5], s[6:7], v8, s8, 0
	v_add3_u32 v5, v5, v6, v1
	v_sub_co_u32_e32 v1, vcc, v2, v4
	s_ashr_i32 s6, s9, 31
	v_subb_co_u32_e32 v3, vcc, v3, v5, vcc
	v_mul_lo_u32 v6, v9, s9
	v_mul_lo_u32 v7, v8, s6
	v_mad_u64_u32 v[4:5], s[6:7], v8, s9, 0
	v_add3_u32 v5, v5, v7, v6
	v_lshlrev_b64 v[4:5], 1, v[4:5]
	v_lshlrev_b32_e32 v6, 6, v1
	v_mov_b32_e32 v7, 0
	s_waitcnt lgkmcnt(0)
	v_mov_b32_e32 v10, s1
	v_add_co_u32_e32 v11, vcc, s0, v4
	v_addc_co_u32_e32 v10, vcc, v10, v5, vcc
	v_lshlrev_b64 v[4:5], 1, v[6:7]
	v_add_co_u32_e32 v4, vcc, v11, v4
	v_and_b32_e32 v46, 1, v0
	v_addc_co_u32_e32 v5, vcc, v10, v5, vcc
	v_lshlrev_b32_e32 v6, 6, v46
	v_add_co_u32_e32 v14, vcc, v4, v6
	v_addc_co_u32_e32 v15, vcc, 0, v5, vcc
	global_load_dwordx4 v[4:7], v[14:15], off
	global_load_dwordx4 v[10:13], v[14:15], off offset:16
	global_load_dwordx4 v[38:41], v[14:15], off offset:32
	;; [unrolled: 1-line block ×3, first 2 shown]
	s_mov_b32 s6, 0x2edbe6ff
	s_load_dwordx2 s[0:1], s[4:5], 0x0
	s_waitcnt vmcnt(3)
	v_cvt_f32_u32_sdwa v37, v4 dst_sel:DWORD dst_unused:UNUSED_PAD src0_sel:WORD_1
	v_cvt_f32_u32_sdwa v36, v4 dst_sel:DWORD dst_unused:UNUSED_PAD src0_sel:WORD_0
	v_cvt_f32_u32_sdwa v35, v5 dst_sel:DWORD dst_unused:UNUSED_PAD src0_sel:WORD_1
	v_cvt_f32_u32_sdwa v34, v5 dst_sel:DWORD dst_unused:UNUSED_PAD src0_sel:WORD_0
	;; [unrolled: 2-line block ×4, first 2 shown]
	s_waitcnt vmcnt(2)
	v_cvt_f32_u32_sdwa v29, v10 dst_sel:DWORD dst_unused:UNUSED_PAD src0_sel:WORD_1
	v_cvt_f32_u32_sdwa v28, v10 dst_sel:DWORD dst_unused:UNUSED_PAD src0_sel:WORD_0
	s_waitcnt vmcnt(1)
	v_cvt_f32_u32_sdwa v21, v38 dst_sel:DWORD dst_unused:UNUSED_PAD src0_sel:WORD_1
	v_cvt_f32_u32_sdwa v20, v38 dst_sel:DWORD dst_unused:UNUSED_PAD src0_sel:WORD_0
	v_max3_f32 v38, v36, s6, v37
	v_cvt_f32_u32_sdwa v27, v11 dst_sel:DWORD dst_unused:UNUSED_PAD src0_sel:WORD_1
	v_cvt_f32_u32_sdwa v26, v11 dst_sel:DWORD dst_unused:UNUSED_PAD src0_sel:WORD_0
	v_max3_f32 v38, v38, v34, v35
	;; [unrolled: 3-line block ×4, first 2 shown]
	v_max3_f32 v38, v38, v28, v29
	v_cvt_f32_u32_sdwa v19, v39 dst_sel:DWORD dst_unused:UNUSED_PAD src0_sel:WORD_1
	v_cvt_f32_u32_sdwa v18, v39 dst_sel:DWORD dst_unused:UNUSED_PAD src0_sel:WORD_0
	v_max3_f32 v38, v38, v26, v27
	v_cvt_f32_u32_sdwa v17, v40 dst_sel:DWORD dst_unused:UNUSED_PAD src0_sel:WORD_1
	v_cvt_f32_u32_sdwa v16, v40 dst_sel:DWORD dst_unused:UNUSED_PAD src0_sel:WORD_0
	;; [unrolled: 3-line block ×3, first 2 shown]
	v_max3_f32 v38, v38, v22, v23
	s_waitcnt vmcnt(0)
	v_cvt_f32_u32_sdwa v13, v42 dst_sel:DWORD dst_unused:UNUSED_PAD src0_sel:WORD_1
	v_cvt_f32_u32_sdwa v12, v42 dst_sel:DWORD dst_unused:UNUSED_PAD src0_sel:WORD_0
	v_max3_f32 v38, v38, v20, v21
	v_cvt_f32_u32_sdwa v11, v43 dst_sel:DWORD dst_unused:UNUSED_PAD src0_sel:WORD_1
	v_cvt_f32_u32_sdwa v10, v43 dst_sel:DWORD dst_unused:UNUSED_PAD src0_sel:WORD_0
	v_max3_f32 v38, v38, v18, v19
	;; [unrolled: 3-line block ×4, first 2 shown]
	v_max3_f32 v38, v38, v12, v13
	v_max3_f32 v38, v38, v10, v11
	;; [unrolled: 1-line block ×4, first 2 shown]
	s_nop 1
	v_mov_b32_dpp v39, v38 quad_perm:[1,0,3,2] row_mask:0xf bank_mask:0xf
	v_cmp_gt_f32_e32 vcc, v38, v39
	v_cndmask_b32_e32 v38, v39, v38, vcc
	v_mul_f32_e32 v38, 0x3b124925, v38
	v_cmp_eq_u32_e32 vcc, 0, v46
	s_and_saveexec_b64 s[6:7], vcc
	s_cbranch_execz .LBB19_11
; %bb.10:
	s_load_dwordx2 s[8:9], s[4:5], 0x8
	v_mul_lo_u32 v3, v3, s2
	v_mul_lo_u32 v39, v1, s3
	v_mad_u64_u32 v[40:41], s[2:3], v1, s2, 0
	v_add3_u32 v41, v41, v39, v3
	v_lshlrev_b64 v[40:41], 2, v[40:41]
	s_waitcnt lgkmcnt(0)
	v_mov_b32_e32 v1, s9
	v_add_co_u32_e32 v3, vcc, s8, v40
	v_addc_co_u32_e32 v1, vcc, v1, v41, vcc
	v_lshlrev_b64 v[8:9], 2, v[8:9]
	v_add_co_u32_e32 v8, vcc, v3, v8
	v_addc_co_u32_e32 v9, vcc, v1, v9, vcc
	global_store_dword v[8:9], v38, off
.LBB19_11:
	s_or_b64 exec, exec, s[6:7]
	v_div_scale_f32 v1, s[2:3], v38, v38, 1.0
	v_rcp_f32_e32 v3, v1
	v_lshlrev_b32_e32 v2, 6, v2
	v_lshlrev_b32_e32 v0, 5, v0
	s_load_dword s2, s[4:5], 0x30
	v_fma_f32 v8, -v1, v3, 1.0
	v_fmac_f32_e32 v3, v8, v3
	v_div_scale_f32 v8, vcc, 1.0, v38, 1.0
	v_mul_f32_e32 v9, v8, v3
	v_fma_f32 v39, -v1, v9, v8
	v_fmac_f32_e32 v9, v39, v3
	v_fma_f32 v1, -v1, v9, v8
	v_div_fmas_f32 v1, v1, v3, v9
	v_div_fixup_f32 v8, v1, v38, 1.0
	v_and_or_b32 v38, v0, 32, v2
	v_mov_b32_e32 v9, v8
	;;#ASMSTART
	v_pk_mul_f32 v[0:1], v[36:37], v[8:9]
	;;#ASMEND
	v_mov_b32_e32 v36, 0xc3e00000
	v_mov_b32_e32 v37, 0x43e00000
	;;#ASMSTART
	v_med3_f32 v0, v0, v36, v37
v_med3_f32 v1, v1, v36, v37
v_cvt_pk_fp8_f32 v2, v0, v1
	;;#ASMEND
	;;#ASMSTART
	v_pk_mul_f32 v[0:1], v[34:35], v[8:9]
	;;#ASMEND
	;;#ASMSTART
	v_med3_f32 v0, v0, v36, v37
v_med3_f32 v1, v1, v36, v37
v_cvt_pk_fp8_f32 v3, v0, v1
	;;#ASMEND
	s_mov_b32 s4, 0x5040100
	v_perm_b32 v0, v3, v2, s4
	s_mov_b32 s5, 0x1060504
	v_perm_b32 v0, v0, v3, s5
	;;#ASMSTART
	v_pk_mul_f32 v[2:3], v[32:33], v[8:9]
	;;#ASMEND
	v_mov_b32_e32 v1, v2
	;;#ASMSTART
	v_med3_f32 v1, v1, v36, v37
v_med3_f32 v3, v3, v36, v37
v_cvt_pk_fp8_f32 v32, v1, v3
	;;#ASMEND
	;;#ASMSTART
	v_pk_mul_f32 v[2:3], v[30:31], v[8:9]
	;;#ASMEND
	v_mov_b32_e32 v1, v3
	;;#ASMSTART
	v_med3_f32 v2, v2, v36, v37
v_med3_f32 v1, v1, v36, v37
v_cvt_pk_fp8_f32 v3, v2, v1
	;;#ASMEND
	s_mov_b32 s6, 0x1000504
	v_perm_b32 v1, v32, v3, s6
	;;#ASMSTART
	v_pk_mul_f32 v[2:3], v[28:29], v[8:9]
	;;#ASMEND
	;;#ASMSTART
	v_med3_f32 v2, v2, v36, v37
v_med3_f32 v3, v3, v36, v37
v_cvt_pk_fp8_f32 v28, v2, v3
	;;#ASMEND
	;;#ASMSTART
	v_pk_mul_f32 v[2:3], v[26:27], v[8:9]
	;;#ASMEND
	;;#ASMSTART
	v_med3_f32 v2, v2, v36, v37
v_med3_f32 v3, v3, v36, v37
v_cvt_pk_fp8_f32 v26, v2, v3
	;;#ASMEND
	;;#ASMSTART
	v_pk_mul_f32 v[24:25], v[24:25], v[8:9]
	;;#ASMEND
	v_mov_b32_e32 v3, v24
	;;#ASMSTART
	v_med3_f32 v3, v3, v36, v37
v_med3_f32 v25, v25, v36, v37
v_cvt_pk_fp8_f32 v24, v3, v25
	;;#ASMEND
	;;#ASMSTART
	v_pk_mul_f32 v[22:23], v[22:23], v[8:9]
	;;#ASMEND
	v_mov_b32_e32 v3, v23
	;;#ASMSTART
	v_med3_f32 v22, v22, v36, v37
v_med3_f32 v3, v3, v36, v37
v_cvt_pk_fp8_f32 v23, v22, v3
	;;#ASMEND
	s_waitcnt lgkmcnt(0)
	s_and_b32 s1, s1, 0xffff
	s_mov_b32 s3, 0x20000
	v_perm_b32 v2, v28, v26, s6
	v_perm_b32 v3, v24, v23, s6
	buffer_store_dwordx4 v[0:3], v38, s[0:3], 0 offen
	;;#ASMSTART
	s_nop 0
	;;#ASMEND
	s_nop 0
	;;#ASMSTART
	v_pk_mul_f32 v[0:1], v[20:21], v[8:9]
	;;#ASMEND
	;;#ASMSTART
	v_med3_f32 v0, v0, v36, v37
v_med3_f32 v1, v1, v36, v37
v_cvt_pk_fp8_f32 v2, v0, v1
	;;#ASMEND
	;;#ASMSTART
	v_pk_mul_f32 v[0:1], v[18:19], v[8:9]
	;;#ASMEND
	;;#ASMSTART
	v_med3_f32 v0, v0, v36, v37
v_med3_f32 v1, v1, v36, v37
v_cvt_pk_fp8_f32 v3, v0, v1
	;;#ASMEND
	v_perm_b32 v0, v3, v2, s4
	v_perm_b32 v0, v0, v3, s5
	;;#ASMSTART
	v_pk_mul_f32 v[2:3], v[16:17], v[8:9]
	;;#ASMEND
	v_mov_b32_e32 v1, v2
	;;#ASMSTART
	v_med3_f32 v1, v1, v36, v37
v_med3_f32 v3, v3, v36, v37
v_cvt_pk_fp8_f32 v16, v1, v3
	;;#ASMEND
	;;#ASMSTART
	v_pk_mul_f32 v[2:3], v[14:15], v[8:9]
	;;#ASMEND
	v_mov_b32_e32 v1, v3
	;;#ASMSTART
	v_med3_f32 v2, v2, v36, v37
v_med3_f32 v1, v1, v36, v37
v_cvt_pk_fp8_f32 v3, v2, v1
	;;#ASMEND
	v_perm_b32 v1, v16, v3, s6
	;;#ASMSTART
	v_pk_mul_f32 v[2:3], v[12:13], v[8:9]
	;;#ASMEND
	;;#ASMSTART
	v_med3_f32 v2, v2, v36, v37
v_med3_f32 v3, v3, v36, v37
v_cvt_pk_fp8_f32 v12, v2, v3
	;;#ASMEND
	;;#ASMSTART
	v_pk_mul_f32 v[2:3], v[10:11], v[8:9]
	;;#ASMEND
	;;#ASMSTART
	v_med3_f32 v2, v2, v36, v37
v_med3_f32 v3, v3, v36, v37
v_cvt_pk_fp8_f32 v10, v2, v3
	;;#ASMEND
	;;#ASMSTART
	v_pk_mul_f32 v[6:7], v[6:7], v[8:9]
	;;#ASMEND
	v_mov_b32_e32 v3, v6
	;;#ASMSTART
	v_med3_f32 v3, v3, v36, v37
v_med3_f32 v7, v7, v36, v37
v_cvt_pk_fp8_f32 v6, v3, v7
	;;#ASMEND
	;;#ASMSTART
	v_pk_mul_f32 v[4:5], v[4:5], v[8:9]
	;;#ASMEND
	v_mov_b32_e32 v3, v5
	;;#ASMSTART
	v_med3_f32 v4, v4, v36, v37
v_med3_f32 v3, v3, v36, v37
v_cvt_pk_fp8_f32 v5, v4, v3
	;;#ASMEND
	v_perm_b32 v2, v12, v10, s6
	v_perm_b32 v3, v6, v5, s6
	buffer_store_dwordx4 v[0:3], v38, s[0:3], 16 offen
	;;#ASMSTART
	s_nop 0
	;;#ASMEND
	s_endpgm
	.section	.rodata,"a",@progbits
	.p2align	6, 0x0
	.amdhsa_kernel _ZN5aiter37dynamic_per_group_scaled_quant_kernelItDB8_Li32ELi64ELb1ELi64ELb0EEEvPT0_PfPKT_PKfliilPKii
		.amdhsa_group_segment_fixed_size 0
		.amdhsa_private_segment_fixed_size 0
		.amdhsa_kernarg_size 68
		.amdhsa_user_sgpr_count 6
		.amdhsa_user_sgpr_private_segment_buffer 1
		.amdhsa_user_sgpr_dispatch_ptr 0
		.amdhsa_user_sgpr_queue_ptr 0
		.amdhsa_user_sgpr_kernarg_segment_ptr 1
		.amdhsa_user_sgpr_dispatch_id 0
		.amdhsa_user_sgpr_flat_scratch_init 0
		.amdhsa_user_sgpr_kernarg_preload_length 0
		.amdhsa_user_sgpr_kernarg_preload_offset 0
		.amdhsa_user_sgpr_private_segment_size 0
		.amdhsa_uses_dynamic_stack 0
		.amdhsa_system_sgpr_private_segment_wavefront_offset 0
		.amdhsa_system_sgpr_workgroup_id_x 1
		.amdhsa_system_sgpr_workgroup_id_y 0
		.amdhsa_system_sgpr_workgroup_id_z 0
		.amdhsa_system_sgpr_workgroup_info 0
		.amdhsa_system_vgpr_workitem_id 0
		.amdhsa_next_free_vgpr 47
		.amdhsa_next_free_sgpr 15
		.amdhsa_accum_offset 48
		.amdhsa_reserve_vcc 1
		.amdhsa_reserve_flat_scratch 0
		.amdhsa_float_round_mode_32 0
		.amdhsa_float_round_mode_16_64 0
		.amdhsa_float_denorm_mode_32 3
		.amdhsa_float_denorm_mode_16_64 3
		.amdhsa_dx10_clamp 1
		.amdhsa_ieee_mode 1
		.amdhsa_fp16_overflow 0
		.amdhsa_tg_split 0
		.amdhsa_exception_fp_ieee_invalid_op 0
		.amdhsa_exception_fp_denorm_src 0
		.amdhsa_exception_fp_ieee_div_zero 0
		.amdhsa_exception_fp_ieee_overflow 0
		.amdhsa_exception_fp_ieee_underflow 0
		.amdhsa_exception_fp_ieee_inexact 0
		.amdhsa_exception_int_div_zero 0
	.end_amdhsa_kernel
	.section	.text._ZN5aiter37dynamic_per_group_scaled_quant_kernelItDB8_Li32ELi64ELb1ELi64ELb0EEEvPT0_PfPKT_PKfliilPKii,"axG",@progbits,_ZN5aiter37dynamic_per_group_scaled_quant_kernelItDB8_Li32ELi64ELb1ELi64ELb0EEEvPT0_PfPKT_PKfliilPKii,comdat
.Lfunc_end19:
	.size	_ZN5aiter37dynamic_per_group_scaled_quant_kernelItDB8_Li32ELi64ELb1ELi64ELb0EEEvPT0_PfPKT_PKfliilPKii, .Lfunc_end19-_ZN5aiter37dynamic_per_group_scaled_quant_kernelItDB8_Li32ELi64ELb1ELi64ELb0EEEvPT0_PfPKT_PKfliilPKii
                                        ; -- End function
	.section	.AMDGPU.csdata,"",@progbits
; Kernel info:
; codeLenInByte = 2508
; NumSgprs: 19
; NumVgprs: 47
; NumAgprs: 0
; TotalNumVgprs: 47
; ScratchSize: 0
; MemoryBound: 0
; FloatMode: 240
; IeeeMode: 1
; LDSByteSize: 0 bytes/workgroup (compile time only)
; SGPRBlocks: 2
; VGPRBlocks: 5
; NumSGPRsForWavesPerEU: 19
; NumVGPRsForWavesPerEU: 47
; AccumOffset: 48
; Occupancy: 8
; WaveLimiterHint : 0
; COMPUTE_PGM_RSRC2:SCRATCH_EN: 0
; COMPUTE_PGM_RSRC2:USER_SGPR: 6
; COMPUTE_PGM_RSRC2:TRAP_HANDLER: 0
; COMPUTE_PGM_RSRC2:TGID_X_EN: 1
; COMPUTE_PGM_RSRC2:TGID_Y_EN: 0
; COMPUTE_PGM_RSRC2:TGID_Z_EN: 0
; COMPUTE_PGM_RSRC2:TIDIG_COMP_CNT: 0
; COMPUTE_PGM_RSRC3_GFX90A:ACCUM_OFFSET: 11
; COMPUTE_PGM_RSRC3_GFX90A:TG_SPLIT: 0
	.section	.text._ZN5aiter37dynamic_per_group_scaled_quant_kernelIDF16_aLi32ELi64ELb1ELi64ELb0EEEvPT0_PfPKT_PKfliilPKii,"axG",@progbits,_ZN5aiter37dynamic_per_group_scaled_quant_kernelIDF16_aLi32ELi64ELb1ELi64ELb0EEEvPT0_PfPKT_PKfliilPKii,comdat
	.protected	_ZN5aiter37dynamic_per_group_scaled_quant_kernelIDF16_aLi32ELi64ELb1ELi64ELb0EEEvPT0_PfPKT_PKfliilPKii ; -- Begin function _ZN5aiter37dynamic_per_group_scaled_quant_kernelIDF16_aLi32ELi64ELb1ELi64ELb0EEEvPT0_PfPKT_PKfliilPKii
	.globl	_ZN5aiter37dynamic_per_group_scaled_quant_kernelIDF16_aLi32ELi64ELb1ELi64ELb0EEEvPT0_PfPKT_PKfliilPKii
	.p2align	8
	.type	_ZN5aiter37dynamic_per_group_scaled_quant_kernelIDF16_aLi32ELi64ELb1ELi64ELb0EEEvPT0_PfPKT_PKfliilPKii,@function
_ZN5aiter37dynamic_per_group_scaled_quant_kernelIDF16_aLi32ELi64ELb1ELi64ELb0EEEvPT0_PfPKT_PKfliilPKii: ; @_ZN5aiter37dynamic_per_group_scaled_quant_kernelIDF16_aLi32ELi64ELb1ELi64ELb0EEEvPT0_PfPKT_PKfliilPKii
; %bb.0:
	s_load_dwordx2 s[0:1], s[4:5], 0x38
	s_waitcnt lgkmcnt(0)
	s_cmp_eq_u64 s[0:1], 0
	s_cbranch_scc1 .LBB20_2
; %bb.1:
	s_load_dword s2, s[4:5], 0x40
	s_load_dword s7, s[0:1], 0x0
	s_waitcnt lgkmcnt(0)
	s_mul_hi_i32 s3, s7, s2
	s_mul_i32 s2, s7, s2
	s_branch .LBB20_3
.LBB20_2:
	s_load_dwordx2 s[2:3], s[4:5], 0x20
.LBB20_3:
	s_load_dwordx2 s[8:9], s[4:5], 0x28
	s_mov_b32 s7, 0
	s_lshl_b64 s[0:1], s[6:7], 6
	v_or_b32_e32 v2, s0, v0
	v_mov_b32_e32 v3, s1
	s_waitcnt lgkmcnt(0)
	s_ashr_i32 s0, s8, 31
	s_lshr_b32 s0, s0, 26
	s_add_i32 s0, s8, s0
	s_ashr_i32 s8, s0, 6
	v_lshrrev_b64 v[18:19], 1, v[2:3]
	s_ashr_i32 s14, s8, 31
	v_or_b32_e32 v5, s14, v19
	v_mov_b32_e32 v4, 0
	v_cmp_ne_u64_e32 vcc, 0, v[4:5]
                                        ; implicit-def: $vgpr20_vgpr21
	s_and_saveexec_b64 s[0:1], vcc
	s_xor_b64 s[6:7], exec, s[0:1]
	s_cbranch_execnz .LBB20_7
; %bb.4:
	s_andn2_saveexec_b64 s[0:1], s[6:7]
	s_cbranch_execnz .LBB20_8
.LBB20_5:
	s_or_b64 exec, exec, s[0:1]
	v_cmp_gt_i64_e32 vcc, s[2:3], v[20:21]
	s_and_saveexec_b64 s[0:1], vcc
	s_cbranch_execnz .LBB20_9
.LBB20_6:
	s_endpgm
.LBB20_7:
	s_add_u32 s0, s8, s14
	s_mov_b32 s10, s14
	s_mov_b32 s11, s14
	s_addc_u32 s1, s14, s14
	s_xor_b64 s[12:13], s[0:1], s[10:11]
	v_cvt_f32_u32_e32 v1, s12
	v_cvt_f32_u32_e32 v2, s13
	s_sub_u32 s0, 0, s12
	s_subb_u32 s1, 0, s13
	v_madmk_f32 v1, v2, 0x4f800000, v1
	v_rcp_f32_e32 v1, v1
	v_mul_f32_e32 v1, 0x5f7ffffc, v1
	v_mul_f32_e32 v2, 0x2f800000, v1
	v_trunc_f32_e32 v2, v2
	v_madmk_f32 v1, v2, 0xcf800000, v1
	v_cvt_u32_f32_e32 v2, v2
	v_cvt_u32_f32_e32 v1, v1
	v_mul_lo_u32 v3, s0, v2
	v_mul_hi_u32 v5, s0, v1
	v_mul_lo_u32 v4, s1, v1
	v_add_u32_e32 v3, v5, v3
	v_mul_lo_u32 v6, s0, v1
	v_add_u32_e32 v3, v3, v4
	v_mul_lo_u32 v5, v1, v3
	v_mul_hi_u32 v7, v1, v6
	v_mul_hi_u32 v4, v1, v3
	v_add_co_u32_e32 v5, vcc, v7, v5
	v_addc_co_u32_e32 v4, vcc, 0, v4, vcc
	v_mul_hi_u32 v8, v2, v6
	v_mul_lo_u32 v6, v2, v6
	v_add_co_u32_e32 v5, vcc, v5, v6
	v_mul_hi_u32 v7, v2, v3
	v_addc_co_u32_e32 v4, vcc, v4, v8, vcc
	v_addc_co_u32_e32 v5, vcc, 0, v7, vcc
	v_mul_lo_u32 v3, v2, v3
	v_add_co_u32_e32 v3, vcc, v4, v3
	v_addc_co_u32_e32 v4, vcc, 0, v5, vcc
	v_add_co_u32_e32 v1, vcc, v1, v3
	v_addc_co_u32_e32 v2, vcc, v2, v4, vcc
	v_mul_lo_u32 v3, s0, v2
	v_mul_hi_u32 v4, s0, v1
	v_add_u32_e32 v3, v4, v3
	v_mul_lo_u32 v4, s1, v1
	v_add_u32_e32 v3, v3, v4
	v_mul_lo_u32 v5, s0, v1
	v_mul_hi_u32 v6, v2, v5
	v_mul_lo_u32 v7, v2, v5
	v_mul_lo_u32 v9, v1, v3
	v_mul_hi_u32 v5, v1, v5
	v_mul_hi_u32 v8, v1, v3
	v_add_co_u32_e32 v5, vcc, v5, v9
	v_addc_co_u32_e32 v8, vcc, 0, v8, vcc
	v_add_co_u32_e32 v5, vcc, v5, v7
	v_mul_hi_u32 v4, v2, v3
	v_addc_co_u32_e32 v5, vcc, v8, v6, vcc
	v_addc_co_u32_e32 v4, vcc, 0, v4, vcc
	v_mul_lo_u32 v3, v2, v3
	v_add_co_u32_e32 v3, vcc, v5, v3
	v_addc_co_u32_e32 v4, vcc, 0, v4, vcc
	v_add_co_u32_e32 v1, vcc, v1, v3
	v_addc_co_u32_e32 v4, vcc, v2, v4, vcc
	v_mad_u64_u32 v[2:3], s[0:1], v18, v4, 0
	v_mul_hi_u32 v5, v18, v1
	v_add_co_u32_e32 v6, vcc, v5, v2
	v_addc_co_u32_e32 v7, vcc, 0, v3, vcc
	v_mad_u64_u32 v[2:3], s[0:1], v19, v4, 0
	v_mad_u64_u32 v[4:5], s[0:1], v19, v1, 0
	v_add_co_u32_e32 v1, vcc, v6, v4
	v_addc_co_u32_e32 v1, vcc, v7, v5, vcc
	v_addc_co_u32_e32 v3, vcc, 0, v3, vcc
	v_add_co_u32_e32 v1, vcc, v1, v2
	v_addc_co_u32_e32 v4, vcc, 0, v3, vcc
	v_mul_lo_u32 v5, s13, v1
	v_mul_lo_u32 v6, s12, v4
	v_mad_u64_u32 v[2:3], s[0:1], s12, v1, 0
	v_add3_u32 v3, v3, v6, v5
	v_sub_u32_e32 v5, v19, v3
	v_mov_b32_e32 v6, s13
	v_sub_co_u32_e32 v2, vcc, v18, v2
	v_subb_co_u32_e64 v5, s[0:1], v5, v6, vcc
	v_subrev_co_u32_e64 v6, s[0:1], s12, v2
	v_subbrev_co_u32_e64 v5, s[0:1], 0, v5, s[0:1]
	v_cmp_le_u32_e64 s[0:1], s13, v5
	v_cndmask_b32_e64 v7, 0, -1, s[0:1]
	v_cmp_le_u32_e64 s[0:1], s12, v6
	v_cndmask_b32_e64 v6, 0, -1, s[0:1]
	v_cmp_eq_u32_e64 s[0:1], s13, v5
	v_cndmask_b32_e64 v5, v7, v6, s[0:1]
	v_add_co_u32_e64 v6, s[0:1], 2, v1
	v_addc_co_u32_e64 v7, s[0:1], 0, v4, s[0:1]
	v_add_co_u32_e64 v8, s[0:1], 1, v1
	v_addc_co_u32_e64 v9, s[0:1], 0, v4, s[0:1]
	v_subb_co_u32_e32 v3, vcc, v19, v3, vcc
	v_cmp_ne_u32_e64 s[0:1], 0, v5
	v_cmp_le_u32_e32 vcc, s13, v3
	v_cndmask_b32_e64 v5, v9, v7, s[0:1]
	v_cndmask_b32_e64 v7, 0, -1, vcc
	v_cmp_le_u32_e32 vcc, s12, v2
	v_cndmask_b32_e64 v2, 0, -1, vcc
	v_cmp_eq_u32_e32 vcc, s13, v3
	v_cndmask_b32_e32 v2, v7, v2, vcc
	v_cmp_ne_u32_e32 vcc, 0, v2
	v_cndmask_b32_e64 v3, v8, v6, s[0:1]
	v_cndmask_b32_e32 v1, v1, v3, vcc
	v_cndmask_b32_e32 v2, v4, v5, vcc
	v_xor_b32_e32 v1, s10, v1
	v_xor_b32_e32 v2, s11, v2
	v_mov_b32_e32 v3, s14
	v_subrev_co_u32_e32 v20, vcc, s10, v1
	v_subb_co_u32_e32 v21, vcc, v2, v3, vcc
                                        ; implicit-def: $vgpr2_vgpr3
	s_andn2_saveexec_b64 s[0:1], s[6:7]
	s_cbranch_execz .LBB20_5
.LBB20_8:
	v_cvt_f32_u32_e32 v1, s8
	s_sub_i32 s6, 0, s8
	v_alignbit_b32 v2, v3, v2, 1
	v_mov_b32_e32 v21, 0
	v_rcp_iflag_f32_e32 v1, v1
	v_mul_f32_e32 v1, 0x4f7ffffe, v1
	v_cvt_u32_f32_e32 v1, v1
	v_mul_lo_u32 v3, s6, v1
	v_mul_hi_u32 v3, v1, v3
	v_add_u32_e32 v1, v1, v3
	v_mul_hi_u32 v1, v2, v1
	v_mul_lo_u32 v3, v1, s8
	v_sub_u32_e32 v2, v2, v3
	v_add_u32_e32 v4, 1, v1
	v_subrev_u32_e32 v3, s8, v2
	v_cmp_le_u32_e32 vcc, s8, v2
	v_cndmask_b32_e32 v2, v2, v3, vcc
	v_cndmask_b32_e32 v1, v1, v4, vcc
	v_add_u32_e32 v3, 1, v1
	v_cmp_le_u32_e32 vcc, s8, v2
	v_cndmask_b32_e32 v20, v1, v3, vcc
	s_or_b64 exec, exec, s[0:1]
	v_cmp_gt_i64_e32 vcc, s[2:3], v[20:21]
	s_and_saveexec_b64 s[0:1], vcc
	s_cbranch_execz .LBB20_6
.LBB20_9:
	s_load_dwordx2 s[0:1], s[4:5], 0x10
	v_mul_lo_u32 v1, v21, s8
	v_mul_lo_u32 v4, v20, s14
	v_mad_u64_u32 v[2:3], s[6:7], v20, s8, 0
	v_add3_u32 v3, v3, v4, v1
	v_sub_co_u32_e32 v1, vcc, v18, v2
	s_ashr_i32 s6, s9, 31
	v_subb_co_u32_e32 v19, vcc, v19, v3, vcc
	v_mul_lo_u32 v4, v21, s9
	v_mul_lo_u32 v5, v20, s6
	v_mad_u64_u32 v[2:3], s[6:7], v20, s9, 0
	v_add3_u32 v3, v3, v5, v4
	v_lshlrev_b64 v[2:3], 1, v[2:3]
	v_lshlrev_b32_e32 v4, 6, v1
	v_mov_b32_e32 v5, 0
	s_waitcnt lgkmcnt(0)
	v_mov_b32_e32 v6, s1
	v_add_co_u32_e32 v7, vcc, s0, v2
	v_addc_co_u32_e32 v6, vcc, v6, v3, vcc
	v_lshlrev_b64 v[2:3], 1, v[4:5]
	v_add_co_u32_e32 v2, vcc, v7, v2
	v_and_b32_e32 v24, 1, v0
	v_addc_co_u32_e32 v3, vcc, v6, v3, vcc
	v_lshlrev_b32_e32 v4, 6, v24
	v_add_co_u32_e32 v22, vcc, v2, v4
	v_addc_co_u32_e32 v23, vcc, 0, v3, vcc
	global_load_dwordx4 v[14:17], v[22:23], off
	global_load_dwordx4 v[10:13], v[22:23], off offset:16
	global_load_dwordx4 v[6:9], v[22:23], off offset:32
	;; [unrolled: 1-line block ×3, first 2 shown]
	s_mov_b32 s6, 0x2edbe6ff
	s_load_dwordx2 s[0:1], s[4:5], 0x0
	s_waitcnt vmcnt(3)
	v_cvt_f32_f16_e64 v22, |v14|
	v_cvt_f32_f16_sdwa v23, |v14| dst_sel:DWORD dst_unused:UNUSED_PAD src0_sel:WORD_1
	v_cvt_f32_f16_e64 v25, |v15|
	v_cvt_f32_f16_sdwa v26, |v15| dst_sel:DWORD dst_unused:UNUSED_PAD src0_sel:WORD_1
	;; [unrolled: 2-line block ×4, first 2 shown]
	s_waitcnt vmcnt(2)
	v_cvt_f32_f16_e64 v31, |v10|
	v_cvt_f32_f16_sdwa v32, |v10| dst_sel:DWORD dst_unused:UNUSED_PAD src0_sel:WORD_1
	v_max3_f32 v22, v22, s6, v23
	v_cvt_f32_f16_e64 v33, |v11|
	v_cvt_f32_f16_sdwa v34, |v11| dst_sel:DWORD dst_unused:UNUSED_PAD src0_sel:WORD_1
	v_max3_f32 v22, v22, v25, v26
	v_cvt_f32_f16_e64 v35, |v12|
	v_cvt_f32_f16_sdwa v36, |v12| dst_sel:DWORD dst_unused:UNUSED_PAD src0_sel:WORD_1
	v_max3_f32 v22, v22, v27, v28
	v_cvt_f32_f16_e64 v37, |v13|
	v_cvt_f32_f16_sdwa v38, |v13| dst_sel:DWORD dst_unused:UNUSED_PAD src0_sel:WORD_1
	v_max3_f32 v22, v22, v29, v30
	s_waitcnt vmcnt(1)
	v_cvt_f32_f16_e64 v39, |v6|
	v_cvt_f32_f16_sdwa v40, |v6| dst_sel:DWORD dst_unused:UNUSED_PAD src0_sel:WORD_1
	v_max3_f32 v22, v22, v31, v32
	v_cvt_f32_f16_e64 v41, |v7|
	v_cvt_f32_f16_sdwa v42, |v7| dst_sel:DWORD dst_unused:UNUSED_PAD src0_sel:WORD_1
	v_max3_f32 v22, v22, v33, v34
	v_cvt_f32_f16_e64 v43, |v8|
	v_cvt_f32_f16_sdwa v44, |v8| dst_sel:DWORD dst_unused:UNUSED_PAD src0_sel:WORD_1
	v_max3_f32 v22, v22, v35, v36
	v_cvt_f32_f16_e64 v45, |v9|
	v_cvt_f32_f16_sdwa v46, |v9| dst_sel:DWORD dst_unused:UNUSED_PAD src0_sel:WORD_1
	v_max3_f32 v22, v22, v37, v38
	;; [unrolled: 13-line block ×3, first 2 shown]
	v_max3_f32 v22, v22, v47, v48
	v_max3_f32 v22, v22, v49, v50
	;; [unrolled: 1-line block ×4, first 2 shown]
	s_nop 1
	v_mov_b32_dpp v23, v22 quad_perm:[1,0,3,2] row_mask:0xf bank_mask:0xf
	v_cmp_gt_f32_e32 vcc, v22, v23
	v_cndmask_b32_e32 v22, v23, v22, vcc
	v_mul_f32_e32 v22, 0x3c010204, v22
	v_cmp_eq_u32_e32 vcc, 0, v24
	s_and_saveexec_b64 s[6:7], vcc
	s_cbranch_execz .LBB20_11
; %bb.10:
	s_load_dwordx2 s[8:9], s[4:5], 0x8
	v_mul_lo_u32 v19, v19, s2
	v_mul_lo_u32 v23, v1, s3
	v_mad_u64_u32 v[24:25], s[2:3], v1, s2, 0
	v_add3_u32 v25, v25, v23, v19
	v_lshlrev_b64 v[24:25], 2, v[24:25]
	s_waitcnt lgkmcnt(0)
	v_mov_b32_e32 v1, s9
	v_add_co_u32_e32 v19, vcc, s8, v24
	v_addc_co_u32_e32 v1, vcc, v1, v25, vcc
	v_lshlrev_b64 v[20:21], 2, v[20:21]
	v_add_co_u32_e32 v20, vcc, v19, v20
	v_addc_co_u32_e32 v21, vcc, v1, v21, vcc
	global_store_dword v[20:21], v22, off
.LBB20_11:
	s_or_b64 exec, exec, s[6:7]
	v_div_scale_f32 v1, s[2:3], v22, v22, 1.0
	v_rcp_f32_e32 v19, v1
	v_lshlrev_b32_e32 v20, 5, v0
	v_lshlrev_b32_e32 v18, 6, v18
	v_and_or_b32 v26, v20, 32, v18
	v_fma_f32 v0, -v1, v19, 1.0
	v_fmac_f32_e32 v19, v0, v19
	v_div_scale_f32 v0, vcc, 1.0, v22, 1.0
	v_mul_f32_e32 v21, v0, v19
	v_fma_f32 v23, -v1, v21, v0
	v_fmac_f32_e32 v21, v23, v19
	v_fma_f32 v0, -v1, v21, v0
	v_div_fmas_f32 v0, v0, v19, v21
	v_div_fixup_f32 v0, v0, v22, 1.0
	v_cvt_f32_f16_e32 v18, v14
	v_cvt_f32_f16_sdwa v19, v14 dst_sel:DWORD dst_unused:UNUSED_PAD src0_sel:WORD_1
	v_cvt_f32_f16_e32 v14, v15
	v_cvt_f32_f16_sdwa v15, v15 dst_sel:DWORD dst_unused:UNUSED_PAD src0_sel:WORD_1
	v_mov_b32_e32 v1, v0
	;;#ASMSTART
	v_pk_mul_f32 v[18:19], v[18:19], v[0:1]
	;;#ASMEND
	;;#ASMSTART
	v_pk_mul_f32 v[14:15], v[14:15], v[0:1]
	;;#ASMEND
	v_cvt_f32_f16_e32 v20, v16
	v_cvt_f32_f16_sdwa v21, v16 dst_sel:DWORD dst_unused:UNUSED_PAD src0_sel:WORD_1
	v_cvt_i32_f32_e32 v27, v14
	v_cvt_i32_f32_sdwa v28, v15 dst_sel:BYTE_1 dst_unused:UNUSED_PAD src0_sel:DWORD
	;;#ASMSTART
	v_pk_mul_f32 v[14:15], v[20:21], v[0:1]
	;;#ASMEND
	v_cvt_f32_f16_e32 v16, v17
	v_cvt_f32_f16_sdwa v17, v17 dst_sel:DWORD dst_unused:UNUSED_PAD src0_sel:WORD_1
	v_cvt_f32_f16_e32 v22, v10
	v_cvt_f32_f16_sdwa v23, v10 dst_sel:DWORD dst_unused:UNUSED_PAD src0_sel:WORD_1
	;; [unrolled: 2-line block ×3, first 2 shown]
	v_cvt_i32_f32_e32 v18, v18
	v_cvt_i32_f32_sdwa v19, v19 dst_sel:BYTE_1 dst_unused:UNUSED_PAD src0_sel:DWORD
	v_cvt_i32_f32_e32 v20, v14
	v_cvt_i32_f32_sdwa v21, v15 dst_sel:BYTE_1 dst_unused:UNUSED_PAD src0_sel:DWORD
	;;#ASMSTART
	v_pk_mul_f32 v[14:15], v[16:17], v[0:1]
	;;#ASMEND
	v_cvt_i32_f32_e32 v16, v14
	v_cvt_i32_f32_sdwa v17, v15 dst_sel:BYTE_1 dst_unused:UNUSED_PAD src0_sel:DWORD
	;;#ASMSTART
	v_pk_mul_f32 v[14:15], v[22:23], v[0:1]
	;;#ASMEND
	;;#ASMSTART
	v_pk_mul_f32 v[10:11], v[10:11], v[0:1]
	;;#ASMEND
	v_cvt_f32_f16_e32 v24, v12
	v_cvt_f32_f16_sdwa v25, v12 dst_sel:DWORD dst_unused:UNUSED_PAD src0_sel:WORD_1
	v_cvt_f32_f16_e32 v12, v13
	v_cvt_f32_f16_sdwa v13, v13 dst_sel:DWORD dst_unused:UNUSED_PAD src0_sel:WORD_1
	v_cvt_i32_f32_e32 v14, v14
	v_cvt_i32_f32_sdwa v15, v15 dst_sel:BYTE_1 dst_unused:UNUSED_PAD src0_sel:DWORD
	v_cvt_i32_f32_e32 v22, v10
	v_cvt_i32_f32_sdwa v23, v11 dst_sel:BYTE_1 dst_unused:UNUSED_PAD src0_sel:DWORD
	;;#ASMSTART
	v_pk_mul_f32 v[10:11], v[24:25], v[0:1]
	;;#ASMEND
	v_cvt_i32_f32_e32 v24, v10
	v_cvt_i32_f32_sdwa v25, v11 dst_sel:BYTE_1 dst_unused:UNUSED_PAD src0_sel:DWORD
	;;#ASMSTART
	v_pk_mul_f32 v[10:11], v[12:13], v[0:1]
	;;#ASMEND
	v_cvt_i32_f32_e32 v13, v10
	v_cvt_i32_f32_sdwa v29, v11 dst_sel:BYTE_1 dst_unused:UNUSED_PAD src0_sel:DWORD
	s_load_dword s2, s[4:5], 0x30
	v_or_b32_sdwa v10, v18, v19 dst_sel:DWORD dst_unused:UNUSED_PAD src0_sel:BYTE_0 src1_sel:DWORD
	v_or_b32_sdwa v11, v27, v28 dst_sel:WORD_1 dst_unused:UNUSED_PAD src0_sel:BYTE_0 src1_sel:DWORD
	v_or_b32_sdwa v10, v10, v11 dst_sel:DWORD dst_unused:UNUSED_PAD src0_sel:WORD_0 src1_sel:DWORD
	v_or_b32_sdwa v11, v20, v21 dst_sel:DWORD dst_unused:UNUSED_PAD src0_sel:BYTE_0 src1_sel:DWORD
	v_or_b32_sdwa v12, v16, v17 dst_sel:WORD_1 dst_unused:UNUSED_PAD src0_sel:BYTE_0 src1_sel:DWORD
	v_or_b32_sdwa v11, v11, v12 dst_sel:DWORD dst_unused:UNUSED_PAD src0_sel:WORD_0 src1_sel:DWORD
	;; [unrolled: 3-line block ×3, first 2 shown]
	v_or_b32_sdwa v14, v24, v25 dst_sel:DWORD dst_unused:UNUSED_PAD src0_sel:BYTE_0 src1_sel:DWORD
	v_or_b32_sdwa v13, v13, v29 dst_sel:WORD_1 dst_unused:UNUSED_PAD src0_sel:BYTE_0 src1_sel:DWORD
	s_waitcnt lgkmcnt(0)
	s_and_b32 s1, s1, 0xffff
	s_mov_b32 s3, 0x20000
	v_or_b32_sdwa v13, v14, v13 dst_sel:DWORD dst_unused:UNUSED_PAD src0_sel:WORD_0 src1_sel:DWORD
	buffer_store_dwordx4 v[10:13], v26, s[0:3], 0 offen
	;;#ASMSTART
	s_nop 0
	;;#ASMEND
	v_cvt_f32_f16_e32 v14, v2
	v_cvt_f32_f16_e32 v10, v6
	v_cvt_f32_f16_sdwa v11, v6 dst_sel:DWORD dst_unused:UNUSED_PAD src0_sel:WORD_1
	v_cvt_f32_f16_e32 v6, v7
	v_cvt_f32_f16_sdwa v7, v7 dst_sel:DWORD dst_unused:UNUSED_PAD src0_sel:WORD_1
	;;#ASMSTART
	v_pk_mul_f32 v[10:11], v[10:11], v[0:1]
	;;#ASMEND
	;;#ASMSTART
	v_pk_mul_f32 v[6:7], v[6:7], v[0:1]
	;;#ASMEND
	v_cvt_f32_f16_e32 v12, v8
	v_cvt_f32_f16_sdwa v13, v8 dst_sel:DWORD dst_unused:UNUSED_PAD src0_sel:WORD_1
	v_cvt_i32_f32_e32 v18, v6
	v_cvt_i32_f32_sdwa v19, v7 dst_sel:BYTE_1 dst_unused:UNUSED_PAD src0_sel:DWORD
	;;#ASMSTART
	v_pk_mul_f32 v[6:7], v[12:13], v[0:1]
	;;#ASMEND
	v_cvt_f32_f16_e32 v8, v9
	v_cvt_f32_f16_sdwa v9, v9 dst_sel:DWORD dst_unused:UNUSED_PAD src0_sel:WORD_1
	v_cvt_f32_f16_sdwa v15, v2 dst_sel:DWORD dst_unused:UNUSED_PAD src0_sel:WORD_1
	v_cvt_f32_f16_e32 v2, v3
	v_cvt_f32_f16_sdwa v3, v3 dst_sel:DWORD dst_unused:UNUSED_PAD src0_sel:WORD_1
	v_cvt_i32_f32_e32 v12, v6
	v_cvt_i32_f32_sdwa v13, v7 dst_sel:BYTE_1 dst_unused:UNUSED_PAD src0_sel:DWORD
	;;#ASMSTART
	v_pk_mul_f32 v[6:7], v[8:9], v[0:1]
	;;#ASMEND
	v_cvt_i32_f32_e32 v10, v10
	v_cvt_i32_f32_sdwa v11, v11 dst_sel:BYTE_1 dst_unused:UNUSED_PAD src0_sel:DWORD
	v_cvt_i32_f32_e32 v8, v6
	v_cvt_i32_f32_sdwa v9, v7 dst_sel:BYTE_1 dst_unused:UNUSED_PAD src0_sel:DWORD
	;;#ASMSTART
	v_pk_mul_f32 v[6:7], v[14:15], v[0:1]
	;;#ASMEND
	;;#ASMSTART
	v_pk_mul_f32 v[2:3], v[2:3], v[0:1]
	;;#ASMEND
	v_cvt_f32_f16_e32 v16, v4
	v_cvt_f32_f16_sdwa v17, v4 dst_sel:DWORD dst_unused:UNUSED_PAD src0_sel:WORD_1
	v_cvt_f32_f16_e32 v4, v5
	v_cvt_f32_f16_sdwa v5, v5 dst_sel:DWORD dst_unused:UNUSED_PAD src0_sel:WORD_1
	v_cvt_i32_f32_e32 v14, v2
	v_cvt_i32_f32_sdwa v15, v3 dst_sel:BYTE_1 dst_unused:UNUSED_PAD src0_sel:DWORD
	;;#ASMSTART
	v_pk_mul_f32 v[2:3], v[16:17], v[0:1]
	;;#ASMEND
	v_cvt_i32_f32_e32 v6, v6
	v_cvt_i32_f32_sdwa v7, v7 dst_sel:BYTE_1 dst_unused:UNUSED_PAD src0_sel:DWORD
	v_cvt_i32_f32_e32 v16, v2
	v_cvt_i32_f32_sdwa v3, v3 dst_sel:BYTE_1 dst_unused:UNUSED_PAD src0_sel:DWORD
	;;#ASMSTART
	v_pk_mul_f32 v[0:1], v[4:5], v[0:1]
	;;#ASMEND
	v_cvt_i32_f32_e32 v4, v0
	v_cvt_i32_f32_sdwa v5, v1 dst_sel:BYTE_1 dst_unused:UNUSED_PAD src0_sel:DWORD
	v_or_b32_sdwa v0, v10, v11 dst_sel:DWORD dst_unused:UNUSED_PAD src0_sel:BYTE_0 src1_sel:DWORD
	v_or_b32_sdwa v1, v18, v19 dst_sel:WORD_1 dst_unused:UNUSED_PAD src0_sel:BYTE_0 src1_sel:DWORD
	v_or_b32_sdwa v0, v0, v1 dst_sel:DWORD dst_unused:UNUSED_PAD src0_sel:WORD_0 src1_sel:DWORD
	v_or_b32_sdwa v1, v12, v13 dst_sel:DWORD dst_unused:UNUSED_PAD src0_sel:BYTE_0 src1_sel:DWORD
	v_or_b32_sdwa v2, v8, v9 dst_sel:WORD_1 dst_unused:UNUSED_PAD src0_sel:BYTE_0 src1_sel:DWORD
	v_or_b32_sdwa v1, v1, v2 dst_sel:DWORD dst_unused:UNUSED_PAD src0_sel:WORD_0 src1_sel:DWORD
	v_or_b32_sdwa v2, v6, v7 dst_sel:DWORD dst_unused:UNUSED_PAD src0_sel:BYTE_0 src1_sel:DWORD
	v_or_b32_sdwa v6, v14, v15 dst_sel:WORD_1 dst_unused:UNUSED_PAD src0_sel:BYTE_0 src1_sel:DWORD
	v_or_b32_sdwa v3, v16, v3 dst_sel:DWORD dst_unused:UNUSED_PAD src0_sel:BYTE_0 src1_sel:DWORD
	v_or_b32_sdwa v4, v4, v5 dst_sel:WORD_1 dst_unused:UNUSED_PAD src0_sel:BYTE_0 src1_sel:DWORD
	v_or_b32_sdwa v2, v2, v6 dst_sel:DWORD dst_unused:UNUSED_PAD src0_sel:WORD_0 src1_sel:DWORD
	v_or_b32_sdwa v3, v3, v4 dst_sel:DWORD dst_unused:UNUSED_PAD src0_sel:WORD_0 src1_sel:DWORD
	buffer_store_dwordx4 v[0:3], v26, s[0:3], 16 offen
	;;#ASMSTART
	s_nop 0
	;;#ASMEND
	s_endpgm
	.section	.rodata,"a",@progbits
	.p2align	6, 0x0
	.amdhsa_kernel _ZN5aiter37dynamic_per_group_scaled_quant_kernelIDF16_aLi32ELi64ELb1ELi64ELb0EEEvPT0_PfPKT_PKfliilPKii
		.amdhsa_group_segment_fixed_size 0
		.amdhsa_private_segment_fixed_size 0
		.amdhsa_kernarg_size 68
		.amdhsa_user_sgpr_count 6
		.amdhsa_user_sgpr_private_segment_buffer 1
		.amdhsa_user_sgpr_dispatch_ptr 0
		.amdhsa_user_sgpr_queue_ptr 0
		.amdhsa_user_sgpr_kernarg_segment_ptr 1
		.amdhsa_user_sgpr_dispatch_id 0
		.amdhsa_user_sgpr_flat_scratch_init 0
		.amdhsa_user_sgpr_kernarg_preload_length 0
		.amdhsa_user_sgpr_kernarg_preload_offset 0
		.amdhsa_user_sgpr_private_segment_size 0
		.amdhsa_uses_dynamic_stack 0
		.amdhsa_system_sgpr_private_segment_wavefront_offset 0
		.amdhsa_system_sgpr_workgroup_id_x 1
		.amdhsa_system_sgpr_workgroup_id_y 0
		.amdhsa_system_sgpr_workgroup_id_z 0
		.amdhsa_system_sgpr_workgroup_info 0
		.amdhsa_system_vgpr_workitem_id 0
		.amdhsa_next_free_vgpr 55
		.amdhsa_next_free_sgpr 15
		.amdhsa_accum_offset 56
		.amdhsa_reserve_vcc 1
		.amdhsa_reserve_flat_scratch 0
		.amdhsa_float_round_mode_32 0
		.amdhsa_float_round_mode_16_64 0
		.amdhsa_float_denorm_mode_32 3
		.amdhsa_float_denorm_mode_16_64 3
		.amdhsa_dx10_clamp 1
		.amdhsa_ieee_mode 1
		.amdhsa_fp16_overflow 0
		.amdhsa_tg_split 0
		.amdhsa_exception_fp_ieee_invalid_op 0
		.amdhsa_exception_fp_denorm_src 0
		.amdhsa_exception_fp_ieee_div_zero 0
		.amdhsa_exception_fp_ieee_overflow 0
		.amdhsa_exception_fp_ieee_underflow 0
		.amdhsa_exception_fp_ieee_inexact 0
		.amdhsa_exception_int_div_zero 0
	.end_amdhsa_kernel
	.section	.text._ZN5aiter37dynamic_per_group_scaled_quant_kernelIDF16_aLi32ELi64ELb1ELi64ELb0EEEvPT0_PfPKT_PKfliilPKii,"axG",@progbits,_ZN5aiter37dynamic_per_group_scaled_quant_kernelIDF16_aLi32ELi64ELb1ELi64ELb0EEEvPT0_PfPKT_PKfliilPKii,comdat
.Lfunc_end20:
	.size	_ZN5aiter37dynamic_per_group_scaled_quant_kernelIDF16_aLi32ELi64ELb1ELi64ELb0EEEvPT0_PfPKT_PKfliilPKii, .Lfunc_end20-_ZN5aiter37dynamic_per_group_scaled_quant_kernelIDF16_aLi32ELi64ELb1ELi64ELb0EEEvPT0_PfPKT_PKfliilPKii
                                        ; -- End function
	.section	.AMDGPU.csdata,"",@progbits
; Kernel info:
; codeLenInByte = 2544
; NumSgprs: 19
; NumVgprs: 55
; NumAgprs: 0
; TotalNumVgprs: 55
; ScratchSize: 0
; MemoryBound: 0
; FloatMode: 240
; IeeeMode: 1
; LDSByteSize: 0 bytes/workgroup (compile time only)
; SGPRBlocks: 2
; VGPRBlocks: 6
; NumSGPRsForWavesPerEU: 19
; NumVGPRsForWavesPerEU: 55
; AccumOffset: 56
; Occupancy: 8
; WaveLimiterHint : 0
; COMPUTE_PGM_RSRC2:SCRATCH_EN: 0
; COMPUTE_PGM_RSRC2:USER_SGPR: 6
; COMPUTE_PGM_RSRC2:TRAP_HANDLER: 0
; COMPUTE_PGM_RSRC2:TGID_X_EN: 1
; COMPUTE_PGM_RSRC2:TGID_Y_EN: 0
; COMPUTE_PGM_RSRC2:TGID_Z_EN: 0
; COMPUTE_PGM_RSRC2:TIDIG_COMP_CNT: 0
; COMPUTE_PGM_RSRC3_GFX90A:ACCUM_OFFSET: 13
; COMPUTE_PGM_RSRC3_GFX90A:TG_SPLIT: 0
	.section	.text._ZN5aiter37dynamic_per_group_scaled_quant_kernelItaLi32ELi64ELb1ELi64ELb0EEEvPT0_PfPKT_PKfliilPKii,"axG",@progbits,_ZN5aiter37dynamic_per_group_scaled_quant_kernelItaLi32ELi64ELb1ELi64ELb0EEEvPT0_PfPKT_PKfliilPKii,comdat
	.protected	_ZN5aiter37dynamic_per_group_scaled_quant_kernelItaLi32ELi64ELb1ELi64ELb0EEEvPT0_PfPKT_PKfliilPKii ; -- Begin function _ZN5aiter37dynamic_per_group_scaled_quant_kernelItaLi32ELi64ELb1ELi64ELb0EEEvPT0_PfPKT_PKfliilPKii
	.globl	_ZN5aiter37dynamic_per_group_scaled_quant_kernelItaLi32ELi64ELb1ELi64ELb0EEEvPT0_PfPKT_PKfliilPKii
	.p2align	8
	.type	_ZN5aiter37dynamic_per_group_scaled_quant_kernelItaLi32ELi64ELb1ELi64ELb0EEEvPT0_PfPKT_PKfliilPKii,@function
_ZN5aiter37dynamic_per_group_scaled_quant_kernelItaLi32ELi64ELb1ELi64ELb0EEEvPT0_PfPKT_PKfliilPKii: ; @_ZN5aiter37dynamic_per_group_scaled_quant_kernelItaLi32ELi64ELb1ELi64ELb0EEEvPT0_PfPKT_PKfliilPKii
; %bb.0:
	s_load_dwordx2 s[0:1], s[4:5], 0x38
	s_waitcnt lgkmcnt(0)
	s_cmp_eq_u64 s[0:1], 0
	s_cbranch_scc1 .LBB21_2
; %bb.1:
	s_load_dword s2, s[4:5], 0x40
	s_load_dword s7, s[0:1], 0x0
	s_waitcnt lgkmcnt(0)
	s_mul_hi_i32 s3, s7, s2
	s_mul_i32 s2, s7, s2
	s_branch .LBB21_3
.LBB21_2:
	s_load_dwordx2 s[2:3], s[4:5], 0x20
.LBB21_3:
	s_load_dwordx2 s[8:9], s[4:5], 0x28
	s_mov_b32 s7, 0
	s_lshl_b64 s[0:1], s[6:7], 6
	v_or_b32_e32 v6, s0, v0
	v_mov_b32_e32 v7, s1
	s_waitcnt lgkmcnt(0)
	s_ashr_i32 s0, s8, 31
	s_lshr_b32 s0, s0, 26
	s_add_i32 s0, s8, s0
	s_ashr_i32 s8, s0, 6
	v_lshrrev_b64 v[2:3], 1, v[6:7]
	s_ashr_i32 s14, s8, 31
	v_or_b32_e32 v5, s14, v3
	v_mov_b32_e32 v4, 0
	v_cmp_ne_u64_e32 vcc, 0, v[4:5]
                                        ; implicit-def: $vgpr4_vgpr5
	s_and_saveexec_b64 s[0:1], vcc
	s_xor_b64 s[6:7], exec, s[0:1]
	s_cbranch_execnz .LBB21_7
; %bb.4:
	s_andn2_saveexec_b64 s[0:1], s[6:7]
	s_cbranch_execnz .LBB21_8
.LBB21_5:
	s_or_b64 exec, exec, s[0:1]
	v_cmp_gt_i64_e32 vcc, s[2:3], v[4:5]
	s_and_saveexec_b64 s[0:1], vcc
	s_cbranch_execnz .LBB21_9
.LBB21_6:
	s_endpgm
.LBB21_7:
	s_add_u32 s0, s8, s14
	s_mov_b32 s10, s14
	s_mov_b32 s11, s14
	s_addc_u32 s1, s14, s14
	s_xor_b64 s[12:13], s[0:1], s[10:11]
	v_cvt_f32_u32_e32 v1, s12
	v_cvt_f32_u32_e32 v4, s13
	s_sub_u32 s0, 0, s12
	s_subb_u32 s1, 0, s13
	v_madmk_f32 v1, v4, 0x4f800000, v1
	v_rcp_f32_e32 v1, v1
	v_mul_f32_e32 v1, 0x5f7ffffc, v1
	v_mul_f32_e32 v4, 0x2f800000, v1
	v_trunc_f32_e32 v4, v4
	v_madmk_f32 v1, v4, 0xcf800000, v1
	v_cvt_u32_f32_e32 v4, v4
	v_cvt_u32_f32_e32 v1, v1
	v_mul_lo_u32 v5, s0, v4
	v_mul_hi_u32 v7, s0, v1
	v_mul_lo_u32 v6, s1, v1
	v_add_u32_e32 v5, v7, v5
	v_mul_lo_u32 v8, s0, v1
	v_add_u32_e32 v5, v5, v6
	v_mul_lo_u32 v7, v1, v5
	v_mul_hi_u32 v9, v1, v8
	v_mul_hi_u32 v6, v1, v5
	v_add_co_u32_e32 v7, vcc, v9, v7
	v_addc_co_u32_e32 v6, vcc, 0, v6, vcc
	v_mul_hi_u32 v10, v4, v8
	v_mul_lo_u32 v8, v4, v8
	v_add_co_u32_e32 v7, vcc, v7, v8
	v_mul_hi_u32 v9, v4, v5
	v_addc_co_u32_e32 v6, vcc, v6, v10, vcc
	v_addc_co_u32_e32 v7, vcc, 0, v9, vcc
	v_mul_lo_u32 v5, v4, v5
	v_add_co_u32_e32 v5, vcc, v6, v5
	v_addc_co_u32_e32 v6, vcc, 0, v7, vcc
	v_add_co_u32_e32 v1, vcc, v1, v5
	v_addc_co_u32_e32 v4, vcc, v4, v6, vcc
	v_mul_lo_u32 v5, s0, v4
	v_mul_hi_u32 v6, s0, v1
	v_add_u32_e32 v5, v6, v5
	v_mul_lo_u32 v6, s1, v1
	v_add_u32_e32 v5, v5, v6
	v_mul_lo_u32 v7, s0, v1
	v_mul_hi_u32 v8, v4, v7
	v_mul_lo_u32 v9, v4, v7
	v_mul_lo_u32 v11, v1, v5
	v_mul_hi_u32 v7, v1, v7
	v_mul_hi_u32 v10, v1, v5
	v_add_co_u32_e32 v7, vcc, v7, v11
	v_addc_co_u32_e32 v10, vcc, 0, v10, vcc
	v_add_co_u32_e32 v7, vcc, v7, v9
	v_mul_hi_u32 v6, v4, v5
	v_addc_co_u32_e32 v7, vcc, v10, v8, vcc
	v_addc_co_u32_e32 v6, vcc, 0, v6, vcc
	v_mul_lo_u32 v5, v4, v5
	v_add_co_u32_e32 v5, vcc, v7, v5
	v_addc_co_u32_e32 v6, vcc, 0, v6, vcc
	v_add_co_u32_e32 v1, vcc, v1, v5
	v_addc_co_u32_e32 v6, vcc, v4, v6, vcc
	v_mad_u64_u32 v[4:5], s[0:1], v2, v6, 0
	v_mul_hi_u32 v7, v2, v1
	v_add_co_u32_e32 v8, vcc, v7, v4
	v_addc_co_u32_e32 v9, vcc, 0, v5, vcc
	v_mad_u64_u32 v[4:5], s[0:1], v3, v6, 0
	v_mad_u64_u32 v[6:7], s[0:1], v3, v1, 0
	v_add_co_u32_e32 v1, vcc, v8, v6
	v_addc_co_u32_e32 v1, vcc, v9, v7, vcc
	v_addc_co_u32_e32 v5, vcc, 0, v5, vcc
	v_add_co_u32_e32 v1, vcc, v1, v4
	v_addc_co_u32_e32 v6, vcc, 0, v5, vcc
	v_mul_lo_u32 v7, s13, v1
	v_mul_lo_u32 v8, s12, v6
	v_mad_u64_u32 v[4:5], s[0:1], s12, v1, 0
	v_add3_u32 v5, v5, v8, v7
	v_sub_u32_e32 v7, v3, v5
	v_mov_b32_e32 v8, s13
	v_sub_co_u32_e32 v4, vcc, v2, v4
	v_subb_co_u32_e64 v7, s[0:1], v7, v8, vcc
	v_subrev_co_u32_e64 v8, s[0:1], s12, v4
	v_subbrev_co_u32_e64 v7, s[0:1], 0, v7, s[0:1]
	v_cmp_le_u32_e64 s[0:1], s13, v7
	v_cndmask_b32_e64 v9, 0, -1, s[0:1]
	v_cmp_le_u32_e64 s[0:1], s12, v8
	v_cndmask_b32_e64 v8, 0, -1, s[0:1]
	v_cmp_eq_u32_e64 s[0:1], s13, v7
	v_cndmask_b32_e64 v7, v9, v8, s[0:1]
	v_add_co_u32_e64 v8, s[0:1], 2, v1
	v_addc_co_u32_e64 v9, s[0:1], 0, v6, s[0:1]
	v_add_co_u32_e64 v10, s[0:1], 1, v1
	v_addc_co_u32_e64 v11, s[0:1], 0, v6, s[0:1]
	v_subb_co_u32_e32 v5, vcc, v3, v5, vcc
	v_cmp_ne_u32_e64 s[0:1], 0, v7
	v_cmp_le_u32_e32 vcc, s13, v5
	v_cndmask_b32_e64 v7, v11, v9, s[0:1]
	v_cndmask_b32_e64 v9, 0, -1, vcc
	v_cmp_le_u32_e32 vcc, s12, v4
	v_cndmask_b32_e64 v4, 0, -1, vcc
	v_cmp_eq_u32_e32 vcc, s13, v5
	v_cndmask_b32_e32 v4, v9, v4, vcc
	v_cmp_ne_u32_e32 vcc, 0, v4
	v_cndmask_b32_e64 v5, v10, v8, s[0:1]
	v_cndmask_b32_e32 v1, v1, v5, vcc
	v_cndmask_b32_e32 v4, v6, v7, vcc
	v_xor_b32_e32 v1, s10, v1
	v_xor_b32_e32 v5, s11, v4
	v_mov_b32_e32 v6, s14
	v_subrev_co_u32_e32 v4, vcc, s10, v1
	v_subb_co_u32_e32 v5, vcc, v5, v6, vcc
                                        ; implicit-def: $vgpr6_vgpr7
	s_andn2_saveexec_b64 s[0:1], s[6:7]
	s_cbranch_execz .LBB21_5
.LBB21_8:
	v_cvt_f32_u32_e32 v1, s8
	s_sub_i32 s6, 0, s8
	v_alignbit_b32 v4, v7, v6, 1
	v_rcp_iflag_f32_e32 v1, v1
	v_mul_f32_e32 v1, 0x4f7ffffe, v1
	v_cvt_u32_f32_e32 v1, v1
	v_mul_lo_u32 v5, s6, v1
	v_mul_hi_u32 v5, v1, v5
	v_add_u32_e32 v1, v1, v5
	v_mul_hi_u32 v1, v4, v1
	v_mul_lo_u32 v5, v1, s8
	v_sub_u32_e32 v4, v4, v5
	v_add_u32_e32 v6, 1, v1
	v_subrev_u32_e32 v5, s8, v4
	v_cmp_le_u32_e32 vcc, s8, v4
	v_cndmask_b32_e32 v4, v4, v5, vcc
	v_cndmask_b32_e32 v1, v1, v6, vcc
	v_add_u32_e32 v5, 1, v1
	v_cmp_le_u32_e32 vcc, s8, v4
	v_cndmask_b32_e32 v4, v1, v5, vcc
	v_mov_b32_e32 v5, 0
	s_or_b64 exec, exec, s[0:1]
	v_cmp_gt_i64_e32 vcc, s[2:3], v[4:5]
	s_and_saveexec_b64 s[0:1], vcc
	s_cbranch_execz .LBB21_6
.LBB21_9:
	s_load_dwordx2 s[0:1], s[4:5], 0x10
	v_mul_lo_u32 v1, v5, s8
	v_mul_lo_u32 v8, v4, s14
	v_mad_u64_u32 v[6:7], s[6:7], v4, s8, 0
	v_add3_u32 v7, v7, v8, v1
	v_sub_co_u32_e32 v1, vcc, v2, v6
	s_ashr_i32 s6, s9, 31
	v_subb_co_u32_e32 v3, vcc, v3, v7, vcc
	v_mul_lo_u32 v8, v5, s9
	v_mul_lo_u32 v9, v4, s6
	v_mad_u64_u32 v[6:7], s[6:7], v4, s9, 0
	v_add3_u32 v7, v7, v9, v8
	v_lshlrev_b64 v[6:7], 1, v[6:7]
	v_lshlrev_b32_e32 v8, 6, v1
	v_mov_b32_e32 v9, 0
	s_waitcnt lgkmcnt(0)
	v_mov_b32_e32 v10, s1
	v_add_co_u32_e32 v11, vcc, s0, v6
	v_addc_co_u32_e32 v10, vcc, v10, v7, vcc
	v_lshlrev_b64 v[6:7], 1, v[8:9]
	v_add_co_u32_e32 v6, vcc, v11, v6
	v_and_b32_e32 v42, 1, v0
	v_addc_co_u32_e32 v7, vcc, v10, v7, vcc
	v_lshlrev_b32_e32 v8, 6, v42
	v_add_co_u32_e32 v18, vcc, v6, v8
	v_addc_co_u32_e32 v19, vcc, 0, v7, vcc
	global_load_dwordx4 v[6:9], v[18:19], off
	global_load_dwordx4 v[10:13], v[18:19], off offset:16
	global_load_dwordx4 v[14:17], v[18:19], off offset:32
	;; [unrolled: 1-line block ×3, first 2 shown]
	s_mov_b32 s6, 0x2edbe6ff
	s_load_dwordx2 s[0:1], s[4:5], 0x0
	s_waitcnt vmcnt(3)
	v_cvt_f32_u32_sdwa v27, v6 dst_sel:DWORD dst_unused:UNUSED_PAD src0_sel:WORD_1
	v_cvt_f32_u32_sdwa v26, v6 dst_sel:DWORD dst_unused:UNUSED_PAD src0_sel:WORD_0
	v_cvt_f32_u32_sdwa v23, v7 dst_sel:DWORD dst_unused:UNUSED_PAD src0_sel:WORD_1
	v_cvt_f32_u32_sdwa v22, v7 dst_sel:DWORD dst_unused:UNUSED_PAD src0_sel:WORD_0
	v_cvt_f32_u32_sdwa v25, v8 dst_sel:DWORD dst_unused:UNUSED_PAD src0_sel:WORD_1
	v_cvt_f32_u32_sdwa v24, v8 dst_sel:DWORD dst_unused:UNUSED_PAD src0_sel:WORD_0
	v_cvt_f32_u32_sdwa v29, v9 dst_sel:DWORD dst_unused:UNUSED_PAD src0_sel:WORD_1
	v_cvt_f32_u32_sdwa v28, v9 dst_sel:DWORD dst_unused:UNUSED_PAD src0_sel:WORD_0
	s_waitcnt vmcnt(2)
	v_cvt_f32_u32_sdwa v31, v10 dst_sel:DWORD dst_unused:UNUSED_PAD src0_sel:WORD_1
	v_cvt_f32_u32_sdwa v30, v10 dst_sel:DWORD dst_unused:UNUSED_PAD src0_sel:WORD_0
	s_waitcnt vmcnt(1)
	v_cvt_f32_u32_sdwa v7, v14 dst_sel:DWORD dst_unused:UNUSED_PAD src0_sel:WORD_1
	v_cvt_f32_u32_sdwa v6, v14 dst_sel:DWORD dst_unused:UNUSED_PAD src0_sel:WORD_0
	v_cvt_f32_u32_sdwa v9, v15 dst_sel:DWORD dst_unused:UNUSED_PAD src0_sel:WORD_1
	v_cvt_f32_u32_sdwa v8, v15 dst_sel:DWORD dst_unused:UNUSED_PAD src0_sel:WORD_0
	s_waitcnt vmcnt(0)
	v_cvt_f32_u32_sdwa v15, v38 dst_sel:DWORD dst_unused:UNUSED_PAD src0_sel:WORD_1
	v_cvt_f32_u32_sdwa v14, v38 dst_sel:DWORD dst_unused:UNUSED_PAD src0_sel:WORD_0
	v_max3_f32 v38, v26, s6, v27
	v_cvt_f32_u32_sdwa v33, v11 dst_sel:DWORD dst_unused:UNUSED_PAD src0_sel:WORD_1
	v_cvt_f32_u32_sdwa v32, v11 dst_sel:DWORD dst_unused:UNUSED_PAD src0_sel:WORD_0
	v_max3_f32 v38, v38, v22, v23
	;; [unrolled: 3-line block ×4, first 2 shown]
	v_max3_f32 v38, v38, v30, v31
	v_max3_f32 v38, v38, v32, v33
	v_cvt_f32_u32_sdwa v11, v16 dst_sel:DWORD dst_unused:UNUSED_PAD src0_sel:WORD_1
	v_cvt_f32_u32_sdwa v10, v16 dst_sel:DWORD dst_unused:UNUSED_PAD src0_sel:WORD_0
	v_max3_f32 v38, v38, v34, v35
	v_cvt_f32_u32_sdwa v13, v17 dst_sel:DWORD dst_unused:UNUSED_PAD src0_sel:WORD_1
	v_cvt_f32_u32_sdwa v12, v17 dst_sel:DWORD dst_unused:UNUSED_PAD src0_sel:WORD_0
	v_max3_f32 v38, v38, v36, v37
	v_max3_f32 v38, v38, v6, v7
	v_cvt_f32_u32_sdwa v17, v39 dst_sel:DWORD dst_unused:UNUSED_PAD src0_sel:WORD_1
	v_cvt_f32_u32_sdwa v16, v39 dst_sel:DWORD dst_unused:UNUSED_PAD src0_sel:WORD_0
	v_max3_f32 v38, v38, v8, v9
	v_cvt_f32_u32_sdwa v19, v40 dst_sel:DWORD dst_unused:UNUSED_PAD src0_sel:WORD_1
	v_cvt_f32_u32_sdwa v18, v40 dst_sel:DWORD dst_unused:UNUSED_PAD src0_sel:WORD_0
	;; [unrolled: 3-line block ×3, first 2 shown]
	v_max3_f32 v38, v38, v12, v13
	v_max3_f32 v38, v38, v14, v15
	;; [unrolled: 1-line block ×5, first 2 shown]
	s_nop 1
	v_mov_b32_dpp v39, v38 quad_perm:[1,0,3,2] row_mask:0xf bank_mask:0xf
	v_cmp_gt_f32_e32 vcc, v38, v39
	v_cndmask_b32_e32 v38, v39, v38, vcc
	v_mul_f32_e32 v38, 0x3c010204, v38
	v_cmp_eq_u32_e32 vcc, 0, v42
	s_and_saveexec_b64 s[6:7], vcc
	s_cbranch_execz .LBB21_11
; %bb.10:
	s_load_dwordx2 s[8:9], s[4:5], 0x8
	v_mul_lo_u32 v3, v3, s2
	v_mul_lo_u32 v39, v1, s3
	v_mad_u64_u32 v[40:41], s[2:3], v1, s2, 0
	v_add3_u32 v41, v41, v39, v3
	v_lshlrev_b64 v[40:41], 2, v[40:41]
	s_waitcnt lgkmcnt(0)
	v_mov_b32_e32 v1, s9
	v_add_co_u32_e32 v3, vcc, s8, v40
	v_addc_co_u32_e32 v1, vcc, v1, v41, vcc
	v_lshlrev_b64 v[4:5], 2, v[4:5]
	v_add_co_u32_e32 v4, vcc, v3, v4
	v_addc_co_u32_e32 v5, vcc, v1, v5, vcc
	global_store_dword v[4:5], v38, off
.LBB21_11:
	s_or_b64 exec, exec, s[6:7]
	v_div_scale_f32 v1, s[2:3], v38, v38, 1.0
	v_rcp_f32_e32 v3, v1
	v_lshlrev_b32_e32 v2, 6, v2
	v_lshlrev_b32_e32 v0, 5, v0
	s_load_dword s2, s[4:5], 0x30
	v_fma_f32 v4, -v1, v3, 1.0
	v_fmac_f32_e32 v3, v4, v3
	v_div_scale_f32 v4, vcc, 1.0, v38, 1.0
	v_mul_f32_e32 v5, v4, v3
	v_fma_f32 v39, -v1, v5, v4
	v_fmac_f32_e32 v5, v39, v3
	v_fma_f32 v1, -v1, v5, v4
	v_div_fmas_f32 v1, v1, v3, v5
	v_div_fixup_f32 v4, v1, v38, 1.0
	v_and_or_b32 v38, v0, 32, v2
	v_mov_b32_e32 v5, v4
	;;#ASMSTART
	v_pk_mul_f32 v[0:1], v[26:27], v[4:5]
	;;#ASMEND
	v_cvt_i32_f32_e32 v2, v0
	v_cvt_i32_f32_sdwa v3, v1 dst_sel:BYTE_1 dst_unused:UNUSED_PAD src0_sel:DWORD
	;;#ASMSTART
	v_pk_mul_f32 v[0:1], v[22:23], v[4:5]
	;;#ASMEND
	v_cvt_i32_f32_e32 v22, v0
	v_cvt_i32_f32_sdwa v23, v1 dst_sel:BYTE_1 dst_unused:UNUSED_PAD src0_sel:DWORD
	;; [unrolled: 5-line block ×8, first 2 shown]
	v_or_b32_sdwa v0, v2, v3 dst_sel:DWORD dst_unused:UNUSED_PAD src0_sel:BYTE_0 src1_sel:DWORD
	v_or_b32_sdwa v1, v22, v23 dst_sel:WORD_1 dst_unused:UNUSED_PAD src0_sel:BYTE_0 src1_sel:DWORD
	v_or_b32_sdwa v0, v0, v1 dst_sel:DWORD dst_unused:UNUSED_PAD src0_sel:WORD_0 src1_sel:DWORD
	v_or_b32_sdwa v1, v24, v25 dst_sel:DWORD dst_unused:UNUSED_PAD src0_sel:BYTE_0 src1_sel:DWORD
	v_or_b32_sdwa v2, v26, v27 dst_sel:WORD_1 dst_unused:UNUSED_PAD src0_sel:BYTE_0 src1_sel:DWORD
	v_or_b32_sdwa v1, v1, v2 dst_sel:DWORD dst_unused:UNUSED_PAD src0_sel:WORD_0 src1_sel:DWORD
	;; [unrolled: 3-line block ×3, first 2 shown]
	v_or_b32_sdwa v3, v32, v33 dst_sel:DWORD dst_unused:UNUSED_PAD src0_sel:BYTE_0 src1_sel:DWORD
	v_or_b32_sdwa v22, v34, v35 dst_sel:WORD_1 dst_unused:UNUSED_PAD src0_sel:BYTE_0 src1_sel:DWORD
	s_waitcnt lgkmcnt(0)
	s_and_b32 s1, s1, 0xffff
	s_mov_b32 s3, 0x20000
	v_or_b32_sdwa v3, v3, v22 dst_sel:DWORD dst_unused:UNUSED_PAD src0_sel:WORD_0 src1_sel:DWORD
	buffer_store_dwordx4 v[0:3], v38, s[0:3], 0 offen
	;;#ASMSTART
	s_nop 0
	;;#ASMEND
	s_nop 0
	;;#ASMSTART
	v_pk_mul_f32 v[0:1], v[6:7], v[4:5]
	;;#ASMEND
	v_cvt_i32_f32_e32 v2, v0
	v_cvt_i32_f32_sdwa v3, v1 dst_sel:BYTE_1 dst_unused:UNUSED_PAD src0_sel:DWORD
	;;#ASMSTART
	v_pk_mul_f32 v[0:1], v[8:9], v[4:5]
	;;#ASMEND
	v_cvt_i32_f32_e32 v6, v0
	v_cvt_i32_f32_sdwa v7, v1 dst_sel:BYTE_1 dst_unused:UNUSED_PAD src0_sel:DWORD
	;; [unrolled: 5-line block ×8, first 2 shown]
	v_or_b32_sdwa v0, v2, v3 dst_sel:DWORD dst_unused:UNUSED_PAD src0_sel:BYTE_0 src1_sel:DWORD
	v_or_b32_sdwa v1, v6, v7 dst_sel:WORD_1 dst_unused:UNUSED_PAD src0_sel:BYTE_0 src1_sel:DWORD
	v_or_b32_sdwa v0, v0, v1 dst_sel:DWORD dst_unused:UNUSED_PAD src0_sel:WORD_0 src1_sel:DWORD
	v_or_b32_sdwa v1, v8, v9 dst_sel:DWORD dst_unused:UNUSED_PAD src0_sel:BYTE_0 src1_sel:DWORD
	v_or_b32_sdwa v2, v10, v11 dst_sel:WORD_1 dst_unused:UNUSED_PAD src0_sel:BYTE_0 src1_sel:DWORD
	v_or_b32_sdwa v1, v1, v2 dst_sel:DWORD dst_unused:UNUSED_PAD src0_sel:WORD_0 src1_sel:DWORD
	v_or_b32_sdwa v2, v12, v13 dst_sel:DWORD dst_unused:UNUSED_PAD src0_sel:BYTE_0 src1_sel:DWORD
	v_or_b32_sdwa v3, v14, v15 dst_sel:WORD_1 dst_unused:UNUSED_PAD src0_sel:BYTE_0 src1_sel:DWORD
	v_or_b32_sdwa v2, v2, v3 dst_sel:DWORD dst_unused:UNUSED_PAD src0_sel:WORD_0 src1_sel:DWORD
	v_or_b32_sdwa v3, v16, v17 dst_sel:DWORD dst_unused:UNUSED_PAD src0_sel:BYTE_0 src1_sel:DWORD
	v_or_b32_sdwa v4, v4, v5 dst_sel:WORD_1 dst_unused:UNUSED_PAD src0_sel:BYTE_0 src1_sel:DWORD
	v_or_b32_sdwa v3, v3, v4 dst_sel:DWORD dst_unused:UNUSED_PAD src0_sel:WORD_0 src1_sel:DWORD
	buffer_store_dwordx4 v[0:3], v38, s[0:3], 16 offen
	;;#ASMSTART
	s_nop 0
	;;#ASMEND
	s_endpgm
	.section	.rodata,"a",@progbits
	.p2align	6, 0x0
	.amdhsa_kernel _ZN5aiter37dynamic_per_group_scaled_quant_kernelItaLi32ELi64ELb1ELi64ELb0EEEvPT0_PfPKT_PKfliilPKii
		.amdhsa_group_segment_fixed_size 0
		.amdhsa_private_segment_fixed_size 0
		.amdhsa_kernarg_size 68
		.amdhsa_user_sgpr_count 6
		.amdhsa_user_sgpr_private_segment_buffer 1
		.amdhsa_user_sgpr_dispatch_ptr 0
		.amdhsa_user_sgpr_queue_ptr 0
		.amdhsa_user_sgpr_kernarg_segment_ptr 1
		.amdhsa_user_sgpr_dispatch_id 0
		.amdhsa_user_sgpr_flat_scratch_init 0
		.amdhsa_user_sgpr_kernarg_preload_length 0
		.amdhsa_user_sgpr_kernarg_preload_offset 0
		.amdhsa_user_sgpr_private_segment_size 0
		.amdhsa_uses_dynamic_stack 0
		.amdhsa_system_sgpr_private_segment_wavefront_offset 0
		.amdhsa_system_sgpr_workgroup_id_x 1
		.amdhsa_system_sgpr_workgroup_id_y 0
		.amdhsa_system_sgpr_workgroup_id_z 0
		.amdhsa_system_sgpr_workgroup_info 0
		.amdhsa_system_vgpr_workitem_id 0
		.amdhsa_next_free_vgpr 43
		.amdhsa_next_free_sgpr 15
		.amdhsa_accum_offset 44
		.amdhsa_reserve_vcc 1
		.amdhsa_reserve_flat_scratch 0
		.amdhsa_float_round_mode_32 0
		.amdhsa_float_round_mode_16_64 0
		.amdhsa_float_denorm_mode_32 3
		.amdhsa_float_denorm_mode_16_64 3
		.amdhsa_dx10_clamp 1
		.amdhsa_ieee_mode 1
		.amdhsa_fp16_overflow 0
		.amdhsa_tg_split 0
		.amdhsa_exception_fp_ieee_invalid_op 0
		.amdhsa_exception_fp_denorm_src 0
		.amdhsa_exception_fp_ieee_div_zero 0
		.amdhsa_exception_fp_ieee_overflow 0
		.amdhsa_exception_fp_ieee_underflow 0
		.amdhsa_exception_fp_ieee_inexact 0
		.amdhsa_exception_int_div_zero 0
	.end_amdhsa_kernel
	.section	.text._ZN5aiter37dynamic_per_group_scaled_quant_kernelItaLi32ELi64ELb1ELi64ELb0EEEvPT0_PfPKT_PKfliilPKii,"axG",@progbits,_ZN5aiter37dynamic_per_group_scaled_quant_kernelItaLi32ELi64ELb1ELi64ELb0EEEvPT0_PfPKT_PKfliilPKii,comdat
.Lfunc_end21:
	.size	_ZN5aiter37dynamic_per_group_scaled_quant_kernelItaLi32ELi64ELb1ELi64ELb0EEEvPT0_PfPKT_PKfliilPKii, .Lfunc_end21-_ZN5aiter37dynamic_per_group_scaled_quant_kernelItaLi32ELi64ELb1ELi64ELb0EEEvPT0_PfPKT_PKfliilPKii
                                        ; -- End function
	.section	.AMDGPU.csdata,"",@progbits
; Kernel info:
; codeLenInByte = 2356
; NumSgprs: 19
; NumVgprs: 43
; NumAgprs: 0
; TotalNumVgprs: 43
; ScratchSize: 0
; MemoryBound: 0
; FloatMode: 240
; IeeeMode: 1
; LDSByteSize: 0 bytes/workgroup (compile time only)
; SGPRBlocks: 2
; VGPRBlocks: 5
; NumSGPRsForWavesPerEU: 19
; NumVGPRsForWavesPerEU: 43
; AccumOffset: 44
; Occupancy: 8
; WaveLimiterHint : 0
; COMPUTE_PGM_RSRC2:SCRATCH_EN: 0
; COMPUTE_PGM_RSRC2:USER_SGPR: 6
; COMPUTE_PGM_RSRC2:TRAP_HANDLER: 0
; COMPUTE_PGM_RSRC2:TGID_X_EN: 1
; COMPUTE_PGM_RSRC2:TGID_Y_EN: 0
; COMPUTE_PGM_RSRC2:TGID_Z_EN: 0
; COMPUTE_PGM_RSRC2:TIDIG_COMP_CNT: 0
; COMPUTE_PGM_RSRC3_GFX90A:ACCUM_OFFSET: 10
; COMPUTE_PGM_RSRC3_GFX90A:TG_SPLIT: 0
	.section	.text._ZN5aiter37dynamic_per_group_scaled_quant_kernelIDF16_DB8_Li32ELi64ELb0ELi64ELb0EEEvPT0_PfPKT_PKfliilPKii,"axG",@progbits,_ZN5aiter37dynamic_per_group_scaled_quant_kernelIDF16_DB8_Li32ELi64ELb0ELi64ELb0EEEvPT0_PfPKT_PKfliilPKii,comdat
	.protected	_ZN5aiter37dynamic_per_group_scaled_quant_kernelIDF16_DB8_Li32ELi64ELb0ELi64ELb0EEEvPT0_PfPKT_PKfliilPKii ; -- Begin function _ZN5aiter37dynamic_per_group_scaled_quant_kernelIDF16_DB8_Li32ELi64ELb0ELi64ELb0EEEvPT0_PfPKT_PKfliilPKii
	.globl	_ZN5aiter37dynamic_per_group_scaled_quant_kernelIDF16_DB8_Li32ELi64ELb0ELi64ELb0EEEvPT0_PfPKT_PKfliilPKii
	.p2align	8
	.type	_ZN5aiter37dynamic_per_group_scaled_quant_kernelIDF16_DB8_Li32ELi64ELb0ELi64ELb0EEEvPT0_PfPKT_PKfliilPKii,@function
_ZN5aiter37dynamic_per_group_scaled_quant_kernelIDF16_DB8_Li32ELi64ELb0ELi64ELb0EEEvPT0_PfPKT_PKfliilPKii: ; @_ZN5aiter37dynamic_per_group_scaled_quant_kernelIDF16_DB8_Li32ELi64ELb0ELi64ELb0EEEvPT0_PfPKT_PKfliilPKii
; %bb.0:
	s_load_dwordx2 s[0:1], s[4:5], 0x38
	s_waitcnt lgkmcnt(0)
	s_cmp_eq_u64 s[0:1], 0
	s_cbranch_scc1 .LBB22_2
; %bb.1:
	s_load_dword s2, s[4:5], 0x40
	s_load_dword s3, s[0:1], 0x0
	s_waitcnt lgkmcnt(0)
	s_mul_hi_i32 s9, s3, s2
	s_mul_i32 s8, s3, s2
	s_branch .LBB22_3
.LBB22_2:
	s_load_dwordx2 s[8:9], s[4:5], 0x20
.LBB22_3:
	s_load_dwordx2 s[2:3], s[4:5], 0x28
	s_mov_b32 s7, 0
	s_lshl_b64 s[0:1], s[6:7], 6
	v_or_b32_e32 v4, s0, v0
	v_mov_b32_e32 v5, s1
	s_waitcnt lgkmcnt(0)
	s_ashr_i32 s0, s2, 31
	s_lshr_b32 s0, s0, 26
	s_add_i32 s0, s2, s0
	s_ashr_i32 s2, s0, 6
	v_lshrrev_b64 v[18:19], 1, v[4:5]
	s_ashr_i32 s0, s2, 31
	v_or_b32_e32 v3, s0, v19
	v_mov_b32_e32 v2, 0
	v_cmp_ne_u64_e32 vcc, 0, v[2:3]
                                        ; implicit-def: $vgpr2_vgpr3
	s_and_saveexec_b64 s[6:7], vcc
	s_xor_b64 s[6:7], exec, s[6:7]
	s_cbranch_execnz .LBB22_7
; %bb.4:
	s_andn2_saveexec_b64 s[0:1], s[6:7]
	s_cbranch_execnz .LBB22_8
.LBB22_5:
	s_or_b64 exec, exec, s[0:1]
	v_cmp_gt_i64_e32 vcc, s[8:9], v[2:3]
	s_and_saveexec_b64 s[0:1], vcc
	s_cbranch_execnz .LBB22_9
.LBB22_6:
	s_endpgm
.LBB22_7:
	s_add_u32 s12, s2, s0
	s_mov_b32 s10, s0
	s_mov_b32 s11, s0
	s_addc_u32 s13, s0, s0
	s_xor_b64 s[12:13], s[12:13], s[10:11]
	v_cvt_f32_u32_e32 v1, s12
	v_cvt_f32_u32_e32 v2, s13
	s_sub_u32 s0, 0, s12
	s_subb_u32 s1, 0, s13
	v_madmk_f32 v1, v2, 0x4f800000, v1
	v_rcp_f32_e32 v1, v1
	v_mul_f32_e32 v1, 0x5f7ffffc, v1
	v_mul_f32_e32 v2, 0x2f800000, v1
	v_trunc_f32_e32 v2, v2
	v_madmk_f32 v1, v2, 0xcf800000, v1
	v_cvt_u32_f32_e32 v2, v2
	v_cvt_u32_f32_e32 v1, v1
	v_mul_lo_u32 v3, s0, v2
	v_mul_hi_u32 v5, s0, v1
	v_mul_lo_u32 v4, s1, v1
	v_add_u32_e32 v3, v5, v3
	v_mul_lo_u32 v6, s0, v1
	v_add_u32_e32 v3, v3, v4
	v_mul_lo_u32 v5, v1, v3
	v_mul_hi_u32 v7, v1, v6
	v_mul_hi_u32 v4, v1, v3
	v_add_co_u32_e32 v5, vcc, v7, v5
	v_addc_co_u32_e32 v4, vcc, 0, v4, vcc
	v_mul_hi_u32 v8, v2, v6
	v_mul_lo_u32 v6, v2, v6
	v_add_co_u32_e32 v5, vcc, v5, v6
	v_mul_hi_u32 v7, v2, v3
	v_addc_co_u32_e32 v4, vcc, v4, v8, vcc
	v_addc_co_u32_e32 v5, vcc, 0, v7, vcc
	v_mul_lo_u32 v3, v2, v3
	v_add_co_u32_e32 v3, vcc, v4, v3
	v_addc_co_u32_e32 v4, vcc, 0, v5, vcc
	v_add_co_u32_e32 v1, vcc, v1, v3
	v_addc_co_u32_e32 v2, vcc, v2, v4, vcc
	v_mul_lo_u32 v3, s0, v2
	v_mul_hi_u32 v4, s0, v1
	v_add_u32_e32 v3, v4, v3
	v_mul_lo_u32 v4, s1, v1
	v_add_u32_e32 v3, v3, v4
	v_mul_lo_u32 v5, s0, v1
	v_mul_hi_u32 v6, v2, v5
	v_mul_lo_u32 v7, v2, v5
	v_mul_lo_u32 v9, v1, v3
	v_mul_hi_u32 v5, v1, v5
	v_mul_hi_u32 v8, v1, v3
	v_add_co_u32_e32 v5, vcc, v5, v9
	v_addc_co_u32_e32 v8, vcc, 0, v8, vcc
	v_add_co_u32_e32 v5, vcc, v5, v7
	v_mul_hi_u32 v4, v2, v3
	v_addc_co_u32_e32 v5, vcc, v8, v6, vcc
	v_addc_co_u32_e32 v4, vcc, 0, v4, vcc
	v_mul_lo_u32 v3, v2, v3
	v_add_co_u32_e32 v3, vcc, v5, v3
	v_addc_co_u32_e32 v4, vcc, 0, v4, vcc
	v_add_co_u32_e32 v1, vcc, v1, v3
	v_addc_co_u32_e32 v4, vcc, v2, v4, vcc
	v_mad_u64_u32 v[2:3], s[0:1], v18, v4, 0
	v_mul_hi_u32 v5, v18, v1
	v_add_co_u32_e32 v6, vcc, v5, v2
	v_addc_co_u32_e32 v7, vcc, 0, v3, vcc
	v_mad_u64_u32 v[2:3], s[0:1], v19, v4, 0
	v_mad_u64_u32 v[4:5], s[0:1], v19, v1, 0
	v_add_co_u32_e32 v1, vcc, v6, v4
	v_addc_co_u32_e32 v1, vcc, v7, v5, vcc
	v_addc_co_u32_e32 v3, vcc, 0, v3, vcc
	v_add_co_u32_e32 v1, vcc, v1, v2
	v_addc_co_u32_e32 v4, vcc, 0, v3, vcc
	v_mul_lo_u32 v5, s13, v1
	v_mul_lo_u32 v6, s12, v4
	v_mad_u64_u32 v[2:3], s[0:1], s12, v1, 0
	v_add3_u32 v3, v3, v6, v5
	v_sub_u32_e32 v5, v19, v3
	v_mov_b32_e32 v6, s13
	v_sub_co_u32_e32 v2, vcc, v18, v2
	v_subb_co_u32_e64 v5, s[0:1], v5, v6, vcc
	v_subrev_co_u32_e64 v6, s[0:1], s12, v2
	v_subbrev_co_u32_e64 v5, s[0:1], 0, v5, s[0:1]
	v_cmp_le_u32_e64 s[0:1], s13, v5
	v_cndmask_b32_e64 v7, 0, -1, s[0:1]
	v_cmp_le_u32_e64 s[0:1], s12, v6
	v_cndmask_b32_e64 v6, 0, -1, s[0:1]
	v_cmp_eq_u32_e64 s[0:1], s13, v5
	v_cndmask_b32_e64 v5, v7, v6, s[0:1]
	v_add_co_u32_e64 v6, s[0:1], 2, v1
	v_addc_co_u32_e64 v7, s[0:1], 0, v4, s[0:1]
	v_add_co_u32_e64 v8, s[0:1], 1, v1
	v_addc_co_u32_e64 v9, s[0:1], 0, v4, s[0:1]
	v_subb_co_u32_e32 v3, vcc, v19, v3, vcc
	v_cmp_ne_u32_e64 s[0:1], 0, v5
	v_cmp_le_u32_e32 vcc, s13, v3
	v_cndmask_b32_e64 v5, v9, v7, s[0:1]
	v_cndmask_b32_e64 v7, 0, -1, vcc
	v_cmp_le_u32_e32 vcc, s12, v2
	v_cndmask_b32_e64 v2, 0, -1, vcc
	v_cmp_eq_u32_e32 vcc, s13, v3
	v_cndmask_b32_e32 v2, v7, v2, vcc
	v_cmp_ne_u32_e32 vcc, 0, v2
	v_cndmask_b32_e64 v3, v8, v6, s[0:1]
	v_cndmask_b32_e32 v1, v1, v3, vcc
	v_cndmask_b32_e32 v2, v4, v5, vcc
	v_xor_b32_e32 v1, s10, v1
	v_xor_b32_e32 v3, s11, v2
	v_mov_b32_e32 v4, s11
	v_subrev_co_u32_e32 v2, vcc, s10, v1
	v_subb_co_u32_e32 v3, vcc, v3, v4, vcc
                                        ; implicit-def: $vgpr4_vgpr5
	s_andn2_saveexec_b64 s[0:1], s[6:7]
	s_cbranch_execz .LBB22_5
.LBB22_8:
	v_cvt_f32_u32_e32 v1, s2
	s_sub_i32 s6, 0, s2
	v_alignbit_b32 v2, v5, v4, 1
	v_rcp_iflag_f32_e32 v1, v1
	v_mul_f32_e32 v1, 0x4f7ffffe, v1
	v_cvt_u32_f32_e32 v1, v1
	v_mul_lo_u32 v3, s6, v1
	v_mul_hi_u32 v3, v1, v3
	v_add_u32_e32 v1, v1, v3
	v_mul_hi_u32 v1, v2, v1
	v_mul_lo_u32 v3, v1, s2
	v_sub_u32_e32 v2, v2, v3
	v_add_u32_e32 v4, 1, v1
	v_subrev_u32_e32 v3, s2, v2
	v_cmp_le_u32_e32 vcc, s2, v2
	v_cndmask_b32_e32 v2, v2, v3, vcc
	v_cndmask_b32_e32 v1, v1, v4, vcc
	v_add_u32_e32 v3, 1, v1
	v_cmp_le_u32_e32 vcc, s2, v2
	v_cndmask_b32_e32 v2, v1, v3, vcc
	v_mov_b32_e32 v3, 0
	s_or_b64 exec, exec, s[0:1]
	v_cmp_gt_i64_e32 vcc, s[8:9], v[2:3]
	s_and_saveexec_b64 s[0:1], vcc
	s_cbranch_execz .LBB22_6
.LBB22_9:
	s_load_dwordx2 s[0:1], s[4:5], 0x10
	v_mul_lo_u32 v1, v2, s2
	s_ashr_i32 s2, s3, 31
	v_mul_lo_u32 v4, v3, s3
	v_mul_lo_u32 v5, v2, s2
	v_mad_u64_u32 v[2:3], s[2:3], v2, s3, 0
	v_add3_u32 v3, v3, v5, v4
	v_sub_u32_e32 v1, v18, v1
	v_lshlrev_b64 v[2:3], 1, v[2:3]
	v_lshlrev_b32_e32 v4, 6, v1
	v_mov_b32_e32 v5, 0
	s_waitcnt lgkmcnt(0)
	v_mov_b32_e32 v1, s1
	v_add_co_u32_e32 v6, vcc, s0, v2
	v_addc_co_u32_e32 v1, vcc, v1, v3, vcc
	v_lshlrev_b64 v[2:3], 1, v[4:5]
	v_add_co_u32_e32 v2, vcc, v6, v2
	v_and_b32_e32 v22, 1, v0
	v_addc_co_u32_e32 v1, vcc, v1, v3, vcc
	v_lshlrev_b32_e32 v3, 6, v22
	v_add_co_u32_e32 v20, vcc, v2, v3
	v_addc_co_u32_e32 v21, vcc, 0, v1, vcc
	global_load_dwordx4 v[14:17], v[20:21], off
	global_load_dwordx4 v[10:13], v[20:21], off offset:16
	global_load_dwordx4 v[6:9], v[20:21], off offset:32
	;; [unrolled: 1-line block ×3, first 2 shown]
	s_mov_b32 s2, 0x2edbe6ff
	s_load_dwordx2 s[0:1], s[4:5], 0x0
	s_waitcnt vmcnt(3)
	v_cvt_f32_f16_e64 v1, |v14|
	v_cvt_f32_f16_sdwa v20, |v14| dst_sel:DWORD dst_unused:UNUSED_PAD src0_sel:WORD_1
	v_cvt_f32_f16_e64 v21, |v15|
	v_cvt_f32_f16_sdwa v23, |v15| dst_sel:DWORD dst_unused:UNUSED_PAD src0_sel:WORD_1
	;; [unrolled: 2-line block ×4, first 2 shown]
	s_waitcnt vmcnt(2)
	v_cvt_f32_f16_e64 v28, |v10|
	v_cvt_f32_f16_sdwa v29, |v10| dst_sel:DWORD dst_unused:UNUSED_PAD src0_sel:WORD_1
	v_max3_f32 v1, v1, s2, v20
	v_cvt_f32_f16_e64 v30, |v11|
	v_cvt_f32_f16_sdwa v31, |v11| dst_sel:DWORD dst_unused:UNUSED_PAD src0_sel:WORD_1
	v_max3_f32 v1, v1, v21, v23
	v_cvt_f32_f16_e64 v32, |v12|
	v_cvt_f32_f16_sdwa v33, |v12| dst_sel:DWORD dst_unused:UNUSED_PAD src0_sel:WORD_1
	v_max3_f32 v1, v1, v24, v25
	v_cvt_f32_f16_e64 v34, |v13|
	v_cvt_f32_f16_sdwa v35, |v13| dst_sel:DWORD dst_unused:UNUSED_PAD src0_sel:WORD_1
	v_max3_f32 v1, v1, v26, v27
	s_waitcnt vmcnt(1)
	v_cvt_f32_f16_e64 v36, |v6|
	v_cvt_f32_f16_sdwa v37, |v6| dst_sel:DWORD dst_unused:UNUSED_PAD src0_sel:WORD_1
	v_max3_f32 v1, v1, v28, v29
	v_cvt_f32_f16_e64 v38, |v7|
	v_cvt_f32_f16_sdwa v39, |v7| dst_sel:DWORD dst_unused:UNUSED_PAD src0_sel:WORD_1
	v_max3_f32 v1, v1, v30, v31
	v_cvt_f32_f16_e64 v40, |v8|
	v_cvt_f32_f16_sdwa v41, |v8| dst_sel:DWORD dst_unused:UNUSED_PAD src0_sel:WORD_1
	v_max3_f32 v1, v1, v32, v33
	v_cvt_f32_f16_e64 v42, |v9|
	v_cvt_f32_f16_sdwa v43, |v9| dst_sel:DWORD dst_unused:UNUSED_PAD src0_sel:WORD_1
	v_max3_f32 v1, v1, v34, v35
	;; [unrolled: 13-line block ×3, first 2 shown]
	v_max3_f32 v1, v1, v44, v45
	v_max3_f32 v1, v1, v46, v47
	;; [unrolled: 1-line block ×4, first 2 shown]
	s_nop 1
	v_mov_b32_dpp v20, v1 quad_perm:[1,0,3,2] row_mask:0xf bank_mask:0xf
	v_cmp_gt_f32_e32 vcc, v1, v20
	v_cndmask_b32_e32 v1, v20, v1, vcc
	v_mul_f32_e32 v1, 0x3b124925, v1
	v_cmp_eq_u32_e32 vcc, 0, v22
	s_and_saveexec_b64 s[2:3], vcc
	s_cbranch_execz .LBB22_11
; %bb.10:
	s_load_dwordx2 s[6:7], s[4:5], 0x8
	v_lshlrev_b64 v[20:21], 2, v[18:19]
	s_waitcnt lgkmcnt(0)
	v_mov_b32_e32 v19, s7
	v_add_co_u32_e32 v20, vcc, s6, v20
	v_addc_co_u32_e32 v21, vcc, v19, v21, vcc
	global_store_dword v[20:21], v1, off
.LBB22_11:
	s_or_b64 exec, exec, s[2:3]
	v_div_scale_f32 v19, s[2:3], v1, v1, 1.0
	v_rcp_f32_e32 v20, v19
	v_lshlrev_b32_e32 v21, 6, v18
	v_lshlrev_b32_e32 v0, 5, v0
	v_and_or_b32 v30, v0, 32, v21
	v_fma_f32 v18, -v19, v20, 1.0
	v_fmac_f32_e32 v20, v18, v20
	v_div_scale_f32 v18, vcc, 1.0, v1, 1.0
	v_mul_f32_e32 v22, v18, v20
	v_fma_f32 v23, -v19, v22, v18
	v_fmac_f32_e32 v22, v23, v20
	v_fma_f32 v18, -v19, v22, v18
	v_div_fmas_f32 v18, v18, v20, v22
	v_div_fixup_f32 v18, v18, v1, 1.0
	v_cvt_f32_f16_e32 v0, v14
	v_cvt_f32_f16_sdwa v1, v14 dst_sel:DWORD dst_unused:UNUSED_PAD src0_sel:WORD_1
	v_mov_b32_e32 v19, v18
	;;#ASMSTART
	v_pk_mul_f32 v[0:1], v[0:1], v[18:19]
	;;#ASMEND
	v_cvt_f32_f16_e32 v22, v10
	v_cvt_f32_f16_sdwa v23, v10 dst_sel:DWORD dst_unused:UNUSED_PAD src0_sel:WORD_1
	v_mov_b32_e32 v31, 0xc3e00000
	v_mov_b32_e32 v32, 0x43e00000
	;;#ASMSTART
	v_med3_f32 v0, v0, v31, v32
v_med3_f32 v1, v1, v31, v32
v_cvt_pk_fp8_f32 v10, v0, v1
	;;#ASMEND
	v_cvt_f32_f16_e32 v14, v15
	v_cvt_f32_f16_sdwa v15, v15 dst_sel:DWORD dst_unused:UNUSED_PAD src0_sel:WORD_1
	;;#ASMSTART
	v_pk_mul_f32 v[0:1], v[14:15], v[18:19]
	;;#ASMEND
	s_load_dword s2, s[4:5], 0x30
	v_cvt_f32_f16_e32 v24, v11
	v_cvt_f32_f16_sdwa v25, v11 dst_sel:DWORD dst_unused:UNUSED_PAD src0_sel:WORD_1
	;;#ASMSTART
	v_med3_f32 v0, v0, v31, v32
v_med3_f32 v1, v1, v31, v32
v_cvt_pk_fp8_f32 v11, v0, v1
	;;#ASMEND
	s_mov_b32 s4, 0x5040100
	v_perm_b32 v0, v11, v10, s4
	s_mov_b32 s5, 0x1060504
	v_cvt_f32_f16_e32 v20, v16
	v_cvt_f32_f16_sdwa v21, v16 dst_sel:DWORD dst_unused:UNUSED_PAD src0_sel:WORD_1
	v_perm_b32 v10, v0, v11, s5
	;;#ASMSTART
	v_pk_mul_f32 v[0:1], v[20:21], v[18:19]
	;;#ASMEND
	;;#ASMSTART
	v_med3_f32 v0, v0, v31, v32
v_med3_f32 v1, v1, v31, v32
v_cvt_pk_fp8_f32 v11, v0, v1
	;;#ASMEND
	v_cvt_f32_f16_e32 v16, v17
	v_cvt_f32_f16_sdwa v17, v17 dst_sel:DWORD dst_unused:UNUSED_PAD src0_sel:WORD_1
	;;#ASMSTART
	v_pk_mul_f32 v[0:1], v[16:17], v[18:19]
	;;#ASMEND
	v_cvt_f32_f16_e32 v26, v12
	v_cvt_f32_f16_sdwa v27, v12 dst_sel:DWORD dst_unused:UNUSED_PAD src0_sel:WORD_1
	;;#ASMSTART
	v_med3_f32 v0, v0, v31, v32
v_med3_f32 v1, v1, v31, v32
v_cvt_pk_fp8_f32 v12, v0, v1
	;;#ASMEND
	s_mov_b32 s6, 0x1000504
	;;#ASMSTART
	v_pk_mul_f32 v[0:1], v[22:23], v[18:19]
	;;#ASMEND
	v_perm_b32 v11, v11, v12, s6
	;;#ASMSTART
	v_med3_f32 v0, v0, v31, v32
v_med3_f32 v1, v1, v31, v32
v_cvt_pk_fp8_f32 v12, v0, v1
	;;#ASMEND
	;;#ASMSTART
	v_pk_mul_f32 v[0:1], v[24:25], v[18:19]
	;;#ASMEND
	v_cvt_f32_f16_e32 v28, v13
	v_cvt_f32_f16_sdwa v29, v13 dst_sel:DWORD dst_unused:UNUSED_PAD src0_sel:WORD_1
	;;#ASMSTART
	v_med3_f32 v0, v0, v31, v32
v_med3_f32 v1, v1, v31, v32
v_cvt_pk_fp8_f32 v13, v0, v1
	;;#ASMEND
	;;#ASMSTART
	v_pk_mul_f32 v[0:1], v[26:27], v[18:19]
	;;#ASMEND
	v_perm_b32 v12, v12, v13, s6
	;;#ASMSTART
	v_med3_f32 v0, v0, v31, v32
v_med3_f32 v1, v1, v31, v32
v_cvt_pk_fp8_f32 v13, v0, v1
	;;#ASMEND
	;;#ASMSTART
	v_pk_mul_f32 v[0:1], v[28:29], v[18:19]
	;;#ASMEND
	;;#ASMSTART
	v_med3_f32 v0, v0, v31, v32
v_med3_f32 v1, v1, v31, v32
v_cvt_pk_fp8_f32 v14, v0, v1
	;;#ASMEND
	s_waitcnt lgkmcnt(0)
	s_and_b32 s1, s1, 0xffff
	s_mov_b32 s3, 0x20000
	v_perm_b32 v13, v13, v14, s6
	v_cvt_f32_f16_e32 v0, v6
	v_cvt_f32_f16_sdwa v1, v6 dst_sel:DWORD dst_unused:UNUSED_PAD src0_sel:WORD_1
	buffer_store_dwordx4 v[10:13], v30, s[0:3], 0 offen
	;;#ASMSTART
	s_nop 0
	;;#ASMEND
	;;#ASMSTART
	v_pk_mul_f32 v[0:1], v[0:1], v[18:19]
	;;#ASMEND
	;;#ASMSTART
	v_med3_f32 v0, v0, v31, v32
v_med3_f32 v1, v1, v31, v32
v_cvt_pk_fp8_f32 v16, v0, v1
	;;#ASMEND
	v_cvt_f32_f16_e32 v6, v7
	v_cvt_f32_f16_sdwa v7, v7 dst_sel:DWORD dst_unused:UNUSED_PAD src0_sel:WORD_1
	;;#ASMSTART
	v_pk_mul_f32 v[0:1], v[6:7], v[18:19]
	;;#ASMEND
	;;#ASMSTART
	v_med3_f32 v0, v0, v31, v32
v_med3_f32 v1, v1, v31, v32
v_cvt_pk_fp8_f32 v6, v0, v1
	;;#ASMEND
	v_perm_b32 v0, v6, v16, s4
	v_cvt_f32_f16_e32 v10, v8
	v_cvt_f32_f16_sdwa v11, v8 dst_sel:DWORD dst_unused:UNUSED_PAD src0_sel:WORD_1
	v_perm_b32 v0, v0, v6, s5
	;;#ASMSTART
	v_pk_mul_f32 v[6:7], v[10:11], v[18:19]
	;;#ASMEND
	v_mov_b32_e32 v1, v6
	;;#ASMSTART
	v_med3_f32 v1, v1, v31, v32
v_med3_f32 v7, v7, v31, v32
v_cvt_pk_fp8_f32 v10, v1, v7
	;;#ASMEND
	v_cvt_f32_f16_e32 v8, v9
	v_cvt_f32_f16_sdwa v9, v9 dst_sel:DWORD dst_unused:UNUSED_PAD src0_sel:WORD_1
	;;#ASMSTART
	v_pk_mul_f32 v[6:7], v[8:9], v[18:19]
	;;#ASMEND
	v_mov_b32_e32 v1, v7
	;;#ASMSTART
	v_med3_f32 v6, v6, v31, v32
v_med3_f32 v1, v1, v31, v32
v_cvt_pk_fp8_f32 v7, v6, v1
	;;#ASMEND
	v_cvt_f32_f16_e32 v12, v2
	v_cvt_f32_f16_sdwa v13, v2 dst_sel:DWORD dst_unused:UNUSED_PAD src0_sel:WORD_1
	v_cvt_f32_f16_e32 v2, v3
	v_cvt_f32_f16_sdwa v3, v3 dst_sel:DWORD dst_unused:UNUSED_PAD src0_sel:WORD_1
	v_perm_b32 v1, v10, v7, s6
	;;#ASMSTART
	v_pk_mul_f32 v[6:7], v[12:13], v[18:19]
	;;#ASMEND
	;;#ASMSTART
	v_med3_f32 v6, v6, v31, v32
v_med3_f32 v7, v7, v31, v32
v_cvt_pk_fp8_f32 v8, v6, v7
	;;#ASMEND
	;;#ASMSTART
	v_pk_mul_f32 v[2:3], v[2:3], v[18:19]
	;;#ASMEND
	;;#ASMSTART
	v_med3_f32 v2, v2, v31, v32
v_med3_f32 v3, v3, v31, v32
v_cvt_pk_fp8_f32 v6, v2, v3
	;;#ASMEND
	v_cvt_f32_f16_e32 v14, v4
	v_cvt_f32_f16_sdwa v15, v4 dst_sel:DWORD dst_unused:UNUSED_PAD src0_sel:WORD_1
	v_perm_b32 v2, v8, v6, s6
	;;#ASMSTART
	v_pk_mul_f32 v[6:7], v[14:15], v[18:19]
	;;#ASMEND
	v_mov_b32_e32 v3, v6
	v_cvt_f32_f16_e32 v4, v5
	v_cvt_f32_f16_sdwa v5, v5 dst_sel:DWORD dst_unused:UNUSED_PAD src0_sel:WORD_1
	;;#ASMSTART
	v_med3_f32 v3, v3, v31, v32
v_med3_f32 v7, v7, v31, v32
v_cvt_pk_fp8_f32 v6, v3, v7
	;;#ASMEND
	;;#ASMSTART
	v_pk_mul_f32 v[4:5], v[4:5], v[18:19]
	;;#ASMEND
	v_mov_b32_e32 v3, v5
	;;#ASMSTART
	v_med3_f32 v4, v4, v31, v32
v_med3_f32 v3, v3, v31, v32
v_cvt_pk_fp8_f32 v5, v4, v3
	;;#ASMEND
	v_perm_b32 v3, v6, v5, s6
	buffer_store_dwordx4 v[0:3], v30, s[0:3], 16 offen
	;;#ASMSTART
	s_nop 0
	;;#ASMEND
	s_endpgm
	.section	.rodata,"a",@progbits
	.p2align	6, 0x0
	.amdhsa_kernel _ZN5aiter37dynamic_per_group_scaled_quant_kernelIDF16_DB8_Li32ELi64ELb0ELi64ELb0EEEvPT0_PfPKT_PKfliilPKii
		.amdhsa_group_segment_fixed_size 0
		.amdhsa_private_segment_fixed_size 0
		.amdhsa_kernarg_size 68
		.amdhsa_user_sgpr_count 6
		.amdhsa_user_sgpr_private_segment_buffer 1
		.amdhsa_user_sgpr_dispatch_ptr 0
		.amdhsa_user_sgpr_queue_ptr 0
		.amdhsa_user_sgpr_kernarg_segment_ptr 1
		.amdhsa_user_sgpr_dispatch_id 0
		.amdhsa_user_sgpr_flat_scratch_init 0
		.amdhsa_user_sgpr_kernarg_preload_length 0
		.amdhsa_user_sgpr_kernarg_preload_offset 0
		.amdhsa_user_sgpr_private_segment_size 0
		.amdhsa_uses_dynamic_stack 0
		.amdhsa_system_sgpr_private_segment_wavefront_offset 0
		.amdhsa_system_sgpr_workgroup_id_x 1
		.amdhsa_system_sgpr_workgroup_id_y 0
		.amdhsa_system_sgpr_workgroup_id_z 0
		.amdhsa_system_sgpr_workgroup_info 0
		.amdhsa_system_vgpr_workitem_id 0
		.amdhsa_next_free_vgpr 52
		.amdhsa_next_free_sgpr 14
		.amdhsa_accum_offset 52
		.amdhsa_reserve_vcc 1
		.amdhsa_reserve_flat_scratch 0
		.amdhsa_float_round_mode_32 0
		.amdhsa_float_round_mode_16_64 0
		.amdhsa_float_denorm_mode_32 3
		.amdhsa_float_denorm_mode_16_64 3
		.amdhsa_dx10_clamp 1
		.amdhsa_ieee_mode 1
		.amdhsa_fp16_overflow 0
		.amdhsa_tg_split 0
		.amdhsa_exception_fp_ieee_invalid_op 0
		.amdhsa_exception_fp_denorm_src 0
		.amdhsa_exception_fp_ieee_div_zero 0
		.amdhsa_exception_fp_ieee_overflow 0
		.amdhsa_exception_fp_ieee_underflow 0
		.amdhsa_exception_fp_ieee_inexact 0
		.amdhsa_exception_int_div_zero 0
	.end_amdhsa_kernel
	.section	.text._ZN5aiter37dynamic_per_group_scaled_quant_kernelIDF16_DB8_Li32ELi64ELb0ELi64ELb0EEEvPT0_PfPKT_PKfliilPKii,"axG",@progbits,_ZN5aiter37dynamic_per_group_scaled_quant_kernelIDF16_DB8_Li32ELi64ELb0ELi64ELb0EEEvPT0_PfPKT_PKfliilPKii,comdat
.Lfunc_end22:
	.size	_ZN5aiter37dynamic_per_group_scaled_quant_kernelIDF16_DB8_Li32ELi64ELb0ELi64ELb0EEEvPT0_PfPKT_PKfliilPKii, .Lfunc_end22-_ZN5aiter37dynamic_per_group_scaled_quant_kernelIDF16_DB8_Li32ELi64ELb0ELi64ELb0EEEvPT0_PfPKT_PKfliilPKii
                                        ; -- End function
	.section	.AMDGPU.csdata,"",@progbits
; Kernel info:
; codeLenInByte = 2604
; NumSgprs: 18
; NumVgprs: 52
; NumAgprs: 0
; TotalNumVgprs: 52
; ScratchSize: 0
; MemoryBound: 0
; FloatMode: 240
; IeeeMode: 1
; LDSByteSize: 0 bytes/workgroup (compile time only)
; SGPRBlocks: 2
; VGPRBlocks: 6
; NumSGPRsForWavesPerEU: 18
; NumVGPRsForWavesPerEU: 52
; AccumOffset: 52
; Occupancy: 8
; WaveLimiterHint : 0
; COMPUTE_PGM_RSRC2:SCRATCH_EN: 0
; COMPUTE_PGM_RSRC2:USER_SGPR: 6
; COMPUTE_PGM_RSRC2:TRAP_HANDLER: 0
; COMPUTE_PGM_RSRC2:TGID_X_EN: 1
; COMPUTE_PGM_RSRC2:TGID_Y_EN: 0
; COMPUTE_PGM_RSRC2:TGID_Z_EN: 0
; COMPUTE_PGM_RSRC2:TIDIG_COMP_CNT: 0
; COMPUTE_PGM_RSRC3_GFX90A:ACCUM_OFFSET: 12
; COMPUTE_PGM_RSRC3_GFX90A:TG_SPLIT: 0
	.section	.text._ZN5aiter37dynamic_per_group_scaled_quant_kernelItDB8_Li32ELi64ELb0ELi64ELb0EEEvPT0_PfPKT_PKfliilPKii,"axG",@progbits,_ZN5aiter37dynamic_per_group_scaled_quant_kernelItDB8_Li32ELi64ELb0ELi64ELb0EEEvPT0_PfPKT_PKfliilPKii,comdat
	.protected	_ZN5aiter37dynamic_per_group_scaled_quant_kernelItDB8_Li32ELi64ELb0ELi64ELb0EEEvPT0_PfPKT_PKfliilPKii ; -- Begin function _ZN5aiter37dynamic_per_group_scaled_quant_kernelItDB8_Li32ELi64ELb0ELi64ELb0EEEvPT0_PfPKT_PKfliilPKii
	.globl	_ZN5aiter37dynamic_per_group_scaled_quant_kernelItDB8_Li32ELi64ELb0ELi64ELb0EEEvPT0_PfPKT_PKfliilPKii
	.p2align	8
	.type	_ZN5aiter37dynamic_per_group_scaled_quant_kernelItDB8_Li32ELi64ELb0ELi64ELb0EEEvPT0_PfPKT_PKfliilPKii,@function
_ZN5aiter37dynamic_per_group_scaled_quant_kernelItDB8_Li32ELi64ELb0ELi64ELb0EEEvPT0_PfPKT_PKfliilPKii: ; @_ZN5aiter37dynamic_per_group_scaled_quant_kernelItDB8_Li32ELi64ELb0ELi64ELb0EEEvPT0_PfPKT_PKfliilPKii
; %bb.0:
	s_load_dwordx2 s[0:1], s[4:5], 0x38
	s_waitcnt lgkmcnt(0)
	s_cmp_eq_u64 s[0:1], 0
	s_cbranch_scc1 .LBB23_2
; %bb.1:
	s_load_dword s2, s[4:5], 0x40
	s_load_dword s3, s[0:1], 0x0
	s_waitcnt lgkmcnt(0)
	s_mul_hi_i32 s9, s3, s2
	s_mul_i32 s8, s3, s2
	s_branch .LBB23_3
.LBB23_2:
	s_load_dwordx2 s[8:9], s[4:5], 0x20
.LBB23_3:
	s_load_dwordx2 s[2:3], s[4:5], 0x28
	s_mov_b32 s7, 0
	s_lshl_b64 s[0:1], s[6:7], 6
	v_or_b32_e32 v6, s0, v0
	v_mov_b32_e32 v7, s1
	s_waitcnt lgkmcnt(0)
	s_ashr_i32 s0, s2, 31
	s_lshr_b32 s0, s0, 26
	s_add_i32 s0, s2, s0
	s_ashr_i32 s2, s0, 6
	v_lshrrev_b64 v[2:3], 1, v[6:7]
	s_ashr_i32 s0, s2, 31
	v_or_b32_e32 v5, s0, v3
	v_mov_b32_e32 v4, 0
	v_cmp_ne_u64_e32 vcc, 0, v[4:5]
                                        ; implicit-def: $vgpr4_vgpr5
	s_and_saveexec_b64 s[6:7], vcc
	s_xor_b64 s[6:7], exec, s[6:7]
	s_cbranch_execnz .LBB23_7
; %bb.4:
	s_andn2_saveexec_b64 s[0:1], s[6:7]
	s_cbranch_execnz .LBB23_8
.LBB23_5:
	s_or_b64 exec, exec, s[0:1]
	v_cmp_gt_i64_e32 vcc, s[8:9], v[4:5]
	s_and_saveexec_b64 s[0:1], vcc
	s_cbranch_execnz .LBB23_9
.LBB23_6:
	s_endpgm
.LBB23_7:
	s_add_u32 s12, s2, s0
	s_mov_b32 s10, s0
	s_mov_b32 s11, s0
	s_addc_u32 s13, s0, s0
	s_xor_b64 s[12:13], s[12:13], s[10:11]
	v_cvt_f32_u32_e32 v1, s12
	v_cvt_f32_u32_e32 v4, s13
	s_sub_u32 s0, 0, s12
	s_subb_u32 s1, 0, s13
	v_madmk_f32 v1, v4, 0x4f800000, v1
	v_rcp_f32_e32 v1, v1
	v_mul_f32_e32 v1, 0x5f7ffffc, v1
	v_mul_f32_e32 v4, 0x2f800000, v1
	v_trunc_f32_e32 v4, v4
	v_madmk_f32 v1, v4, 0xcf800000, v1
	v_cvt_u32_f32_e32 v4, v4
	v_cvt_u32_f32_e32 v1, v1
	v_mul_lo_u32 v5, s0, v4
	v_mul_hi_u32 v7, s0, v1
	v_mul_lo_u32 v6, s1, v1
	v_add_u32_e32 v5, v7, v5
	v_mul_lo_u32 v8, s0, v1
	v_add_u32_e32 v5, v5, v6
	v_mul_lo_u32 v7, v1, v5
	v_mul_hi_u32 v9, v1, v8
	v_mul_hi_u32 v6, v1, v5
	v_add_co_u32_e32 v7, vcc, v9, v7
	v_addc_co_u32_e32 v6, vcc, 0, v6, vcc
	v_mul_hi_u32 v10, v4, v8
	v_mul_lo_u32 v8, v4, v8
	v_add_co_u32_e32 v7, vcc, v7, v8
	v_mul_hi_u32 v9, v4, v5
	v_addc_co_u32_e32 v6, vcc, v6, v10, vcc
	v_addc_co_u32_e32 v7, vcc, 0, v9, vcc
	v_mul_lo_u32 v5, v4, v5
	v_add_co_u32_e32 v5, vcc, v6, v5
	v_addc_co_u32_e32 v6, vcc, 0, v7, vcc
	v_add_co_u32_e32 v1, vcc, v1, v5
	v_addc_co_u32_e32 v4, vcc, v4, v6, vcc
	v_mul_lo_u32 v5, s0, v4
	v_mul_hi_u32 v6, s0, v1
	v_add_u32_e32 v5, v6, v5
	v_mul_lo_u32 v6, s1, v1
	v_add_u32_e32 v5, v5, v6
	v_mul_lo_u32 v7, s0, v1
	v_mul_hi_u32 v8, v4, v7
	v_mul_lo_u32 v9, v4, v7
	v_mul_lo_u32 v11, v1, v5
	v_mul_hi_u32 v7, v1, v7
	v_mul_hi_u32 v10, v1, v5
	v_add_co_u32_e32 v7, vcc, v7, v11
	v_addc_co_u32_e32 v10, vcc, 0, v10, vcc
	v_add_co_u32_e32 v7, vcc, v7, v9
	v_mul_hi_u32 v6, v4, v5
	v_addc_co_u32_e32 v7, vcc, v10, v8, vcc
	v_addc_co_u32_e32 v6, vcc, 0, v6, vcc
	v_mul_lo_u32 v5, v4, v5
	v_add_co_u32_e32 v5, vcc, v7, v5
	v_addc_co_u32_e32 v6, vcc, 0, v6, vcc
	v_add_co_u32_e32 v1, vcc, v1, v5
	v_addc_co_u32_e32 v6, vcc, v4, v6, vcc
	v_mad_u64_u32 v[4:5], s[0:1], v2, v6, 0
	v_mul_hi_u32 v7, v2, v1
	v_add_co_u32_e32 v8, vcc, v7, v4
	v_addc_co_u32_e32 v9, vcc, 0, v5, vcc
	v_mad_u64_u32 v[4:5], s[0:1], v3, v6, 0
	v_mad_u64_u32 v[6:7], s[0:1], v3, v1, 0
	v_add_co_u32_e32 v1, vcc, v8, v6
	v_addc_co_u32_e32 v1, vcc, v9, v7, vcc
	v_addc_co_u32_e32 v5, vcc, 0, v5, vcc
	v_add_co_u32_e32 v1, vcc, v1, v4
	v_addc_co_u32_e32 v6, vcc, 0, v5, vcc
	v_mul_lo_u32 v7, s13, v1
	v_mul_lo_u32 v8, s12, v6
	v_mad_u64_u32 v[4:5], s[0:1], s12, v1, 0
	v_add3_u32 v5, v5, v8, v7
	v_sub_u32_e32 v7, v3, v5
	v_mov_b32_e32 v8, s13
	v_sub_co_u32_e32 v4, vcc, v2, v4
	v_subb_co_u32_e64 v7, s[0:1], v7, v8, vcc
	v_subrev_co_u32_e64 v8, s[0:1], s12, v4
	v_subbrev_co_u32_e64 v7, s[0:1], 0, v7, s[0:1]
	v_cmp_le_u32_e64 s[0:1], s13, v7
	v_cndmask_b32_e64 v9, 0, -1, s[0:1]
	v_cmp_le_u32_e64 s[0:1], s12, v8
	v_cndmask_b32_e64 v8, 0, -1, s[0:1]
	v_cmp_eq_u32_e64 s[0:1], s13, v7
	v_cndmask_b32_e64 v7, v9, v8, s[0:1]
	v_add_co_u32_e64 v8, s[0:1], 2, v1
	v_addc_co_u32_e64 v9, s[0:1], 0, v6, s[0:1]
	v_add_co_u32_e64 v10, s[0:1], 1, v1
	v_addc_co_u32_e64 v11, s[0:1], 0, v6, s[0:1]
	v_subb_co_u32_e32 v5, vcc, v3, v5, vcc
	v_cmp_ne_u32_e64 s[0:1], 0, v7
	v_cmp_le_u32_e32 vcc, s13, v5
	v_cndmask_b32_e64 v7, v11, v9, s[0:1]
	v_cndmask_b32_e64 v9, 0, -1, vcc
	v_cmp_le_u32_e32 vcc, s12, v4
	v_cndmask_b32_e64 v4, 0, -1, vcc
	v_cmp_eq_u32_e32 vcc, s13, v5
	v_cndmask_b32_e32 v4, v9, v4, vcc
	v_cmp_ne_u32_e32 vcc, 0, v4
	v_cndmask_b32_e64 v5, v10, v8, s[0:1]
	v_cndmask_b32_e32 v1, v1, v5, vcc
	v_cndmask_b32_e32 v4, v6, v7, vcc
	v_xor_b32_e32 v1, s10, v1
	v_xor_b32_e32 v5, s11, v4
	v_mov_b32_e32 v6, s11
	v_subrev_co_u32_e32 v4, vcc, s10, v1
	v_subb_co_u32_e32 v5, vcc, v5, v6, vcc
                                        ; implicit-def: $vgpr6_vgpr7
	s_andn2_saveexec_b64 s[0:1], s[6:7]
	s_cbranch_execz .LBB23_5
.LBB23_8:
	v_cvt_f32_u32_e32 v1, s2
	s_sub_i32 s6, 0, s2
	v_alignbit_b32 v4, v7, v6, 1
	v_rcp_iflag_f32_e32 v1, v1
	v_mul_f32_e32 v1, 0x4f7ffffe, v1
	v_cvt_u32_f32_e32 v1, v1
	v_mul_lo_u32 v5, s6, v1
	v_mul_hi_u32 v5, v1, v5
	v_add_u32_e32 v1, v1, v5
	v_mul_hi_u32 v1, v4, v1
	v_mul_lo_u32 v5, v1, s2
	v_sub_u32_e32 v4, v4, v5
	v_add_u32_e32 v6, 1, v1
	v_subrev_u32_e32 v5, s2, v4
	v_cmp_le_u32_e32 vcc, s2, v4
	v_cndmask_b32_e32 v4, v4, v5, vcc
	v_cndmask_b32_e32 v1, v1, v6, vcc
	v_add_u32_e32 v5, 1, v1
	v_cmp_le_u32_e32 vcc, s2, v4
	v_cndmask_b32_e32 v4, v1, v5, vcc
	v_mov_b32_e32 v5, 0
	s_or_b64 exec, exec, s[0:1]
	v_cmp_gt_i64_e32 vcc, s[8:9], v[4:5]
	s_and_saveexec_b64 s[0:1], vcc
	s_cbranch_execz .LBB23_6
.LBB23_9:
	s_load_dwordx2 s[0:1], s[4:5], 0x10
	v_mul_lo_u32 v1, v4, s2
	s_ashr_i32 s2, s3, 31
	v_mul_lo_u32 v6, v5, s3
	v_mul_lo_u32 v7, v4, s2
	v_mad_u64_u32 v[4:5], s[2:3], v4, s3, 0
	v_add3_u32 v5, v5, v7, v6
	v_sub_u32_e32 v1, v2, v1
	v_lshlrev_b64 v[4:5], 1, v[4:5]
	v_lshlrev_b32_e32 v6, 6, v1
	v_mov_b32_e32 v7, 0
	s_waitcnt lgkmcnt(0)
	v_mov_b32_e32 v1, s1
	v_add_co_u32_e32 v8, vcc, s0, v4
	v_addc_co_u32_e32 v1, vcc, v1, v5, vcc
	v_lshlrev_b64 v[4:5], 1, v[6:7]
	v_add_co_u32_e32 v4, vcc, v8, v4
	v_and_b32_e32 v44, 1, v0
	v_addc_co_u32_e32 v1, vcc, v1, v5, vcc
	v_lshlrev_b32_e32 v5, 6, v44
	v_add_co_u32_e32 v12, vcc, v4, v5
	v_addc_co_u32_e32 v13, vcc, 0, v1, vcc
	global_load_dwordx4 v[4:7], v[12:13], off
	global_load_dwordx4 v[8:11], v[12:13], off offset:16
	global_load_dwordx4 v[36:39], v[12:13], off offset:32
	global_load_dwordx4 v[40:43], v[12:13], off offset:48
	s_mov_b32 s2, 0x2edbe6ff
	s_load_dwordx2 s[0:1], s[4:5], 0x0
	s_waitcnt vmcnt(3)
	v_cvt_f32_u32_sdwa v35, v4 dst_sel:DWORD dst_unused:UNUSED_PAD src0_sel:WORD_1
	v_cvt_f32_u32_sdwa v34, v4 dst_sel:DWORD dst_unused:UNUSED_PAD src0_sel:WORD_0
	v_cvt_f32_u32_sdwa v33, v5 dst_sel:DWORD dst_unused:UNUSED_PAD src0_sel:WORD_1
	v_cvt_f32_u32_sdwa v32, v5 dst_sel:DWORD dst_unused:UNUSED_PAD src0_sel:WORD_0
	;; [unrolled: 2-line block ×4, first 2 shown]
	s_waitcnt vmcnt(2)
	v_cvt_f32_u32_sdwa v27, v8 dst_sel:DWORD dst_unused:UNUSED_PAD src0_sel:WORD_1
	v_cvt_f32_u32_sdwa v26, v8 dst_sel:DWORD dst_unused:UNUSED_PAD src0_sel:WORD_0
	v_max3_f32 v1, v34, s2, v35
	v_cvt_f32_u32_sdwa v25, v9 dst_sel:DWORD dst_unused:UNUSED_PAD src0_sel:WORD_1
	v_cvt_f32_u32_sdwa v24, v9 dst_sel:DWORD dst_unused:UNUSED_PAD src0_sel:WORD_0
	v_max3_f32 v1, v1, v32, v33
	v_cvt_f32_u32_sdwa v23, v10 dst_sel:DWORD dst_unused:UNUSED_PAD src0_sel:WORD_1
	v_cvt_f32_u32_sdwa v22, v10 dst_sel:DWORD dst_unused:UNUSED_PAD src0_sel:WORD_0
	v_max3_f32 v1, v1, v30, v31
	v_cvt_f32_u32_sdwa v21, v11 dst_sel:DWORD dst_unused:UNUSED_PAD src0_sel:WORD_1
	v_cvt_f32_u32_sdwa v20, v11 dst_sel:DWORD dst_unused:UNUSED_PAD src0_sel:WORD_0
	v_max3_f32 v1, v1, v28, v29
	s_waitcnt vmcnt(1)
	v_cvt_f32_u32_sdwa v19, v36 dst_sel:DWORD dst_unused:UNUSED_PAD src0_sel:WORD_1
	v_cvt_f32_u32_sdwa v18, v36 dst_sel:DWORD dst_unused:UNUSED_PAD src0_sel:WORD_0
	v_max3_f32 v1, v1, v26, v27
	v_cvt_f32_u32_sdwa v17, v37 dst_sel:DWORD dst_unused:UNUSED_PAD src0_sel:WORD_1
	v_cvt_f32_u32_sdwa v16, v37 dst_sel:DWORD dst_unused:UNUSED_PAD src0_sel:WORD_0
	v_max3_f32 v1, v1, v24, v25
	v_cvt_f32_u32_sdwa v15, v38 dst_sel:DWORD dst_unused:UNUSED_PAD src0_sel:WORD_1
	v_cvt_f32_u32_sdwa v14, v38 dst_sel:DWORD dst_unused:UNUSED_PAD src0_sel:WORD_0
	v_max3_f32 v1, v1, v22, v23
	v_cvt_f32_u32_sdwa v13, v39 dst_sel:DWORD dst_unused:UNUSED_PAD src0_sel:WORD_1
	v_cvt_f32_u32_sdwa v12, v39 dst_sel:DWORD dst_unused:UNUSED_PAD src0_sel:WORD_0
	v_max3_f32 v1, v1, v20, v21
	;; [unrolled: 13-line block ×3, first 2 shown]
	v_max3_f32 v1, v1, v10, v11
	v_max3_f32 v1, v1, v8, v9
	;; [unrolled: 1-line block ×4, first 2 shown]
	s_nop 1
	v_mov_b32_dpp v36, v1 quad_perm:[1,0,3,2] row_mask:0xf bank_mask:0xf
	v_cmp_gt_f32_e32 vcc, v1, v36
	v_cndmask_b32_e32 v1, v36, v1, vcc
	v_mul_f32_e32 v1, 0x3b124925, v1
	v_cmp_eq_u32_e32 vcc, 0, v44
	s_and_saveexec_b64 s[2:3], vcc
	s_cbranch_execz .LBB23_11
; %bb.10:
	s_load_dwordx2 s[6:7], s[4:5], 0x8
	v_lshlrev_b64 v[36:37], 2, v[2:3]
	s_waitcnt lgkmcnt(0)
	v_mov_b32_e32 v3, s7
	v_add_co_u32_e32 v36, vcc, s6, v36
	v_addc_co_u32_e32 v37, vcc, v3, v37, vcc
	global_store_dword v[36:37], v1, off
.LBB23_11:
	s_or_b64 exec, exec, s[2:3]
	v_div_scale_f32 v3, s[2:3], v1, v1, 1.0
	v_rcp_f32_e32 v36, v3
	v_lshlrev_b32_e32 v2, 6, v2
	v_lshlrev_b32_e32 v0, 5, v0
	s_load_dword s2, s[4:5], 0x30
	v_fma_f32 v37, -v3, v36, 1.0
	v_fmac_f32_e32 v36, v37, v36
	v_div_scale_f32 v37, vcc, 1.0, v1, 1.0
	v_mul_f32_e32 v38, v37, v36
	v_fma_f32 v39, -v3, v38, v37
	v_fmac_f32_e32 v38, v39, v36
	v_fma_f32 v3, -v3, v38, v37
	v_div_fmas_f32 v3, v3, v36, v38
	v_div_fixup_f32 v36, v3, v1, 1.0
	v_and_or_b32 v38, v0, 32, v2
	v_mov_b32_e32 v37, v36
	;;#ASMSTART
	v_pk_mul_f32 v[0:1], v[34:35], v[36:37]
	;;#ASMEND
	v_mov_b32_e32 v34, 0xc3e00000
	v_mov_b32_e32 v35, 0x43e00000
	;;#ASMSTART
	v_med3_f32 v0, v0, v34, v35
v_med3_f32 v1, v1, v34, v35
v_cvt_pk_fp8_f32 v2, v0, v1
	;;#ASMEND
	;;#ASMSTART
	v_pk_mul_f32 v[0:1], v[32:33], v[36:37]
	;;#ASMEND
	;;#ASMSTART
	v_med3_f32 v0, v0, v34, v35
v_med3_f32 v1, v1, v34, v35
v_cvt_pk_fp8_f32 v3, v0, v1
	;;#ASMEND
	s_mov_b32 s4, 0x5040100
	v_perm_b32 v0, v3, v2, s4
	s_mov_b32 s5, 0x1060504
	v_perm_b32 v0, v0, v3, s5
	;;#ASMSTART
	v_pk_mul_f32 v[2:3], v[30:31], v[36:37]
	;;#ASMEND
	v_mov_b32_e32 v1, v3
	;;#ASMSTART
	v_med3_f32 v2, v2, v34, v35
v_med3_f32 v1, v1, v34, v35
v_cvt_pk_fp8_f32 v30, v2, v1
	;;#ASMEND
	;;#ASMSTART
	v_pk_mul_f32 v[2:3], v[28:29], v[36:37]
	;;#ASMEND
	v_mov_b32_e32 v1, v3
	;;#ASMSTART
	v_med3_f32 v2, v2, v34, v35
v_med3_f32 v1, v1, v34, v35
v_cvt_pk_fp8_f32 v3, v2, v1
	;;#ASMEND
	s_mov_b32 s6, 0x1000504
	v_perm_b32 v1, v30, v3, s6
	;;#ASMSTART
	v_pk_mul_f32 v[2:3], v[26:27], v[36:37]
	;;#ASMEND
	;;#ASMSTART
	v_med3_f32 v2, v2, v34, v35
v_med3_f32 v3, v3, v34, v35
v_cvt_pk_fp8_f32 v26, v2, v3
	;;#ASMEND
	;;#ASMSTART
	v_pk_mul_f32 v[2:3], v[24:25], v[36:37]
	;;#ASMEND
	;;#ASMSTART
	v_med3_f32 v2, v2, v34, v35
v_med3_f32 v3, v3, v34, v35
v_cvt_pk_fp8_f32 v24, v2, v3
	;;#ASMEND
	;;#ASMSTART
	v_pk_mul_f32 v[22:23], v[22:23], v[36:37]
	;;#ASMEND
	v_mov_b32_e32 v3, v23
	;;#ASMSTART
	v_med3_f32 v22, v22, v34, v35
v_med3_f32 v3, v3, v34, v35
v_cvt_pk_fp8_f32 v23, v22, v3
	;;#ASMEND
	;;#ASMSTART
	v_pk_mul_f32 v[20:21], v[20:21], v[36:37]
	;;#ASMEND
	v_mov_b32_e32 v3, v21
	;;#ASMSTART
	v_med3_f32 v20, v20, v34, v35
v_med3_f32 v3, v3, v34, v35
v_cvt_pk_fp8_f32 v21, v20, v3
	;;#ASMEND
	s_waitcnt lgkmcnt(0)
	s_and_b32 s1, s1, 0xffff
	s_mov_b32 s3, 0x20000
	v_perm_b32 v2, v26, v24, s6
	v_perm_b32 v3, v23, v21, s6
	buffer_store_dwordx4 v[0:3], v38, s[0:3], 0 offen
	;;#ASMSTART
	s_nop 0
	;;#ASMEND
	s_nop 0
	;;#ASMSTART
	v_pk_mul_f32 v[0:1], v[18:19], v[36:37]
	;;#ASMEND
	;;#ASMSTART
	v_med3_f32 v0, v0, v34, v35
v_med3_f32 v1, v1, v34, v35
v_cvt_pk_fp8_f32 v2, v0, v1
	;;#ASMEND
	;;#ASMSTART
	v_pk_mul_f32 v[0:1], v[16:17], v[36:37]
	;;#ASMEND
	;;#ASMSTART
	v_med3_f32 v0, v0, v34, v35
v_med3_f32 v1, v1, v34, v35
v_cvt_pk_fp8_f32 v3, v0, v1
	;;#ASMEND
	v_perm_b32 v0, v3, v2, s4
	v_perm_b32 v0, v0, v3, s5
	;;#ASMSTART
	v_pk_mul_f32 v[2:3], v[14:15], v[36:37]
	;;#ASMEND
	v_mov_b32_e32 v1, v3
	;;#ASMSTART
	v_med3_f32 v2, v2, v34, v35
v_med3_f32 v1, v1, v34, v35
v_cvt_pk_fp8_f32 v14, v2, v1
	;;#ASMEND
	;;#ASMSTART
	v_pk_mul_f32 v[2:3], v[12:13], v[36:37]
	;;#ASMEND
	v_mov_b32_e32 v1, v3
	;;#ASMSTART
	v_med3_f32 v2, v2, v34, v35
v_med3_f32 v1, v1, v34, v35
v_cvt_pk_fp8_f32 v3, v2, v1
	;;#ASMEND
	v_perm_b32 v1, v14, v3, s6
	;;#ASMSTART
	v_pk_mul_f32 v[2:3], v[10:11], v[36:37]
	;;#ASMEND
	;;#ASMSTART
	v_med3_f32 v2, v2, v34, v35
v_med3_f32 v3, v3, v34, v35
v_cvt_pk_fp8_f32 v10, v2, v3
	;;#ASMEND
	;;#ASMSTART
	v_pk_mul_f32 v[2:3], v[8:9], v[36:37]
	;;#ASMEND
	;;#ASMSTART
	v_med3_f32 v2, v2, v34, v35
v_med3_f32 v3, v3, v34, v35
v_cvt_pk_fp8_f32 v8, v2, v3
	;;#ASMEND
	;;#ASMSTART
	v_pk_mul_f32 v[6:7], v[6:7], v[36:37]
	;;#ASMEND
	v_mov_b32_e32 v3, v7
	;;#ASMSTART
	v_med3_f32 v6, v6, v34, v35
v_med3_f32 v3, v3, v34, v35
v_cvt_pk_fp8_f32 v7, v6, v3
	;;#ASMEND
	;;#ASMSTART
	v_pk_mul_f32 v[4:5], v[4:5], v[36:37]
	;;#ASMEND
	v_mov_b32_e32 v3, v5
	;;#ASMSTART
	v_med3_f32 v4, v4, v34, v35
v_med3_f32 v3, v3, v34, v35
v_cvt_pk_fp8_f32 v5, v4, v3
	;;#ASMEND
	v_perm_b32 v2, v10, v8, s6
	v_perm_b32 v3, v7, v5, s6
	buffer_store_dwordx4 v[0:3], v38, s[0:3], 16 offen
	;;#ASMSTART
	s_nop 0
	;;#ASMEND
	s_endpgm
	.section	.rodata,"a",@progbits
	.p2align	6, 0x0
	.amdhsa_kernel _ZN5aiter37dynamic_per_group_scaled_quant_kernelItDB8_Li32ELi64ELb0ELi64ELb0EEEvPT0_PfPKT_PKfliilPKii
		.amdhsa_group_segment_fixed_size 0
		.amdhsa_private_segment_fixed_size 0
		.amdhsa_kernarg_size 68
		.amdhsa_user_sgpr_count 6
		.amdhsa_user_sgpr_private_segment_buffer 1
		.amdhsa_user_sgpr_dispatch_ptr 0
		.amdhsa_user_sgpr_queue_ptr 0
		.amdhsa_user_sgpr_kernarg_segment_ptr 1
		.amdhsa_user_sgpr_dispatch_id 0
		.amdhsa_user_sgpr_flat_scratch_init 0
		.amdhsa_user_sgpr_kernarg_preload_length 0
		.amdhsa_user_sgpr_kernarg_preload_offset 0
		.amdhsa_user_sgpr_private_segment_size 0
		.amdhsa_uses_dynamic_stack 0
		.amdhsa_system_sgpr_private_segment_wavefront_offset 0
		.amdhsa_system_sgpr_workgroup_id_x 1
		.amdhsa_system_sgpr_workgroup_id_y 0
		.amdhsa_system_sgpr_workgroup_id_z 0
		.amdhsa_system_sgpr_workgroup_info 0
		.amdhsa_system_vgpr_workitem_id 0
		.amdhsa_next_free_vgpr 45
		.amdhsa_next_free_sgpr 14
		.amdhsa_accum_offset 48
		.amdhsa_reserve_vcc 1
		.amdhsa_reserve_flat_scratch 0
		.amdhsa_float_round_mode_32 0
		.amdhsa_float_round_mode_16_64 0
		.amdhsa_float_denorm_mode_32 3
		.amdhsa_float_denorm_mode_16_64 3
		.amdhsa_dx10_clamp 1
		.amdhsa_ieee_mode 1
		.amdhsa_fp16_overflow 0
		.amdhsa_tg_split 0
		.amdhsa_exception_fp_ieee_invalid_op 0
		.amdhsa_exception_fp_denorm_src 0
		.amdhsa_exception_fp_ieee_div_zero 0
		.amdhsa_exception_fp_ieee_overflow 0
		.amdhsa_exception_fp_ieee_underflow 0
		.amdhsa_exception_fp_ieee_inexact 0
		.amdhsa_exception_int_div_zero 0
	.end_amdhsa_kernel
	.section	.text._ZN5aiter37dynamic_per_group_scaled_quant_kernelItDB8_Li32ELi64ELb0ELi64ELb0EEEvPT0_PfPKT_PKfliilPKii,"axG",@progbits,_ZN5aiter37dynamic_per_group_scaled_quant_kernelItDB8_Li32ELi64ELb0ELi64ELb0EEEvPT0_PfPKT_PKfliilPKii,comdat
.Lfunc_end23:
	.size	_ZN5aiter37dynamic_per_group_scaled_quant_kernelItDB8_Li32ELi64ELb0ELi64ELb0EEEvPT0_PfPKT_PKfliilPKii, .Lfunc_end23-_ZN5aiter37dynamic_per_group_scaled_quant_kernelItDB8_Li32ELi64ELb0ELi64ELb0EEEvPT0_PfPKT_PKfliilPKii
                                        ; -- End function
	.section	.AMDGPU.csdata,"",@progbits
; Kernel info:
; codeLenInByte = 2432
; NumSgprs: 18
; NumVgprs: 45
; NumAgprs: 0
; TotalNumVgprs: 45
; ScratchSize: 0
; MemoryBound: 0
; FloatMode: 240
; IeeeMode: 1
; LDSByteSize: 0 bytes/workgroup (compile time only)
; SGPRBlocks: 2
; VGPRBlocks: 5
; NumSGPRsForWavesPerEU: 18
; NumVGPRsForWavesPerEU: 45
; AccumOffset: 48
; Occupancy: 8
; WaveLimiterHint : 0
; COMPUTE_PGM_RSRC2:SCRATCH_EN: 0
; COMPUTE_PGM_RSRC2:USER_SGPR: 6
; COMPUTE_PGM_RSRC2:TRAP_HANDLER: 0
; COMPUTE_PGM_RSRC2:TGID_X_EN: 1
; COMPUTE_PGM_RSRC2:TGID_Y_EN: 0
; COMPUTE_PGM_RSRC2:TGID_Z_EN: 0
; COMPUTE_PGM_RSRC2:TIDIG_COMP_CNT: 0
; COMPUTE_PGM_RSRC3_GFX90A:ACCUM_OFFSET: 11
; COMPUTE_PGM_RSRC3_GFX90A:TG_SPLIT: 0
	.section	.text._ZN5aiter37dynamic_per_group_scaled_quant_kernelIDF16_aLi32ELi64ELb0ELi64ELb0EEEvPT0_PfPKT_PKfliilPKii,"axG",@progbits,_ZN5aiter37dynamic_per_group_scaled_quant_kernelIDF16_aLi32ELi64ELb0ELi64ELb0EEEvPT0_PfPKT_PKfliilPKii,comdat
	.protected	_ZN5aiter37dynamic_per_group_scaled_quant_kernelIDF16_aLi32ELi64ELb0ELi64ELb0EEEvPT0_PfPKT_PKfliilPKii ; -- Begin function _ZN5aiter37dynamic_per_group_scaled_quant_kernelIDF16_aLi32ELi64ELb0ELi64ELb0EEEvPT0_PfPKT_PKfliilPKii
	.globl	_ZN5aiter37dynamic_per_group_scaled_quant_kernelIDF16_aLi32ELi64ELb0ELi64ELb0EEEvPT0_PfPKT_PKfliilPKii
	.p2align	8
	.type	_ZN5aiter37dynamic_per_group_scaled_quant_kernelIDF16_aLi32ELi64ELb0ELi64ELb0EEEvPT0_PfPKT_PKfliilPKii,@function
_ZN5aiter37dynamic_per_group_scaled_quant_kernelIDF16_aLi32ELi64ELb0ELi64ELb0EEEvPT0_PfPKT_PKfliilPKii: ; @_ZN5aiter37dynamic_per_group_scaled_quant_kernelIDF16_aLi32ELi64ELb0ELi64ELb0EEEvPT0_PfPKT_PKfliilPKii
; %bb.0:
	s_load_dwordx2 s[0:1], s[4:5], 0x38
	s_waitcnt lgkmcnt(0)
	s_cmp_eq_u64 s[0:1], 0
	s_cbranch_scc1 .LBB24_2
; %bb.1:
	s_load_dword s2, s[4:5], 0x40
	s_load_dword s3, s[0:1], 0x0
	s_waitcnt lgkmcnt(0)
	s_mul_hi_i32 s9, s3, s2
	s_mul_i32 s8, s3, s2
	s_branch .LBB24_3
.LBB24_2:
	s_load_dwordx2 s[8:9], s[4:5], 0x20
.LBB24_3:
	s_load_dwordx2 s[2:3], s[4:5], 0x28
	s_mov_b32 s7, 0
	s_lshl_b64 s[0:1], s[6:7], 6
	v_or_b32_e32 v4, s0, v0
	v_mov_b32_e32 v5, s1
	s_waitcnt lgkmcnt(0)
	s_ashr_i32 s0, s2, 31
	s_lshr_b32 s0, s0, 26
	s_add_i32 s0, s2, s0
	s_ashr_i32 s2, s0, 6
	v_lshrrev_b64 v[18:19], 1, v[4:5]
	s_ashr_i32 s0, s2, 31
	v_or_b32_e32 v3, s0, v19
	v_mov_b32_e32 v2, 0
	v_cmp_ne_u64_e32 vcc, 0, v[2:3]
                                        ; implicit-def: $vgpr2_vgpr3
	s_and_saveexec_b64 s[6:7], vcc
	s_xor_b64 s[6:7], exec, s[6:7]
	s_cbranch_execnz .LBB24_7
; %bb.4:
	s_andn2_saveexec_b64 s[0:1], s[6:7]
	s_cbranch_execnz .LBB24_8
.LBB24_5:
	s_or_b64 exec, exec, s[0:1]
	v_cmp_gt_i64_e32 vcc, s[8:9], v[2:3]
	s_and_saveexec_b64 s[0:1], vcc
	s_cbranch_execnz .LBB24_9
.LBB24_6:
	s_endpgm
.LBB24_7:
	s_add_u32 s12, s2, s0
	s_mov_b32 s10, s0
	s_mov_b32 s11, s0
	s_addc_u32 s13, s0, s0
	s_xor_b64 s[12:13], s[12:13], s[10:11]
	v_cvt_f32_u32_e32 v1, s12
	v_cvt_f32_u32_e32 v2, s13
	s_sub_u32 s0, 0, s12
	s_subb_u32 s1, 0, s13
	v_madmk_f32 v1, v2, 0x4f800000, v1
	v_rcp_f32_e32 v1, v1
	v_mul_f32_e32 v1, 0x5f7ffffc, v1
	v_mul_f32_e32 v2, 0x2f800000, v1
	v_trunc_f32_e32 v2, v2
	v_madmk_f32 v1, v2, 0xcf800000, v1
	v_cvt_u32_f32_e32 v2, v2
	v_cvt_u32_f32_e32 v1, v1
	v_mul_lo_u32 v3, s0, v2
	v_mul_hi_u32 v5, s0, v1
	v_mul_lo_u32 v4, s1, v1
	v_add_u32_e32 v3, v5, v3
	v_mul_lo_u32 v6, s0, v1
	v_add_u32_e32 v3, v3, v4
	v_mul_lo_u32 v5, v1, v3
	v_mul_hi_u32 v7, v1, v6
	v_mul_hi_u32 v4, v1, v3
	v_add_co_u32_e32 v5, vcc, v7, v5
	v_addc_co_u32_e32 v4, vcc, 0, v4, vcc
	v_mul_hi_u32 v8, v2, v6
	v_mul_lo_u32 v6, v2, v6
	v_add_co_u32_e32 v5, vcc, v5, v6
	v_mul_hi_u32 v7, v2, v3
	v_addc_co_u32_e32 v4, vcc, v4, v8, vcc
	v_addc_co_u32_e32 v5, vcc, 0, v7, vcc
	v_mul_lo_u32 v3, v2, v3
	v_add_co_u32_e32 v3, vcc, v4, v3
	v_addc_co_u32_e32 v4, vcc, 0, v5, vcc
	v_add_co_u32_e32 v1, vcc, v1, v3
	v_addc_co_u32_e32 v2, vcc, v2, v4, vcc
	v_mul_lo_u32 v3, s0, v2
	v_mul_hi_u32 v4, s0, v1
	v_add_u32_e32 v3, v4, v3
	v_mul_lo_u32 v4, s1, v1
	v_add_u32_e32 v3, v3, v4
	v_mul_lo_u32 v5, s0, v1
	v_mul_hi_u32 v6, v2, v5
	v_mul_lo_u32 v7, v2, v5
	v_mul_lo_u32 v9, v1, v3
	v_mul_hi_u32 v5, v1, v5
	v_mul_hi_u32 v8, v1, v3
	v_add_co_u32_e32 v5, vcc, v5, v9
	v_addc_co_u32_e32 v8, vcc, 0, v8, vcc
	v_add_co_u32_e32 v5, vcc, v5, v7
	v_mul_hi_u32 v4, v2, v3
	v_addc_co_u32_e32 v5, vcc, v8, v6, vcc
	v_addc_co_u32_e32 v4, vcc, 0, v4, vcc
	v_mul_lo_u32 v3, v2, v3
	v_add_co_u32_e32 v3, vcc, v5, v3
	v_addc_co_u32_e32 v4, vcc, 0, v4, vcc
	v_add_co_u32_e32 v1, vcc, v1, v3
	v_addc_co_u32_e32 v4, vcc, v2, v4, vcc
	v_mad_u64_u32 v[2:3], s[0:1], v18, v4, 0
	v_mul_hi_u32 v5, v18, v1
	v_add_co_u32_e32 v6, vcc, v5, v2
	v_addc_co_u32_e32 v7, vcc, 0, v3, vcc
	v_mad_u64_u32 v[2:3], s[0:1], v19, v4, 0
	v_mad_u64_u32 v[4:5], s[0:1], v19, v1, 0
	v_add_co_u32_e32 v1, vcc, v6, v4
	v_addc_co_u32_e32 v1, vcc, v7, v5, vcc
	v_addc_co_u32_e32 v3, vcc, 0, v3, vcc
	v_add_co_u32_e32 v1, vcc, v1, v2
	v_addc_co_u32_e32 v4, vcc, 0, v3, vcc
	v_mul_lo_u32 v5, s13, v1
	v_mul_lo_u32 v6, s12, v4
	v_mad_u64_u32 v[2:3], s[0:1], s12, v1, 0
	v_add3_u32 v3, v3, v6, v5
	v_sub_u32_e32 v5, v19, v3
	v_mov_b32_e32 v6, s13
	v_sub_co_u32_e32 v2, vcc, v18, v2
	v_subb_co_u32_e64 v5, s[0:1], v5, v6, vcc
	v_subrev_co_u32_e64 v6, s[0:1], s12, v2
	v_subbrev_co_u32_e64 v5, s[0:1], 0, v5, s[0:1]
	v_cmp_le_u32_e64 s[0:1], s13, v5
	v_cndmask_b32_e64 v7, 0, -1, s[0:1]
	v_cmp_le_u32_e64 s[0:1], s12, v6
	v_cndmask_b32_e64 v6, 0, -1, s[0:1]
	v_cmp_eq_u32_e64 s[0:1], s13, v5
	v_cndmask_b32_e64 v5, v7, v6, s[0:1]
	v_add_co_u32_e64 v6, s[0:1], 2, v1
	v_addc_co_u32_e64 v7, s[0:1], 0, v4, s[0:1]
	v_add_co_u32_e64 v8, s[0:1], 1, v1
	v_addc_co_u32_e64 v9, s[0:1], 0, v4, s[0:1]
	v_subb_co_u32_e32 v3, vcc, v19, v3, vcc
	v_cmp_ne_u32_e64 s[0:1], 0, v5
	v_cmp_le_u32_e32 vcc, s13, v3
	v_cndmask_b32_e64 v5, v9, v7, s[0:1]
	v_cndmask_b32_e64 v7, 0, -1, vcc
	v_cmp_le_u32_e32 vcc, s12, v2
	v_cndmask_b32_e64 v2, 0, -1, vcc
	v_cmp_eq_u32_e32 vcc, s13, v3
	v_cndmask_b32_e32 v2, v7, v2, vcc
	v_cmp_ne_u32_e32 vcc, 0, v2
	v_cndmask_b32_e64 v3, v8, v6, s[0:1]
	v_cndmask_b32_e32 v1, v1, v3, vcc
	v_cndmask_b32_e32 v2, v4, v5, vcc
	v_xor_b32_e32 v1, s10, v1
	v_xor_b32_e32 v3, s11, v2
	v_mov_b32_e32 v4, s11
	v_subrev_co_u32_e32 v2, vcc, s10, v1
	v_subb_co_u32_e32 v3, vcc, v3, v4, vcc
                                        ; implicit-def: $vgpr4_vgpr5
	s_andn2_saveexec_b64 s[0:1], s[6:7]
	s_cbranch_execz .LBB24_5
.LBB24_8:
	v_cvt_f32_u32_e32 v1, s2
	s_sub_i32 s6, 0, s2
	v_alignbit_b32 v2, v5, v4, 1
	v_rcp_iflag_f32_e32 v1, v1
	v_mul_f32_e32 v1, 0x4f7ffffe, v1
	v_cvt_u32_f32_e32 v1, v1
	v_mul_lo_u32 v3, s6, v1
	v_mul_hi_u32 v3, v1, v3
	v_add_u32_e32 v1, v1, v3
	v_mul_hi_u32 v1, v2, v1
	v_mul_lo_u32 v3, v1, s2
	v_sub_u32_e32 v2, v2, v3
	v_add_u32_e32 v4, 1, v1
	v_subrev_u32_e32 v3, s2, v2
	v_cmp_le_u32_e32 vcc, s2, v2
	v_cndmask_b32_e32 v2, v2, v3, vcc
	v_cndmask_b32_e32 v1, v1, v4, vcc
	v_add_u32_e32 v3, 1, v1
	v_cmp_le_u32_e32 vcc, s2, v2
	v_cndmask_b32_e32 v2, v1, v3, vcc
	v_mov_b32_e32 v3, 0
	s_or_b64 exec, exec, s[0:1]
	v_cmp_gt_i64_e32 vcc, s[8:9], v[2:3]
	s_and_saveexec_b64 s[0:1], vcc
	s_cbranch_execz .LBB24_6
.LBB24_9:
	s_load_dwordx2 s[0:1], s[4:5], 0x10
	v_mul_lo_u32 v1, v2, s2
	s_ashr_i32 s2, s3, 31
	v_mul_lo_u32 v4, v3, s3
	v_mul_lo_u32 v5, v2, s2
	v_mad_u64_u32 v[2:3], s[2:3], v2, s3, 0
	v_add3_u32 v3, v3, v5, v4
	v_sub_u32_e32 v1, v18, v1
	v_lshlrev_b64 v[2:3], 1, v[2:3]
	v_lshlrev_b32_e32 v4, 6, v1
	v_mov_b32_e32 v5, 0
	s_waitcnt lgkmcnt(0)
	v_mov_b32_e32 v1, s1
	v_add_co_u32_e32 v6, vcc, s0, v2
	v_addc_co_u32_e32 v1, vcc, v1, v3, vcc
	v_lshlrev_b64 v[2:3], 1, v[4:5]
	v_add_co_u32_e32 v2, vcc, v6, v2
	v_and_b32_e32 v22, 1, v0
	v_addc_co_u32_e32 v1, vcc, v1, v3, vcc
	v_lshlrev_b32_e32 v3, 6, v22
	v_add_co_u32_e32 v20, vcc, v2, v3
	v_addc_co_u32_e32 v21, vcc, 0, v1, vcc
	global_load_dwordx4 v[14:17], v[20:21], off
	global_load_dwordx4 v[10:13], v[20:21], off offset:16
	global_load_dwordx4 v[6:9], v[20:21], off offset:32
	;; [unrolled: 1-line block ×3, first 2 shown]
	s_mov_b32 s2, 0x2edbe6ff
	s_load_dwordx2 s[0:1], s[4:5], 0x0
	s_waitcnt vmcnt(3)
	v_cvt_f32_f16_e64 v1, |v14|
	v_cvt_f32_f16_sdwa v20, |v14| dst_sel:DWORD dst_unused:UNUSED_PAD src0_sel:WORD_1
	v_cvt_f32_f16_e64 v21, |v15|
	v_cvt_f32_f16_sdwa v23, |v15| dst_sel:DWORD dst_unused:UNUSED_PAD src0_sel:WORD_1
	;; [unrolled: 2-line block ×4, first 2 shown]
	s_waitcnt vmcnt(2)
	v_cvt_f32_f16_e64 v28, |v10|
	v_cvt_f32_f16_sdwa v29, |v10| dst_sel:DWORD dst_unused:UNUSED_PAD src0_sel:WORD_1
	v_max3_f32 v1, v1, s2, v20
	v_cvt_f32_f16_e64 v30, |v11|
	v_cvt_f32_f16_sdwa v31, |v11| dst_sel:DWORD dst_unused:UNUSED_PAD src0_sel:WORD_1
	v_max3_f32 v1, v1, v21, v23
	v_cvt_f32_f16_e64 v32, |v12|
	v_cvt_f32_f16_sdwa v33, |v12| dst_sel:DWORD dst_unused:UNUSED_PAD src0_sel:WORD_1
	v_max3_f32 v1, v1, v24, v25
	v_cvt_f32_f16_e64 v34, |v13|
	v_cvt_f32_f16_sdwa v35, |v13| dst_sel:DWORD dst_unused:UNUSED_PAD src0_sel:WORD_1
	v_max3_f32 v1, v1, v26, v27
	s_waitcnt vmcnt(1)
	v_cvt_f32_f16_e64 v36, |v6|
	v_cvt_f32_f16_sdwa v37, |v6| dst_sel:DWORD dst_unused:UNUSED_PAD src0_sel:WORD_1
	v_max3_f32 v1, v1, v28, v29
	v_cvt_f32_f16_e64 v38, |v7|
	v_cvt_f32_f16_sdwa v39, |v7| dst_sel:DWORD dst_unused:UNUSED_PAD src0_sel:WORD_1
	v_max3_f32 v1, v1, v30, v31
	v_cvt_f32_f16_e64 v40, |v8|
	v_cvt_f32_f16_sdwa v41, |v8| dst_sel:DWORD dst_unused:UNUSED_PAD src0_sel:WORD_1
	v_max3_f32 v1, v1, v32, v33
	v_cvt_f32_f16_e64 v42, |v9|
	v_cvt_f32_f16_sdwa v43, |v9| dst_sel:DWORD dst_unused:UNUSED_PAD src0_sel:WORD_1
	v_max3_f32 v1, v1, v34, v35
	;; [unrolled: 13-line block ×3, first 2 shown]
	v_max3_f32 v1, v1, v44, v45
	v_max3_f32 v1, v1, v46, v47
	;; [unrolled: 1-line block ×4, first 2 shown]
	s_nop 1
	v_mov_b32_dpp v20, v1 quad_perm:[1,0,3,2] row_mask:0xf bank_mask:0xf
	v_cmp_gt_f32_e32 vcc, v1, v20
	v_cndmask_b32_e32 v1, v20, v1, vcc
	v_mul_f32_e32 v1, 0x3c010204, v1
	v_cmp_eq_u32_e32 vcc, 0, v22
	s_and_saveexec_b64 s[2:3], vcc
	s_cbranch_execz .LBB24_11
; %bb.10:
	s_load_dwordx2 s[6:7], s[4:5], 0x8
	v_lshlrev_b64 v[20:21], 2, v[18:19]
	s_waitcnt lgkmcnt(0)
	v_mov_b32_e32 v19, s7
	v_add_co_u32_e32 v20, vcc, s6, v20
	v_addc_co_u32_e32 v21, vcc, v19, v21, vcc
	global_store_dword v[20:21], v1, off
.LBB24_11:
	s_or_b64 exec, exec, s[2:3]
	v_div_scale_f32 v19, s[2:3], v1, v1, 1.0
	v_rcp_f32_e32 v20, v19
	v_lshlrev_b32_e32 v21, 5, v0
	v_lshlrev_b32_e32 v18, 6, v18
	v_and_or_b32 v26, v21, 32, v18
	v_fma_f32 v0, -v19, v20, 1.0
	v_fmac_f32_e32 v20, v0, v20
	v_div_scale_f32 v0, vcc, 1.0, v1, 1.0
	v_mul_f32_e32 v22, v0, v20
	v_fma_f32 v23, -v19, v22, v0
	v_fmac_f32_e32 v22, v23, v20
	v_fma_f32 v0, -v19, v22, v0
	v_div_fmas_f32 v0, v0, v20, v22
	v_div_fixup_f32 v0, v0, v1, 1.0
	v_cvt_f32_f16_e32 v18, v14
	v_cvt_f32_f16_sdwa v19, v14 dst_sel:DWORD dst_unused:UNUSED_PAD src0_sel:WORD_1
	v_cvt_f32_f16_e32 v14, v15
	v_cvt_f32_f16_sdwa v15, v15 dst_sel:DWORD dst_unused:UNUSED_PAD src0_sel:WORD_1
	v_mov_b32_e32 v1, v0
	;;#ASMSTART
	v_pk_mul_f32 v[18:19], v[18:19], v[0:1]
	;;#ASMEND
	;;#ASMSTART
	v_pk_mul_f32 v[14:15], v[14:15], v[0:1]
	;;#ASMEND
	v_cvt_f32_f16_e32 v20, v16
	v_cvt_f32_f16_sdwa v21, v16 dst_sel:DWORD dst_unused:UNUSED_PAD src0_sel:WORD_1
	v_cvt_i32_f32_e32 v27, v14
	v_cvt_i32_f32_sdwa v28, v15 dst_sel:BYTE_1 dst_unused:UNUSED_PAD src0_sel:DWORD
	;;#ASMSTART
	v_pk_mul_f32 v[14:15], v[20:21], v[0:1]
	;;#ASMEND
	v_cvt_f32_f16_e32 v16, v17
	v_cvt_f32_f16_sdwa v17, v17 dst_sel:DWORD dst_unused:UNUSED_PAD src0_sel:WORD_1
	v_cvt_f32_f16_e32 v22, v10
	v_cvt_f32_f16_sdwa v23, v10 dst_sel:DWORD dst_unused:UNUSED_PAD src0_sel:WORD_1
	;; [unrolled: 2-line block ×3, first 2 shown]
	v_cvt_i32_f32_e32 v18, v18
	v_cvt_i32_f32_sdwa v19, v19 dst_sel:BYTE_1 dst_unused:UNUSED_PAD src0_sel:DWORD
	v_cvt_i32_f32_e32 v20, v14
	v_cvt_i32_f32_sdwa v21, v15 dst_sel:BYTE_1 dst_unused:UNUSED_PAD src0_sel:DWORD
	;;#ASMSTART
	v_pk_mul_f32 v[14:15], v[16:17], v[0:1]
	;;#ASMEND
	v_cvt_i32_f32_e32 v16, v14
	v_cvt_i32_f32_sdwa v17, v15 dst_sel:BYTE_1 dst_unused:UNUSED_PAD src0_sel:DWORD
	;;#ASMSTART
	v_pk_mul_f32 v[14:15], v[22:23], v[0:1]
	;;#ASMEND
	;;#ASMSTART
	v_pk_mul_f32 v[10:11], v[10:11], v[0:1]
	;;#ASMEND
	v_cvt_f32_f16_e32 v24, v12
	v_cvt_f32_f16_sdwa v25, v12 dst_sel:DWORD dst_unused:UNUSED_PAD src0_sel:WORD_1
	v_cvt_f32_f16_e32 v12, v13
	v_cvt_f32_f16_sdwa v13, v13 dst_sel:DWORD dst_unused:UNUSED_PAD src0_sel:WORD_1
	v_cvt_i32_f32_e32 v14, v14
	v_cvt_i32_f32_sdwa v15, v15 dst_sel:BYTE_1 dst_unused:UNUSED_PAD src0_sel:DWORD
	v_cvt_i32_f32_e32 v22, v10
	v_cvt_i32_f32_sdwa v23, v11 dst_sel:BYTE_1 dst_unused:UNUSED_PAD src0_sel:DWORD
	;;#ASMSTART
	v_pk_mul_f32 v[10:11], v[24:25], v[0:1]
	;;#ASMEND
	v_cvt_i32_f32_e32 v24, v10
	v_cvt_i32_f32_sdwa v25, v11 dst_sel:BYTE_1 dst_unused:UNUSED_PAD src0_sel:DWORD
	;;#ASMSTART
	v_pk_mul_f32 v[10:11], v[12:13], v[0:1]
	;;#ASMEND
	v_cvt_i32_f32_e32 v13, v10
	v_cvt_i32_f32_sdwa v29, v11 dst_sel:BYTE_1 dst_unused:UNUSED_PAD src0_sel:DWORD
	s_load_dword s2, s[4:5], 0x30
	v_or_b32_sdwa v10, v18, v19 dst_sel:DWORD dst_unused:UNUSED_PAD src0_sel:BYTE_0 src1_sel:DWORD
	v_or_b32_sdwa v11, v27, v28 dst_sel:WORD_1 dst_unused:UNUSED_PAD src0_sel:BYTE_0 src1_sel:DWORD
	v_or_b32_sdwa v10, v10, v11 dst_sel:DWORD dst_unused:UNUSED_PAD src0_sel:WORD_0 src1_sel:DWORD
	v_or_b32_sdwa v11, v20, v21 dst_sel:DWORD dst_unused:UNUSED_PAD src0_sel:BYTE_0 src1_sel:DWORD
	v_or_b32_sdwa v12, v16, v17 dst_sel:WORD_1 dst_unused:UNUSED_PAD src0_sel:BYTE_0 src1_sel:DWORD
	v_or_b32_sdwa v11, v11, v12 dst_sel:DWORD dst_unused:UNUSED_PAD src0_sel:WORD_0 src1_sel:DWORD
	;; [unrolled: 3-line block ×3, first 2 shown]
	v_or_b32_sdwa v14, v24, v25 dst_sel:DWORD dst_unused:UNUSED_PAD src0_sel:BYTE_0 src1_sel:DWORD
	v_or_b32_sdwa v13, v13, v29 dst_sel:WORD_1 dst_unused:UNUSED_PAD src0_sel:BYTE_0 src1_sel:DWORD
	s_waitcnt lgkmcnt(0)
	s_and_b32 s1, s1, 0xffff
	s_mov_b32 s3, 0x20000
	v_or_b32_sdwa v13, v14, v13 dst_sel:DWORD dst_unused:UNUSED_PAD src0_sel:WORD_0 src1_sel:DWORD
	buffer_store_dwordx4 v[10:13], v26, s[0:3], 0 offen
	;;#ASMSTART
	s_nop 0
	;;#ASMEND
	v_cvt_f32_f16_e32 v14, v2
	v_cvt_f32_f16_e32 v10, v6
	v_cvt_f32_f16_sdwa v11, v6 dst_sel:DWORD dst_unused:UNUSED_PAD src0_sel:WORD_1
	v_cvt_f32_f16_e32 v6, v7
	v_cvt_f32_f16_sdwa v7, v7 dst_sel:DWORD dst_unused:UNUSED_PAD src0_sel:WORD_1
	;;#ASMSTART
	v_pk_mul_f32 v[10:11], v[10:11], v[0:1]
	;;#ASMEND
	;;#ASMSTART
	v_pk_mul_f32 v[6:7], v[6:7], v[0:1]
	;;#ASMEND
	v_cvt_f32_f16_e32 v12, v8
	v_cvt_f32_f16_sdwa v13, v8 dst_sel:DWORD dst_unused:UNUSED_PAD src0_sel:WORD_1
	v_cvt_i32_f32_e32 v18, v6
	v_cvt_i32_f32_sdwa v19, v7 dst_sel:BYTE_1 dst_unused:UNUSED_PAD src0_sel:DWORD
	;;#ASMSTART
	v_pk_mul_f32 v[6:7], v[12:13], v[0:1]
	;;#ASMEND
	v_cvt_f32_f16_e32 v8, v9
	v_cvt_f32_f16_sdwa v9, v9 dst_sel:DWORD dst_unused:UNUSED_PAD src0_sel:WORD_1
	v_cvt_f32_f16_sdwa v15, v2 dst_sel:DWORD dst_unused:UNUSED_PAD src0_sel:WORD_1
	v_cvt_f32_f16_e32 v2, v3
	v_cvt_f32_f16_sdwa v3, v3 dst_sel:DWORD dst_unused:UNUSED_PAD src0_sel:WORD_1
	v_cvt_i32_f32_e32 v12, v6
	v_cvt_i32_f32_sdwa v13, v7 dst_sel:BYTE_1 dst_unused:UNUSED_PAD src0_sel:DWORD
	;;#ASMSTART
	v_pk_mul_f32 v[6:7], v[8:9], v[0:1]
	;;#ASMEND
	v_cvt_i32_f32_e32 v10, v10
	v_cvt_i32_f32_sdwa v11, v11 dst_sel:BYTE_1 dst_unused:UNUSED_PAD src0_sel:DWORD
	v_cvt_i32_f32_e32 v8, v6
	v_cvt_i32_f32_sdwa v9, v7 dst_sel:BYTE_1 dst_unused:UNUSED_PAD src0_sel:DWORD
	;;#ASMSTART
	v_pk_mul_f32 v[6:7], v[14:15], v[0:1]
	;;#ASMEND
	;;#ASMSTART
	v_pk_mul_f32 v[2:3], v[2:3], v[0:1]
	;;#ASMEND
	v_cvt_f32_f16_e32 v16, v4
	v_cvt_f32_f16_sdwa v17, v4 dst_sel:DWORD dst_unused:UNUSED_PAD src0_sel:WORD_1
	v_cvt_f32_f16_e32 v4, v5
	v_cvt_f32_f16_sdwa v5, v5 dst_sel:DWORD dst_unused:UNUSED_PAD src0_sel:WORD_1
	v_cvt_i32_f32_e32 v14, v2
	v_cvt_i32_f32_sdwa v15, v3 dst_sel:BYTE_1 dst_unused:UNUSED_PAD src0_sel:DWORD
	;;#ASMSTART
	v_pk_mul_f32 v[2:3], v[16:17], v[0:1]
	;;#ASMEND
	v_cvt_i32_f32_e32 v6, v6
	v_cvt_i32_f32_sdwa v7, v7 dst_sel:BYTE_1 dst_unused:UNUSED_PAD src0_sel:DWORD
	v_cvt_i32_f32_e32 v16, v2
	v_cvt_i32_f32_sdwa v3, v3 dst_sel:BYTE_1 dst_unused:UNUSED_PAD src0_sel:DWORD
	;;#ASMSTART
	v_pk_mul_f32 v[0:1], v[4:5], v[0:1]
	;;#ASMEND
	v_cvt_i32_f32_e32 v4, v0
	v_cvt_i32_f32_sdwa v5, v1 dst_sel:BYTE_1 dst_unused:UNUSED_PAD src0_sel:DWORD
	v_or_b32_sdwa v0, v10, v11 dst_sel:DWORD dst_unused:UNUSED_PAD src0_sel:BYTE_0 src1_sel:DWORD
	v_or_b32_sdwa v1, v18, v19 dst_sel:WORD_1 dst_unused:UNUSED_PAD src0_sel:BYTE_0 src1_sel:DWORD
	v_or_b32_sdwa v0, v0, v1 dst_sel:DWORD dst_unused:UNUSED_PAD src0_sel:WORD_0 src1_sel:DWORD
	v_or_b32_sdwa v1, v12, v13 dst_sel:DWORD dst_unused:UNUSED_PAD src0_sel:BYTE_0 src1_sel:DWORD
	v_or_b32_sdwa v2, v8, v9 dst_sel:WORD_1 dst_unused:UNUSED_PAD src0_sel:BYTE_0 src1_sel:DWORD
	v_or_b32_sdwa v1, v1, v2 dst_sel:DWORD dst_unused:UNUSED_PAD src0_sel:WORD_0 src1_sel:DWORD
	v_or_b32_sdwa v2, v6, v7 dst_sel:DWORD dst_unused:UNUSED_PAD src0_sel:BYTE_0 src1_sel:DWORD
	v_or_b32_sdwa v6, v14, v15 dst_sel:WORD_1 dst_unused:UNUSED_PAD src0_sel:BYTE_0 src1_sel:DWORD
	v_or_b32_sdwa v3, v16, v3 dst_sel:DWORD dst_unused:UNUSED_PAD src0_sel:BYTE_0 src1_sel:DWORD
	v_or_b32_sdwa v4, v4, v5 dst_sel:WORD_1 dst_unused:UNUSED_PAD src0_sel:BYTE_0 src1_sel:DWORD
	v_or_b32_sdwa v2, v2, v6 dst_sel:DWORD dst_unused:UNUSED_PAD src0_sel:WORD_0 src1_sel:DWORD
	v_or_b32_sdwa v3, v3, v4 dst_sel:DWORD dst_unused:UNUSED_PAD src0_sel:WORD_0 src1_sel:DWORD
	buffer_store_dwordx4 v[0:3], v26, s[0:3], 16 offen
	;;#ASMSTART
	s_nop 0
	;;#ASMEND
	s_endpgm
	.section	.rodata,"a",@progbits
	.p2align	6, 0x0
	.amdhsa_kernel _ZN5aiter37dynamic_per_group_scaled_quant_kernelIDF16_aLi32ELi64ELb0ELi64ELb0EEEvPT0_PfPKT_PKfliilPKii
		.amdhsa_group_segment_fixed_size 0
		.amdhsa_private_segment_fixed_size 0
		.amdhsa_kernarg_size 68
		.amdhsa_user_sgpr_count 6
		.amdhsa_user_sgpr_private_segment_buffer 1
		.amdhsa_user_sgpr_dispatch_ptr 0
		.amdhsa_user_sgpr_queue_ptr 0
		.amdhsa_user_sgpr_kernarg_segment_ptr 1
		.amdhsa_user_sgpr_dispatch_id 0
		.amdhsa_user_sgpr_flat_scratch_init 0
		.amdhsa_user_sgpr_kernarg_preload_length 0
		.amdhsa_user_sgpr_kernarg_preload_offset 0
		.amdhsa_user_sgpr_private_segment_size 0
		.amdhsa_uses_dynamic_stack 0
		.amdhsa_system_sgpr_private_segment_wavefront_offset 0
		.amdhsa_system_sgpr_workgroup_id_x 1
		.amdhsa_system_sgpr_workgroup_id_y 0
		.amdhsa_system_sgpr_workgroup_id_z 0
		.amdhsa_system_sgpr_workgroup_info 0
		.amdhsa_system_vgpr_workitem_id 0
		.amdhsa_next_free_vgpr 52
		.amdhsa_next_free_sgpr 14
		.amdhsa_accum_offset 52
		.amdhsa_reserve_vcc 1
		.amdhsa_reserve_flat_scratch 0
		.amdhsa_float_round_mode_32 0
		.amdhsa_float_round_mode_16_64 0
		.amdhsa_float_denorm_mode_32 3
		.amdhsa_float_denorm_mode_16_64 3
		.amdhsa_dx10_clamp 1
		.amdhsa_ieee_mode 1
		.amdhsa_fp16_overflow 0
		.amdhsa_tg_split 0
		.amdhsa_exception_fp_ieee_invalid_op 0
		.amdhsa_exception_fp_denorm_src 0
		.amdhsa_exception_fp_ieee_div_zero 0
		.amdhsa_exception_fp_ieee_overflow 0
		.amdhsa_exception_fp_ieee_underflow 0
		.amdhsa_exception_fp_ieee_inexact 0
		.amdhsa_exception_int_div_zero 0
	.end_amdhsa_kernel
	.section	.text._ZN5aiter37dynamic_per_group_scaled_quant_kernelIDF16_aLi32ELi64ELb0ELi64ELb0EEEvPT0_PfPKT_PKfliilPKii,"axG",@progbits,_ZN5aiter37dynamic_per_group_scaled_quant_kernelIDF16_aLi32ELi64ELb0ELi64ELb0EEEvPT0_PfPKT_PKfliilPKii,comdat
.Lfunc_end24:
	.size	_ZN5aiter37dynamic_per_group_scaled_quant_kernelIDF16_aLi32ELi64ELb0ELi64ELb0EEEvPT0_PfPKT_PKfliilPKii, .Lfunc_end24-_ZN5aiter37dynamic_per_group_scaled_quant_kernelIDF16_aLi32ELi64ELb0ELi64ELb0EEEvPT0_PfPKT_PKfliilPKii
                                        ; -- End function
	.section	.AMDGPU.csdata,"",@progbits
; Kernel info:
; codeLenInByte = 2468
; NumSgprs: 18
; NumVgprs: 52
; NumAgprs: 0
; TotalNumVgprs: 52
; ScratchSize: 0
; MemoryBound: 0
; FloatMode: 240
; IeeeMode: 1
; LDSByteSize: 0 bytes/workgroup (compile time only)
; SGPRBlocks: 2
; VGPRBlocks: 6
; NumSGPRsForWavesPerEU: 18
; NumVGPRsForWavesPerEU: 52
; AccumOffset: 52
; Occupancy: 8
; WaveLimiterHint : 0
; COMPUTE_PGM_RSRC2:SCRATCH_EN: 0
; COMPUTE_PGM_RSRC2:USER_SGPR: 6
; COMPUTE_PGM_RSRC2:TRAP_HANDLER: 0
; COMPUTE_PGM_RSRC2:TGID_X_EN: 1
; COMPUTE_PGM_RSRC2:TGID_Y_EN: 0
; COMPUTE_PGM_RSRC2:TGID_Z_EN: 0
; COMPUTE_PGM_RSRC2:TIDIG_COMP_CNT: 0
; COMPUTE_PGM_RSRC3_GFX90A:ACCUM_OFFSET: 12
; COMPUTE_PGM_RSRC3_GFX90A:TG_SPLIT: 0
	.section	.text._ZN5aiter37dynamic_per_group_scaled_quant_kernelItaLi32ELi64ELb0ELi64ELb0EEEvPT0_PfPKT_PKfliilPKii,"axG",@progbits,_ZN5aiter37dynamic_per_group_scaled_quant_kernelItaLi32ELi64ELb0ELi64ELb0EEEvPT0_PfPKT_PKfliilPKii,comdat
	.protected	_ZN5aiter37dynamic_per_group_scaled_quant_kernelItaLi32ELi64ELb0ELi64ELb0EEEvPT0_PfPKT_PKfliilPKii ; -- Begin function _ZN5aiter37dynamic_per_group_scaled_quant_kernelItaLi32ELi64ELb0ELi64ELb0EEEvPT0_PfPKT_PKfliilPKii
	.globl	_ZN5aiter37dynamic_per_group_scaled_quant_kernelItaLi32ELi64ELb0ELi64ELb0EEEvPT0_PfPKT_PKfliilPKii
	.p2align	8
	.type	_ZN5aiter37dynamic_per_group_scaled_quant_kernelItaLi32ELi64ELb0ELi64ELb0EEEvPT0_PfPKT_PKfliilPKii,@function
_ZN5aiter37dynamic_per_group_scaled_quant_kernelItaLi32ELi64ELb0ELi64ELb0EEEvPT0_PfPKT_PKfliilPKii: ; @_ZN5aiter37dynamic_per_group_scaled_quant_kernelItaLi32ELi64ELb0ELi64ELb0EEEvPT0_PfPKT_PKfliilPKii
; %bb.0:
	s_load_dwordx2 s[0:1], s[4:5], 0x38
	s_waitcnt lgkmcnt(0)
	s_cmp_eq_u64 s[0:1], 0
	s_cbranch_scc1 .LBB25_2
; %bb.1:
	s_load_dword s2, s[4:5], 0x40
	s_load_dword s3, s[0:1], 0x0
	s_waitcnt lgkmcnt(0)
	s_mul_hi_i32 s9, s3, s2
	s_mul_i32 s8, s3, s2
	s_branch .LBB25_3
.LBB25_2:
	s_load_dwordx2 s[8:9], s[4:5], 0x20
.LBB25_3:
	s_load_dwordx2 s[2:3], s[4:5], 0x28
	s_mov_b32 s7, 0
	s_lshl_b64 s[0:1], s[6:7], 6
	v_or_b32_e32 v6, s0, v0
	v_mov_b32_e32 v7, s1
	s_waitcnt lgkmcnt(0)
	s_ashr_i32 s0, s2, 31
	s_lshr_b32 s0, s0, 26
	s_add_i32 s0, s2, s0
	s_ashr_i32 s2, s0, 6
	v_lshrrev_b64 v[2:3], 1, v[6:7]
	s_ashr_i32 s0, s2, 31
	v_or_b32_e32 v5, s0, v3
	v_mov_b32_e32 v4, 0
	v_cmp_ne_u64_e32 vcc, 0, v[4:5]
                                        ; implicit-def: $vgpr4_vgpr5
	s_and_saveexec_b64 s[6:7], vcc
	s_xor_b64 s[6:7], exec, s[6:7]
	s_cbranch_execnz .LBB25_7
; %bb.4:
	s_andn2_saveexec_b64 s[0:1], s[6:7]
	s_cbranch_execnz .LBB25_8
.LBB25_5:
	s_or_b64 exec, exec, s[0:1]
	v_cmp_gt_i64_e32 vcc, s[8:9], v[4:5]
	s_and_saveexec_b64 s[0:1], vcc
	s_cbranch_execnz .LBB25_9
.LBB25_6:
	s_endpgm
.LBB25_7:
	s_add_u32 s12, s2, s0
	s_mov_b32 s10, s0
	s_mov_b32 s11, s0
	s_addc_u32 s13, s0, s0
	s_xor_b64 s[12:13], s[12:13], s[10:11]
	v_cvt_f32_u32_e32 v1, s12
	v_cvt_f32_u32_e32 v4, s13
	s_sub_u32 s0, 0, s12
	s_subb_u32 s1, 0, s13
	v_madmk_f32 v1, v4, 0x4f800000, v1
	v_rcp_f32_e32 v1, v1
	v_mul_f32_e32 v1, 0x5f7ffffc, v1
	v_mul_f32_e32 v4, 0x2f800000, v1
	v_trunc_f32_e32 v4, v4
	v_madmk_f32 v1, v4, 0xcf800000, v1
	v_cvt_u32_f32_e32 v4, v4
	v_cvt_u32_f32_e32 v1, v1
	v_mul_lo_u32 v5, s0, v4
	v_mul_hi_u32 v7, s0, v1
	v_mul_lo_u32 v6, s1, v1
	v_add_u32_e32 v5, v7, v5
	v_mul_lo_u32 v8, s0, v1
	v_add_u32_e32 v5, v5, v6
	v_mul_lo_u32 v7, v1, v5
	v_mul_hi_u32 v9, v1, v8
	v_mul_hi_u32 v6, v1, v5
	v_add_co_u32_e32 v7, vcc, v9, v7
	v_addc_co_u32_e32 v6, vcc, 0, v6, vcc
	v_mul_hi_u32 v10, v4, v8
	v_mul_lo_u32 v8, v4, v8
	v_add_co_u32_e32 v7, vcc, v7, v8
	v_mul_hi_u32 v9, v4, v5
	v_addc_co_u32_e32 v6, vcc, v6, v10, vcc
	v_addc_co_u32_e32 v7, vcc, 0, v9, vcc
	v_mul_lo_u32 v5, v4, v5
	v_add_co_u32_e32 v5, vcc, v6, v5
	v_addc_co_u32_e32 v6, vcc, 0, v7, vcc
	v_add_co_u32_e32 v1, vcc, v1, v5
	v_addc_co_u32_e32 v4, vcc, v4, v6, vcc
	v_mul_lo_u32 v5, s0, v4
	v_mul_hi_u32 v6, s0, v1
	v_add_u32_e32 v5, v6, v5
	v_mul_lo_u32 v6, s1, v1
	v_add_u32_e32 v5, v5, v6
	v_mul_lo_u32 v7, s0, v1
	v_mul_hi_u32 v8, v4, v7
	v_mul_lo_u32 v9, v4, v7
	v_mul_lo_u32 v11, v1, v5
	v_mul_hi_u32 v7, v1, v7
	v_mul_hi_u32 v10, v1, v5
	v_add_co_u32_e32 v7, vcc, v7, v11
	v_addc_co_u32_e32 v10, vcc, 0, v10, vcc
	v_add_co_u32_e32 v7, vcc, v7, v9
	v_mul_hi_u32 v6, v4, v5
	v_addc_co_u32_e32 v7, vcc, v10, v8, vcc
	v_addc_co_u32_e32 v6, vcc, 0, v6, vcc
	v_mul_lo_u32 v5, v4, v5
	v_add_co_u32_e32 v5, vcc, v7, v5
	v_addc_co_u32_e32 v6, vcc, 0, v6, vcc
	v_add_co_u32_e32 v1, vcc, v1, v5
	v_addc_co_u32_e32 v6, vcc, v4, v6, vcc
	v_mad_u64_u32 v[4:5], s[0:1], v2, v6, 0
	v_mul_hi_u32 v7, v2, v1
	v_add_co_u32_e32 v8, vcc, v7, v4
	v_addc_co_u32_e32 v9, vcc, 0, v5, vcc
	v_mad_u64_u32 v[4:5], s[0:1], v3, v6, 0
	v_mad_u64_u32 v[6:7], s[0:1], v3, v1, 0
	v_add_co_u32_e32 v1, vcc, v8, v6
	v_addc_co_u32_e32 v1, vcc, v9, v7, vcc
	v_addc_co_u32_e32 v5, vcc, 0, v5, vcc
	v_add_co_u32_e32 v1, vcc, v1, v4
	v_addc_co_u32_e32 v6, vcc, 0, v5, vcc
	v_mul_lo_u32 v7, s13, v1
	v_mul_lo_u32 v8, s12, v6
	v_mad_u64_u32 v[4:5], s[0:1], s12, v1, 0
	v_add3_u32 v5, v5, v8, v7
	v_sub_u32_e32 v7, v3, v5
	v_mov_b32_e32 v8, s13
	v_sub_co_u32_e32 v4, vcc, v2, v4
	v_subb_co_u32_e64 v7, s[0:1], v7, v8, vcc
	v_subrev_co_u32_e64 v8, s[0:1], s12, v4
	v_subbrev_co_u32_e64 v7, s[0:1], 0, v7, s[0:1]
	v_cmp_le_u32_e64 s[0:1], s13, v7
	v_cndmask_b32_e64 v9, 0, -1, s[0:1]
	v_cmp_le_u32_e64 s[0:1], s12, v8
	v_cndmask_b32_e64 v8, 0, -1, s[0:1]
	v_cmp_eq_u32_e64 s[0:1], s13, v7
	v_cndmask_b32_e64 v7, v9, v8, s[0:1]
	v_add_co_u32_e64 v8, s[0:1], 2, v1
	v_addc_co_u32_e64 v9, s[0:1], 0, v6, s[0:1]
	v_add_co_u32_e64 v10, s[0:1], 1, v1
	v_addc_co_u32_e64 v11, s[0:1], 0, v6, s[0:1]
	v_subb_co_u32_e32 v5, vcc, v3, v5, vcc
	v_cmp_ne_u32_e64 s[0:1], 0, v7
	v_cmp_le_u32_e32 vcc, s13, v5
	v_cndmask_b32_e64 v7, v11, v9, s[0:1]
	v_cndmask_b32_e64 v9, 0, -1, vcc
	v_cmp_le_u32_e32 vcc, s12, v4
	v_cndmask_b32_e64 v4, 0, -1, vcc
	v_cmp_eq_u32_e32 vcc, s13, v5
	v_cndmask_b32_e32 v4, v9, v4, vcc
	v_cmp_ne_u32_e32 vcc, 0, v4
	v_cndmask_b32_e64 v5, v10, v8, s[0:1]
	v_cndmask_b32_e32 v1, v1, v5, vcc
	v_cndmask_b32_e32 v4, v6, v7, vcc
	v_xor_b32_e32 v1, s10, v1
	v_xor_b32_e32 v5, s11, v4
	v_mov_b32_e32 v6, s11
	v_subrev_co_u32_e32 v4, vcc, s10, v1
	v_subb_co_u32_e32 v5, vcc, v5, v6, vcc
                                        ; implicit-def: $vgpr6_vgpr7
	s_andn2_saveexec_b64 s[0:1], s[6:7]
	s_cbranch_execz .LBB25_5
.LBB25_8:
	v_cvt_f32_u32_e32 v1, s2
	s_sub_i32 s6, 0, s2
	v_alignbit_b32 v4, v7, v6, 1
	v_rcp_iflag_f32_e32 v1, v1
	v_mul_f32_e32 v1, 0x4f7ffffe, v1
	v_cvt_u32_f32_e32 v1, v1
	v_mul_lo_u32 v5, s6, v1
	v_mul_hi_u32 v5, v1, v5
	v_add_u32_e32 v1, v1, v5
	v_mul_hi_u32 v1, v4, v1
	v_mul_lo_u32 v5, v1, s2
	v_sub_u32_e32 v4, v4, v5
	v_add_u32_e32 v6, 1, v1
	v_subrev_u32_e32 v5, s2, v4
	v_cmp_le_u32_e32 vcc, s2, v4
	v_cndmask_b32_e32 v4, v4, v5, vcc
	v_cndmask_b32_e32 v1, v1, v6, vcc
	v_add_u32_e32 v5, 1, v1
	v_cmp_le_u32_e32 vcc, s2, v4
	v_cndmask_b32_e32 v4, v1, v5, vcc
	v_mov_b32_e32 v5, 0
	s_or_b64 exec, exec, s[0:1]
	v_cmp_gt_i64_e32 vcc, s[8:9], v[4:5]
	s_and_saveexec_b64 s[0:1], vcc
	s_cbranch_execz .LBB25_6
.LBB25_9:
	s_load_dwordx2 s[0:1], s[4:5], 0x10
	v_mul_lo_u32 v1, v4, s2
	s_ashr_i32 s2, s3, 31
	v_mul_lo_u32 v6, v5, s3
	v_mul_lo_u32 v7, v4, s2
	v_mad_u64_u32 v[4:5], s[2:3], v4, s3, 0
	v_add3_u32 v5, v5, v7, v6
	v_sub_u32_e32 v1, v2, v1
	v_lshlrev_b64 v[4:5], 1, v[4:5]
	v_lshlrev_b32_e32 v6, 6, v1
	v_mov_b32_e32 v7, 0
	s_waitcnt lgkmcnt(0)
	v_mov_b32_e32 v1, s1
	v_add_co_u32_e32 v8, vcc, s0, v4
	v_addc_co_u32_e32 v1, vcc, v1, v5, vcc
	v_lshlrev_b64 v[4:5], 1, v[6:7]
	v_add_co_u32_e32 v4, vcc, v8, v4
	v_and_b32_e32 v40, 1, v0
	v_addc_co_u32_e32 v1, vcc, v1, v5, vcc
	v_lshlrev_b32_e32 v5, 6, v40
	v_add_co_u32_e32 v16, vcc, v4, v5
	v_addc_co_u32_e32 v17, vcc, 0, v1, vcc
	global_load_dwordx4 v[4:7], v[16:17], off
	global_load_dwordx4 v[8:11], v[16:17], off offset:16
	global_load_dwordx4 v[12:15], v[16:17], off offset:32
	;; [unrolled: 1-line block ×3, first 2 shown]
	s_mov_b32 s2, 0x2edbe6ff
	s_load_dwordx2 s[0:1], s[4:5], 0x0
	s_waitcnt vmcnt(3)
	v_cvt_f32_u32_sdwa v25, v4 dst_sel:DWORD dst_unused:UNUSED_PAD src0_sel:WORD_1
	v_cvt_f32_u32_sdwa v24, v4 dst_sel:DWORD dst_unused:UNUSED_PAD src0_sel:WORD_0
	v_cvt_f32_u32_sdwa v21, v5 dst_sel:DWORD dst_unused:UNUSED_PAD src0_sel:WORD_1
	v_cvt_f32_u32_sdwa v20, v5 dst_sel:DWORD dst_unused:UNUSED_PAD src0_sel:WORD_0
	;; [unrolled: 2-line block ×4, first 2 shown]
	s_waitcnt vmcnt(2)
	v_cvt_f32_u32_sdwa v29, v8 dst_sel:DWORD dst_unused:UNUSED_PAD src0_sel:WORD_1
	v_cvt_f32_u32_sdwa v28, v8 dst_sel:DWORD dst_unused:UNUSED_PAD src0_sel:WORD_0
	v_max3_f32 v1, v24, s2, v25
	v_cvt_f32_u32_sdwa v31, v9 dst_sel:DWORD dst_unused:UNUSED_PAD src0_sel:WORD_1
	v_cvt_f32_u32_sdwa v30, v9 dst_sel:DWORD dst_unused:UNUSED_PAD src0_sel:WORD_0
	v_max3_f32 v1, v1, v20, v21
	v_cvt_f32_u32_sdwa v33, v10 dst_sel:DWORD dst_unused:UNUSED_PAD src0_sel:WORD_1
	v_cvt_f32_u32_sdwa v32, v10 dst_sel:DWORD dst_unused:UNUSED_PAD src0_sel:WORD_0
	v_max3_f32 v1, v1, v22, v23
	v_cvt_f32_u32_sdwa v35, v11 dst_sel:DWORD dst_unused:UNUSED_PAD src0_sel:WORD_1
	v_cvt_f32_u32_sdwa v34, v11 dst_sel:DWORD dst_unused:UNUSED_PAD src0_sel:WORD_0
	v_max3_f32 v1, v1, v26, v27
	s_waitcnt vmcnt(1)
	v_cvt_f32_u32_sdwa v5, v12 dst_sel:DWORD dst_unused:UNUSED_PAD src0_sel:WORD_1
	v_cvt_f32_u32_sdwa v4, v12 dst_sel:DWORD dst_unused:UNUSED_PAD src0_sel:WORD_0
	v_max3_f32 v1, v1, v28, v29
	v_cvt_f32_u32_sdwa v7, v13 dst_sel:DWORD dst_unused:UNUSED_PAD src0_sel:WORD_1
	v_cvt_f32_u32_sdwa v6, v13 dst_sel:DWORD dst_unused:UNUSED_PAD src0_sel:WORD_0
	v_max3_f32 v1, v1, v30, v31
	v_cvt_f32_u32_sdwa v9, v14 dst_sel:DWORD dst_unused:UNUSED_PAD src0_sel:WORD_1
	v_cvt_f32_u32_sdwa v8, v14 dst_sel:DWORD dst_unused:UNUSED_PAD src0_sel:WORD_0
	v_max3_f32 v1, v1, v32, v33
	v_cvt_f32_u32_sdwa v11, v15 dst_sel:DWORD dst_unused:UNUSED_PAD src0_sel:WORD_1
	v_cvt_f32_u32_sdwa v10, v15 dst_sel:DWORD dst_unused:UNUSED_PAD src0_sel:WORD_0
	v_max3_f32 v1, v1, v34, v35
	;; [unrolled: 13-line block ×3, first 2 shown]
	v_max3_f32 v1, v1, v12, v13
	v_max3_f32 v1, v1, v14, v15
	v_max3_f32 v1, v1, v16, v17
	v_max3_f32 v1, v1, v18, v19
	s_nop 1
	v_mov_b32_dpp v36, v1 quad_perm:[1,0,3,2] row_mask:0xf bank_mask:0xf
	v_cmp_gt_f32_e32 vcc, v1, v36
	v_cndmask_b32_e32 v1, v36, v1, vcc
	v_mul_f32_e32 v1, 0x3c010204, v1
	v_cmp_eq_u32_e32 vcc, 0, v40
	s_and_saveexec_b64 s[2:3], vcc
	s_cbranch_execz .LBB25_11
; %bb.10:
	s_load_dwordx2 s[6:7], s[4:5], 0x8
	v_lshlrev_b64 v[36:37], 2, v[2:3]
	s_waitcnt lgkmcnt(0)
	v_mov_b32_e32 v3, s7
	v_add_co_u32_e32 v36, vcc, s6, v36
	v_addc_co_u32_e32 v37, vcc, v3, v37, vcc
	global_store_dword v[36:37], v1, off
.LBB25_11:
	s_or_b64 exec, exec, s[2:3]
	v_div_scale_f32 v3, s[2:3], v1, v1, 1.0
	v_rcp_f32_e32 v36, v3
	v_lshlrev_b32_e32 v2, 6, v2
	v_lshlrev_b32_e32 v0, 5, v0
	s_load_dword s2, s[4:5], 0x30
	v_fma_f32 v37, -v3, v36, 1.0
	v_fmac_f32_e32 v36, v37, v36
	v_div_scale_f32 v37, vcc, 1.0, v1, 1.0
	v_mul_f32_e32 v38, v37, v36
	v_fma_f32 v39, -v3, v38, v37
	v_fmac_f32_e32 v38, v39, v36
	v_fma_f32 v3, -v3, v38, v37
	v_div_fmas_f32 v3, v3, v36, v38
	v_div_fixup_f32 v36, v3, v1, 1.0
	v_and_or_b32 v38, v0, 32, v2
	v_mov_b32_e32 v37, v36
	;;#ASMSTART
	v_pk_mul_f32 v[0:1], v[24:25], v[36:37]
	;;#ASMEND
	v_cvt_i32_f32_e32 v2, v0
	v_cvt_i32_f32_sdwa v3, v1 dst_sel:BYTE_1 dst_unused:UNUSED_PAD src0_sel:DWORD
	;;#ASMSTART
	v_pk_mul_f32 v[0:1], v[20:21], v[36:37]
	;;#ASMEND
	v_cvt_i32_f32_e32 v20, v0
	v_cvt_i32_f32_sdwa v21, v1 dst_sel:BYTE_1 dst_unused:UNUSED_PAD src0_sel:DWORD
	;; [unrolled: 5-line block ×8, first 2 shown]
	v_or_b32_sdwa v0, v2, v3 dst_sel:DWORD dst_unused:UNUSED_PAD src0_sel:BYTE_0 src1_sel:DWORD
	v_or_b32_sdwa v1, v20, v21 dst_sel:WORD_1 dst_unused:UNUSED_PAD src0_sel:BYTE_0 src1_sel:DWORD
	v_or_b32_sdwa v0, v0, v1 dst_sel:DWORD dst_unused:UNUSED_PAD src0_sel:WORD_0 src1_sel:DWORD
	v_or_b32_sdwa v1, v22, v23 dst_sel:DWORD dst_unused:UNUSED_PAD src0_sel:BYTE_0 src1_sel:DWORD
	v_or_b32_sdwa v2, v24, v25 dst_sel:WORD_1 dst_unused:UNUSED_PAD src0_sel:BYTE_0 src1_sel:DWORD
	v_or_b32_sdwa v1, v1, v2 dst_sel:DWORD dst_unused:UNUSED_PAD src0_sel:WORD_0 src1_sel:DWORD
	;; [unrolled: 3-line block ×3, first 2 shown]
	v_or_b32_sdwa v3, v30, v31 dst_sel:DWORD dst_unused:UNUSED_PAD src0_sel:BYTE_0 src1_sel:DWORD
	v_or_b32_sdwa v20, v32, v33 dst_sel:WORD_1 dst_unused:UNUSED_PAD src0_sel:BYTE_0 src1_sel:DWORD
	s_waitcnt lgkmcnt(0)
	s_and_b32 s1, s1, 0xffff
	s_mov_b32 s3, 0x20000
	v_or_b32_sdwa v3, v3, v20 dst_sel:DWORD dst_unused:UNUSED_PAD src0_sel:WORD_0 src1_sel:DWORD
	buffer_store_dwordx4 v[0:3], v38, s[0:3], 0 offen
	;;#ASMSTART
	s_nop 0
	;;#ASMEND
	s_nop 0
	;;#ASMSTART
	v_pk_mul_f32 v[0:1], v[4:5], v[36:37]
	;;#ASMEND
	v_cvt_i32_f32_e32 v2, v0
	v_cvt_i32_f32_sdwa v3, v1 dst_sel:BYTE_1 dst_unused:UNUSED_PAD src0_sel:DWORD
	;;#ASMSTART
	v_pk_mul_f32 v[0:1], v[6:7], v[36:37]
	;;#ASMEND
	v_cvt_i32_f32_e32 v4, v0
	v_cvt_i32_f32_sdwa v5, v1 dst_sel:BYTE_1 dst_unused:UNUSED_PAD src0_sel:DWORD
	;; [unrolled: 5-line block ×8, first 2 shown]
	v_or_b32_sdwa v0, v2, v3 dst_sel:DWORD dst_unused:UNUSED_PAD src0_sel:BYTE_0 src1_sel:DWORD
	v_or_b32_sdwa v1, v4, v5 dst_sel:WORD_1 dst_unused:UNUSED_PAD src0_sel:BYTE_0 src1_sel:DWORD
	v_or_b32_sdwa v0, v0, v1 dst_sel:DWORD dst_unused:UNUSED_PAD src0_sel:WORD_0 src1_sel:DWORD
	v_or_b32_sdwa v1, v6, v7 dst_sel:DWORD dst_unused:UNUSED_PAD src0_sel:BYTE_0 src1_sel:DWORD
	v_or_b32_sdwa v2, v8, v9 dst_sel:WORD_1 dst_unused:UNUSED_PAD src0_sel:BYTE_0 src1_sel:DWORD
	v_or_b32_sdwa v1, v1, v2 dst_sel:DWORD dst_unused:UNUSED_PAD src0_sel:WORD_0 src1_sel:DWORD
	;; [unrolled: 3-line block ×4, first 2 shown]
	buffer_store_dwordx4 v[0:3], v38, s[0:3], 16 offen
	;;#ASMSTART
	s_nop 0
	;;#ASMEND
	s_endpgm
	.section	.rodata,"a",@progbits
	.p2align	6, 0x0
	.amdhsa_kernel _ZN5aiter37dynamic_per_group_scaled_quant_kernelItaLi32ELi64ELb0ELi64ELb0EEEvPT0_PfPKT_PKfliilPKii
		.amdhsa_group_segment_fixed_size 0
		.amdhsa_private_segment_fixed_size 0
		.amdhsa_kernarg_size 68
		.amdhsa_user_sgpr_count 6
		.amdhsa_user_sgpr_private_segment_buffer 1
		.amdhsa_user_sgpr_dispatch_ptr 0
		.amdhsa_user_sgpr_queue_ptr 0
		.amdhsa_user_sgpr_kernarg_segment_ptr 1
		.amdhsa_user_sgpr_dispatch_id 0
		.amdhsa_user_sgpr_flat_scratch_init 0
		.amdhsa_user_sgpr_kernarg_preload_length 0
		.amdhsa_user_sgpr_kernarg_preload_offset 0
		.amdhsa_user_sgpr_private_segment_size 0
		.amdhsa_uses_dynamic_stack 0
		.amdhsa_system_sgpr_private_segment_wavefront_offset 0
		.amdhsa_system_sgpr_workgroup_id_x 1
		.amdhsa_system_sgpr_workgroup_id_y 0
		.amdhsa_system_sgpr_workgroup_id_z 0
		.amdhsa_system_sgpr_workgroup_info 0
		.amdhsa_system_vgpr_workitem_id 0
		.amdhsa_next_free_vgpr 41
		.amdhsa_next_free_sgpr 14
		.amdhsa_accum_offset 44
		.amdhsa_reserve_vcc 1
		.amdhsa_reserve_flat_scratch 0
		.amdhsa_float_round_mode_32 0
		.amdhsa_float_round_mode_16_64 0
		.amdhsa_float_denorm_mode_32 3
		.amdhsa_float_denorm_mode_16_64 3
		.amdhsa_dx10_clamp 1
		.amdhsa_ieee_mode 1
		.amdhsa_fp16_overflow 0
		.amdhsa_tg_split 0
		.amdhsa_exception_fp_ieee_invalid_op 0
		.amdhsa_exception_fp_denorm_src 0
		.amdhsa_exception_fp_ieee_div_zero 0
		.amdhsa_exception_fp_ieee_overflow 0
		.amdhsa_exception_fp_ieee_underflow 0
		.amdhsa_exception_fp_ieee_inexact 0
		.amdhsa_exception_int_div_zero 0
	.end_amdhsa_kernel
	.section	.text._ZN5aiter37dynamic_per_group_scaled_quant_kernelItaLi32ELi64ELb0ELi64ELb0EEEvPT0_PfPKT_PKfliilPKii,"axG",@progbits,_ZN5aiter37dynamic_per_group_scaled_quant_kernelItaLi32ELi64ELb0ELi64ELb0EEEvPT0_PfPKT_PKfliilPKii,comdat
.Lfunc_end25:
	.size	_ZN5aiter37dynamic_per_group_scaled_quant_kernelItaLi32ELi64ELb0ELi64ELb0EEEvPT0_PfPKT_PKfliilPKii, .Lfunc_end25-_ZN5aiter37dynamic_per_group_scaled_quant_kernelItaLi32ELi64ELb0ELi64ELb0EEEvPT0_PfPKT_PKfliilPKii
                                        ; -- End function
	.section	.AMDGPU.csdata,"",@progbits
; Kernel info:
; codeLenInByte = 2280
; NumSgprs: 18
; NumVgprs: 41
; NumAgprs: 0
; TotalNumVgprs: 41
; ScratchSize: 0
; MemoryBound: 0
; FloatMode: 240
; IeeeMode: 1
; LDSByteSize: 0 bytes/workgroup (compile time only)
; SGPRBlocks: 2
; VGPRBlocks: 5
; NumSGPRsForWavesPerEU: 18
; NumVGPRsForWavesPerEU: 41
; AccumOffset: 44
; Occupancy: 8
; WaveLimiterHint : 0
; COMPUTE_PGM_RSRC2:SCRATCH_EN: 0
; COMPUTE_PGM_RSRC2:USER_SGPR: 6
; COMPUTE_PGM_RSRC2:TRAP_HANDLER: 0
; COMPUTE_PGM_RSRC2:TGID_X_EN: 1
; COMPUTE_PGM_RSRC2:TGID_Y_EN: 0
; COMPUTE_PGM_RSRC2:TGID_Z_EN: 0
; COMPUTE_PGM_RSRC2:TIDIG_COMP_CNT: 0
; COMPUTE_PGM_RSRC3_GFX90A:ACCUM_OFFSET: 10
; COMPUTE_PGM_RSRC3_GFX90A:TG_SPLIT: 0
	.section	.text._ZN5aiter37dynamic_per_group_scaled_quant_kernelIDF16_DB8_Li32ELi128ELb1ELi64ELb0EEEvPT0_PfPKT_PKfliilPKii,"axG",@progbits,_ZN5aiter37dynamic_per_group_scaled_quant_kernelIDF16_DB8_Li32ELi128ELb1ELi64ELb0EEEvPT0_PfPKT_PKfliilPKii,comdat
	.protected	_ZN5aiter37dynamic_per_group_scaled_quant_kernelIDF16_DB8_Li32ELi128ELb1ELi64ELb0EEEvPT0_PfPKT_PKfliilPKii ; -- Begin function _ZN5aiter37dynamic_per_group_scaled_quant_kernelIDF16_DB8_Li32ELi128ELb1ELi64ELb0EEEvPT0_PfPKT_PKfliilPKii
	.globl	_ZN5aiter37dynamic_per_group_scaled_quant_kernelIDF16_DB8_Li32ELi128ELb1ELi64ELb0EEEvPT0_PfPKT_PKfliilPKii
	.p2align	8
	.type	_ZN5aiter37dynamic_per_group_scaled_quant_kernelIDF16_DB8_Li32ELi128ELb1ELi64ELb0EEEvPT0_PfPKT_PKfliilPKii,@function
_ZN5aiter37dynamic_per_group_scaled_quant_kernelIDF16_DB8_Li32ELi128ELb1ELi64ELb0EEEvPT0_PfPKT_PKfliilPKii: ; @_ZN5aiter37dynamic_per_group_scaled_quant_kernelIDF16_DB8_Li32ELi128ELb1ELi64ELb0EEEvPT0_PfPKT_PKfliilPKii
; %bb.0:
	s_load_dwordx2 s[0:1], s[4:5], 0x38
	s_waitcnt lgkmcnt(0)
	s_cmp_eq_u64 s[0:1], 0
	s_cbranch_scc1 .LBB26_2
; %bb.1:
	s_load_dword s2, s[4:5], 0x40
	s_load_dword s7, s[0:1], 0x0
	s_waitcnt lgkmcnt(0)
	s_mul_hi_i32 s3, s7, s2
	s_mul_i32 s2, s7, s2
	s_branch .LBB26_3
.LBB26_2:
	s_load_dwordx2 s[2:3], s[4:5], 0x20
.LBB26_3:
	s_load_dwordx2 s[8:9], s[4:5], 0x28
	s_mov_b32 s7, 0
	s_lshl_b64 s[0:1], s[6:7], 6
	v_or_b32_e32 v2, s0, v0
	v_mov_b32_e32 v3, s1
	s_waitcnt lgkmcnt(0)
	s_ashr_i32 s0, s8, 31
	s_lshr_b32 s0, s0, 25
	s_add_i32 s0, s8, s0
	s_ashr_i32 s8, s0, 7
	v_lshrrev_b64 v[18:19], 2, v[2:3]
	s_ashr_i32 s14, s8, 31
	v_or_b32_e32 v5, s14, v19
	v_mov_b32_e32 v4, 0
	v_cmp_ne_u64_e32 vcc, 0, v[4:5]
                                        ; implicit-def: $vgpr20_vgpr21
	s_and_saveexec_b64 s[0:1], vcc
	s_xor_b64 s[6:7], exec, s[0:1]
	s_cbranch_execnz .LBB26_7
; %bb.4:
	s_andn2_saveexec_b64 s[0:1], s[6:7]
	s_cbranch_execnz .LBB26_8
.LBB26_5:
	s_or_b64 exec, exec, s[0:1]
	v_cmp_gt_i64_e32 vcc, s[2:3], v[20:21]
	s_and_saveexec_b64 s[0:1], vcc
	s_cbranch_execnz .LBB26_9
.LBB26_6:
	s_endpgm
.LBB26_7:
	s_add_u32 s0, s8, s14
	s_mov_b32 s10, s14
	s_mov_b32 s11, s14
	s_addc_u32 s1, s14, s14
	s_xor_b64 s[12:13], s[0:1], s[10:11]
	v_cvt_f32_u32_e32 v1, s12
	v_cvt_f32_u32_e32 v2, s13
	s_sub_u32 s0, 0, s12
	s_subb_u32 s1, 0, s13
	v_madmk_f32 v1, v2, 0x4f800000, v1
	v_rcp_f32_e32 v1, v1
	v_mul_f32_e32 v1, 0x5f7ffffc, v1
	v_mul_f32_e32 v2, 0x2f800000, v1
	v_trunc_f32_e32 v2, v2
	v_madmk_f32 v1, v2, 0xcf800000, v1
	v_cvt_u32_f32_e32 v2, v2
	v_cvt_u32_f32_e32 v1, v1
	v_mul_lo_u32 v3, s0, v2
	v_mul_hi_u32 v5, s0, v1
	v_mul_lo_u32 v4, s1, v1
	v_add_u32_e32 v3, v5, v3
	v_mul_lo_u32 v6, s0, v1
	v_add_u32_e32 v3, v3, v4
	v_mul_lo_u32 v5, v1, v3
	v_mul_hi_u32 v7, v1, v6
	v_mul_hi_u32 v4, v1, v3
	v_add_co_u32_e32 v5, vcc, v7, v5
	v_addc_co_u32_e32 v4, vcc, 0, v4, vcc
	v_mul_hi_u32 v8, v2, v6
	v_mul_lo_u32 v6, v2, v6
	v_add_co_u32_e32 v5, vcc, v5, v6
	v_mul_hi_u32 v7, v2, v3
	v_addc_co_u32_e32 v4, vcc, v4, v8, vcc
	v_addc_co_u32_e32 v5, vcc, 0, v7, vcc
	v_mul_lo_u32 v3, v2, v3
	v_add_co_u32_e32 v3, vcc, v4, v3
	v_addc_co_u32_e32 v4, vcc, 0, v5, vcc
	v_add_co_u32_e32 v1, vcc, v1, v3
	v_addc_co_u32_e32 v2, vcc, v2, v4, vcc
	v_mul_lo_u32 v3, s0, v2
	v_mul_hi_u32 v4, s0, v1
	v_add_u32_e32 v3, v4, v3
	v_mul_lo_u32 v4, s1, v1
	v_add_u32_e32 v3, v3, v4
	v_mul_lo_u32 v5, s0, v1
	v_mul_hi_u32 v6, v2, v5
	v_mul_lo_u32 v7, v2, v5
	v_mul_lo_u32 v9, v1, v3
	v_mul_hi_u32 v5, v1, v5
	v_mul_hi_u32 v8, v1, v3
	v_add_co_u32_e32 v5, vcc, v5, v9
	v_addc_co_u32_e32 v8, vcc, 0, v8, vcc
	v_add_co_u32_e32 v5, vcc, v5, v7
	v_mul_hi_u32 v4, v2, v3
	v_addc_co_u32_e32 v5, vcc, v8, v6, vcc
	v_addc_co_u32_e32 v4, vcc, 0, v4, vcc
	v_mul_lo_u32 v3, v2, v3
	v_add_co_u32_e32 v3, vcc, v5, v3
	v_addc_co_u32_e32 v4, vcc, 0, v4, vcc
	v_add_co_u32_e32 v1, vcc, v1, v3
	v_addc_co_u32_e32 v4, vcc, v2, v4, vcc
	v_mad_u64_u32 v[2:3], s[0:1], v18, v4, 0
	v_mul_hi_u32 v5, v18, v1
	v_add_co_u32_e32 v6, vcc, v5, v2
	v_addc_co_u32_e32 v7, vcc, 0, v3, vcc
	v_mad_u64_u32 v[2:3], s[0:1], v19, v4, 0
	v_mad_u64_u32 v[4:5], s[0:1], v19, v1, 0
	v_add_co_u32_e32 v1, vcc, v6, v4
	v_addc_co_u32_e32 v1, vcc, v7, v5, vcc
	v_addc_co_u32_e32 v3, vcc, 0, v3, vcc
	v_add_co_u32_e32 v1, vcc, v1, v2
	v_addc_co_u32_e32 v4, vcc, 0, v3, vcc
	v_mul_lo_u32 v5, s13, v1
	v_mul_lo_u32 v6, s12, v4
	v_mad_u64_u32 v[2:3], s[0:1], s12, v1, 0
	v_add3_u32 v3, v3, v6, v5
	v_sub_u32_e32 v5, v19, v3
	v_mov_b32_e32 v6, s13
	v_sub_co_u32_e32 v2, vcc, v18, v2
	v_subb_co_u32_e64 v5, s[0:1], v5, v6, vcc
	v_subrev_co_u32_e64 v6, s[0:1], s12, v2
	v_subbrev_co_u32_e64 v5, s[0:1], 0, v5, s[0:1]
	v_cmp_le_u32_e64 s[0:1], s13, v5
	v_cndmask_b32_e64 v7, 0, -1, s[0:1]
	v_cmp_le_u32_e64 s[0:1], s12, v6
	v_cndmask_b32_e64 v6, 0, -1, s[0:1]
	v_cmp_eq_u32_e64 s[0:1], s13, v5
	v_cndmask_b32_e64 v5, v7, v6, s[0:1]
	v_add_co_u32_e64 v6, s[0:1], 2, v1
	v_addc_co_u32_e64 v7, s[0:1], 0, v4, s[0:1]
	v_add_co_u32_e64 v8, s[0:1], 1, v1
	v_addc_co_u32_e64 v9, s[0:1], 0, v4, s[0:1]
	v_subb_co_u32_e32 v3, vcc, v19, v3, vcc
	v_cmp_ne_u32_e64 s[0:1], 0, v5
	v_cmp_le_u32_e32 vcc, s13, v3
	v_cndmask_b32_e64 v5, v9, v7, s[0:1]
	v_cndmask_b32_e64 v7, 0, -1, vcc
	v_cmp_le_u32_e32 vcc, s12, v2
	v_cndmask_b32_e64 v2, 0, -1, vcc
	v_cmp_eq_u32_e32 vcc, s13, v3
	v_cndmask_b32_e32 v2, v7, v2, vcc
	v_cmp_ne_u32_e32 vcc, 0, v2
	v_cndmask_b32_e64 v3, v8, v6, s[0:1]
	v_cndmask_b32_e32 v1, v1, v3, vcc
	v_cndmask_b32_e32 v2, v4, v5, vcc
	v_xor_b32_e32 v1, s10, v1
	v_xor_b32_e32 v2, s11, v2
	v_mov_b32_e32 v3, s14
	v_subrev_co_u32_e32 v20, vcc, s10, v1
	v_subb_co_u32_e32 v21, vcc, v2, v3, vcc
                                        ; implicit-def: $vgpr2_vgpr3
	s_andn2_saveexec_b64 s[0:1], s[6:7]
	s_cbranch_execz .LBB26_5
.LBB26_8:
	v_cvt_f32_u32_e32 v1, s8
	s_sub_i32 s6, 0, s8
	v_alignbit_b32 v2, v3, v2, 2
	v_mov_b32_e32 v21, 0
	v_rcp_iflag_f32_e32 v1, v1
	v_mul_f32_e32 v1, 0x4f7ffffe, v1
	v_cvt_u32_f32_e32 v1, v1
	v_mul_lo_u32 v3, s6, v1
	v_mul_hi_u32 v3, v1, v3
	v_add_u32_e32 v1, v1, v3
	v_mul_hi_u32 v1, v2, v1
	v_mul_lo_u32 v3, v1, s8
	v_sub_u32_e32 v2, v2, v3
	v_add_u32_e32 v4, 1, v1
	v_subrev_u32_e32 v3, s8, v2
	v_cmp_le_u32_e32 vcc, s8, v2
	v_cndmask_b32_e32 v2, v2, v3, vcc
	v_cndmask_b32_e32 v1, v1, v4, vcc
	v_add_u32_e32 v3, 1, v1
	v_cmp_le_u32_e32 vcc, s8, v2
	v_cndmask_b32_e32 v20, v1, v3, vcc
	s_or_b64 exec, exec, s[0:1]
	v_cmp_gt_i64_e32 vcc, s[2:3], v[20:21]
	s_and_saveexec_b64 s[0:1], vcc
	s_cbranch_execz .LBB26_6
.LBB26_9:
	s_load_dwordx2 s[0:1], s[4:5], 0x10
	v_mul_lo_u32 v1, v21, s8
	v_mul_lo_u32 v4, v20, s14
	v_mad_u64_u32 v[2:3], s[6:7], v20, s8, 0
	v_add3_u32 v3, v3, v4, v1
	v_sub_co_u32_e32 v1, vcc, v18, v2
	s_ashr_i32 s6, s9, 31
	v_subb_co_u32_e32 v19, vcc, v19, v3, vcc
	v_mul_lo_u32 v4, v21, s9
	v_mul_lo_u32 v5, v20, s6
	v_mad_u64_u32 v[2:3], s[6:7], v20, s9, 0
	v_add3_u32 v3, v3, v5, v4
	v_lshlrev_b64 v[2:3], 1, v[2:3]
	v_lshlrev_b32_e32 v4, 7, v1
	v_mov_b32_e32 v5, 0
	s_waitcnt lgkmcnt(0)
	v_mov_b32_e32 v6, s1
	v_add_co_u32_e32 v7, vcc, s0, v2
	v_addc_co_u32_e32 v6, vcc, v6, v3, vcc
	v_lshlrev_b64 v[2:3], 1, v[4:5]
	v_add_co_u32_e32 v2, vcc, v7, v2
	v_and_b32_e32 v24, 3, v0
	v_addc_co_u32_e32 v3, vcc, v6, v3, vcc
	v_lshlrev_b32_e32 v4, 6, v24
	v_add_co_u32_e32 v22, vcc, v2, v4
	v_addc_co_u32_e32 v23, vcc, 0, v3, vcc
	global_load_dwordx4 v[14:17], v[22:23], off
	global_load_dwordx4 v[10:13], v[22:23], off offset:16
	global_load_dwordx4 v[6:9], v[22:23], off offset:32
	;; [unrolled: 1-line block ×3, first 2 shown]
	s_mov_b32 s6, 0x2edbe6ff
	s_load_dwordx2 s[0:1], s[4:5], 0x0
	s_waitcnt vmcnt(3)
	v_cvt_f32_f16_e64 v22, |v14|
	v_cvt_f32_f16_sdwa v23, |v14| dst_sel:DWORD dst_unused:UNUSED_PAD src0_sel:WORD_1
	v_cvt_f32_f16_e64 v25, |v15|
	v_cvt_f32_f16_sdwa v26, |v15| dst_sel:DWORD dst_unused:UNUSED_PAD src0_sel:WORD_1
	v_cvt_f32_f16_e64 v27, |v16|
	v_cvt_f32_f16_sdwa v28, |v16| dst_sel:DWORD dst_unused:UNUSED_PAD src0_sel:WORD_1
	v_cvt_f32_f16_e64 v29, |v17|
	v_cvt_f32_f16_sdwa v30, |v17| dst_sel:DWORD dst_unused:UNUSED_PAD src0_sel:WORD_1
	s_waitcnt vmcnt(2)
	v_cvt_f32_f16_e64 v31, |v10|
	v_cvt_f32_f16_sdwa v32, |v10| dst_sel:DWORD dst_unused:UNUSED_PAD src0_sel:WORD_1
	v_max3_f32 v22, v22, s6, v23
	v_cvt_f32_f16_e64 v33, |v11|
	v_cvt_f32_f16_sdwa v34, |v11| dst_sel:DWORD dst_unused:UNUSED_PAD src0_sel:WORD_1
	v_max3_f32 v22, v22, v25, v26
	v_cvt_f32_f16_e64 v35, |v12|
	v_cvt_f32_f16_sdwa v36, |v12| dst_sel:DWORD dst_unused:UNUSED_PAD src0_sel:WORD_1
	v_max3_f32 v22, v22, v27, v28
	v_cvt_f32_f16_e64 v37, |v13|
	v_cvt_f32_f16_sdwa v38, |v13| dst_sel:DWORD dst_unused:UNUSED_PAD src0_sel:WORD_1
	v_max3_f32 v22, v22, v29, v30
	s_waitcnt vmcnt(1)
	v_cvt_f32_f16_e64 v39, |v6|
	v_cvt_f32_f16_sdwa v40, |v6| dst_sel:DWORD dst_unused:UNUSED_PAD src0_sel:WORD_1
	v_max3_f32 v22, v22, v31, v32
	v_cvt_f32_f16_e64 v41, |v7|
	v_cvt_f32_f16_sdwa v42, |v7| dst_sel:DWORD dst_unused:UNUSED_PAD src0_sel:WORD_1
	v_max3_f32 v22, v22, v33, v34
	v_cvt_f32_f16_e64 v43, |v8|
	v_cvt_f32_f16_sdwa v44, |v8| dst_sel:DWORD dst_unused:UNUSED_PAD src0_sel:WORD_1
	v_max3_f32 v22, v22, v35, v36
	v_cvt_f32_f16_e64 v45, |v9|
	v_cvt_f32_f16_sdwa v46, |v9| dst_sel:DWORD dst_unused:UNUSED_PAD src0_sel:WORD_1
	v_max3_f32 v22, v22, v37, v38
	;; [unrolled: 13-line block ×3, first 2 shown]
	v_max3_f32 v22, v22, v47, v48
	v_max3_f32 v22, v22, v49, v50
	;; [unrolled: 1-line block ×4, first 2 shown]
	s_nop 1
	v_mov_b32_dpp v23, v22 quad_perm:[1,0,3,2] row_mask:0xf bank_mask:0xf
	v_cmp_gt_f32_e32 vcc, v22, v23
	v_cndmask_b32_e32 v22, v23, v22, vcc
	s_nop 1
	v_mov_b32_dpp v23, v22 quad_perm:[2,3,0,1] row_mask:0xf bank_mask:0xf
	v_cmp_gt_f32_e32 vcc, v22, v23
	v_cndmask_b32_e32 v22, v23, v22, vcc
	v_mul_f32_e32 v22, 0x3b124925, v22
	v_cmp_eq_u32_e32 vcc, 0, v24
	s_and_saveexec_b64 s[6:7], vcc
	s_cbranch_execz .LBB26_11
; %bb.10:
	s_load_dwordx2 s[8:9], s[4:5], 0x8
	v_mul_lo_u32 v19, v19, s2
	v_mul_lo_u32 v23, v1, s3
	v_mad_u64_u32 v[24:25], s[2:3], v1, s2, 0
	v_add3_u32 v25, v25, v23, v19
	v_lshlrev_b64 v[24:25], 2, v[24:25]
	s_waitcnt lgkmcnt(0)
	v_mov_b32_e32 v1, s9
	v_add_co_u32_e32 v19, vcc, s8, v24
	v_addc_co_u32_e32 v1, vcc, v1, v25, vcc
	v_lshlrev_b64 v[20:21], 2, v[20:21]
	v_add_co_u32_e32 v20, vcc, v19, v20
	v_addc_co_u32_e32 v21, vcc, v1, v21, vcc
	global_store_dword v[20:21], v22, off
.LBB26_11:
	s_or_b64 exec, exec, s[6:7]
	v_div_scale_f32 v1, s[2:3], v22, v22, 1.0
	v_rcp_f32_e32 v19, v1
	v_lshlrev_b32_e32 v20, 7, v18
	v_lshlrev_b32_e32 v0, 5, v0
	s_load_dword s2, s[4:5], 0x30
	v_fma_f32 v18, -v1, v19, 1.0
	v_fmac_f32_e32 v19, v18, v19
	v_div_scale_f32 v18, vcc, 1.0, v22, 1.0
	v_mul_f32_e32 v21, v18, v19
	v_fma_f32 v23, -v1, v21, v18
	v_fmac_f32_e32 v21, v23, v19
	v_fma_f32 v1, -v1, v21, v18
	v_div_fmas_f32 v1, v1, v19, v21
	s_movk_i32 s4, 0x60
	v_div_fixup_f32 v18, v1, v22, 1.0
	v_and_or_b32 v30, v0, s4, v20
	v_cvt_f32_f16_e32 v0, v14
	v_cvt_f32_f16_sdwa v1, v14 dst_sel:DWORD dst_unused:UNUSED_PAD src0_sel:WORD_1
	v_mov_b32_e32 v19, v18
	;;#ASMSTART
	v_pk_mul_f32 v[0:1], v[0:1], v[18:19]
	;;#ASMEND
	v_cvt_f32_f16_e32 v22, v10
	v_cvt_f32_f16_sdwa v23, v10 dst_sel:DWORD dst_unused:UNUSED_PAD src0_sel:WORD_1
	v_mov_b32_e32 v31, 0xc3e00000
	v_mov_b32_e32 v32, 0x43e00000
	;;#ASMSTART
	v_med3_f32 v0, v0, v31, v32
v_med3_f32 v1, v1, v31, v32
v_cvt_pk_fp8_f32 v10, v0, v1
	;;#ASMEND
	v_cvt_f32_f16_e32 v14, v15
	v_cvt_f32_f16_sdwa v15, v15 dst_sel:DWORD dst_unused:UNUSED_PAD src0_sel:WORD_1
	;;#ASMSTART
	v_pk_mul_f32 v[0:1], v[14:15], v[18:19]
	;;#ASMEND
	v_cvt_f32_f16_e32 v24, v11
	v_cvt_f32_f16_sdwa v25, v11 dst_sel:DWORD dst_unused:UNUSED_PAD src0_sel:WORD_1
	;;#ASMSTART
	v_med3_f32 v0, v0, v31, v32
v_med3_f32 v1, v1, v31, v32
v_cvt_pk_fp8_f32 v11, v0, v1
	;;#ASMEND
	s_mov_b32 s4, 0x5040100
	v_perm_b32 v0, v11, v10, s4
	s_mov_b32 s5, 0x1060504
	v_cvt_f32_f16_e32 v20, v16
	v_cvt_f32_f16_sdwa v21, v16 dst_sel:DWORD dst_unused:UNUSED_PAD src0_sel:WORD_1
	v_perm_b32 v10, v0, v11, s5
	;;#ASMSTART
	v_pk_mul_f32 v[0:1], v[20:21], v[18:19]
	;;#ASMEND
	;;#ASMSTART
	v_med3_f32 v0, v0, v31, v32
v_med3_f32 v1, v1, v31, v32
v_cvt_pk_fp8_f32 v11, v0, v1
	;;#ASMEND
	v_cvt_f32_f16_e32 v16, v17
	v_cvt_f32_f16_sdwa v17, v17 dst_sel:DWORD dst_unused:UNUSED_PAD src0_sel:WORD_1
	;;#ASMSTART
	v_pk_mul_f32 v[0:1], v[16:17], v[18:19]
	;;#ASMEND
	v_cvt_f32_f16_e32 v26, v12
	v_cvt_f32_f16_sdwa v27, v12 dst_sel:DWORD dst_unused:UNUSED_PAD src0_sel:WORD_1
	;;#ASMSTART
	v_med3_f32 v0, v0, v31, v32
v_med3_f32 v1, v1, v31, v32
v_cvt_pk_fp8_f32 v12, v0, v1
	;;#ASMEND
	s_mov_b32 s6, 0x1000504
	;;#ASMSTART
	v_pk_mul_f32 v[0:1], v[22:23], v[18:19]
	;;#ASMEND
	v_perm_b32 v11, v11, v12, s6
	;;#ASMSTART
	v_med3_f32 v0, v0, v31, v32
v_med3_f32 v1, v1, v31, v32
v_cvt_pk_fp8_f32 v12, v0, v1
	;;#ASMEND
	;;#ASMSTART
	v_pk_mul_f32 v[0:1], v[24:25], v[18:19]
	;;#ASMEND
	v_cvt_f32_f16_e32 v28, v13
	v_cvt_f32_f16_sdwa v29, v13 dst_sel:DWORD dst_unused:UNUSED_PAD src0_sel:WORD_1
	;;#ASMSTART
	v_med3_f32 v0, v0, v31, v32
v_med3_f32 v1, v1, v31, v32
v_cvt_pk_fp8_f32 v13, v0, v1
	;;#ASMEND
	;;#ASMSTART
	v_pk_mul_f32 v[0:1], v[26:27], v[18:19]
	;;#ASMEND
	v_perm_b32 v12, v12, v13, s6
	;;#ASMSTART
	v_med3_f32 v0, v0, v31, v32
v_med3_f32 v1, v1, v31, v32
v_cvt_pk_fp8_f32 v13, v0, v1
	;;#ASMEND
	;;#ASMSTART
	v_pk_mul_f32 v[0:1], v[28:29], v[18:19]
	;;#ASMEND
	;;#ASMSTART
	v_med3_f32 v0, v0, v31, v32
v_med3_f32 v1, v1, v31, v32
v_cvt_pk_fp8_f32 v14, v0, v1
	;;#ASMEND
	s_waitcnt lgkmcnt(0)
	s_and_b32 s1, s1, 0xffff
	s_mov_b32 s3, 0x20000
	v_perm_b32 v13, v13, v14, s6
	v_cvt_f32_f16_e32 v0, v6
	v_cvt_f32_f16_sdwa v1, v6 dst_sel:DWORD dst_unused:UNUSED_PAD src0_sel:WORD_1
	buffer_store_dwordx4 v[10:13], v30, s[0:3], 0 offen
	;;#ASMSTART
	s_nop 0
	;;#ASMEND
	;;#ASMSTART
	v_pk_mul_f32 v[0:1], v[0:1], v[18:19]
	;;#ASMEND
	;;#ASMSTART
	v_med3_f32 v0, v0, v31, v32
v_med3_f32 v1, v1, v31, v32
v_cvt_pk_fp8_f32 v16, v0, v1
	;;#ASMEND
	v_cvt_f32_f16_e32 v6, v7
	v_cvt_f32_f16_sdwa v7, v7 dst_sel:DWORD dst_unused:UNUSED_PAD src0_sel:WORD_1
	;;#ASMSTART
	v_pk_mul_f32 v[0:1], v[6:7], v[18:19]
	;;#ASMEND
	;;#ASMSTART
	v_med3_f32 v0, v0, v31, v32
v_med3_f32 v1, v1, v31, v32
v_cvt_pk_fp8_f32 v6, v0, v1
	;;#ASMEND
	v_perm_b32 v0, v6, v16, s4
	v_cvt_f32_f16_e32 v10, v8
	v_cvt_f32_f16_sdwa v11, v8 dst_sel:DWORD dst_unused:UNUSED_PAD src0_sel:WORD_1
	v_perm_b32 v0, v0, v6, s5
	;;#ASMSTART
	v_pk_mul_f32 v[6:7], v[10:11], v[18:19]
	;;#ASMEND
	v_mov_b32_e32 v1, v6
	;;#ASMSTART
	v_med3_f32 v1, v1, v31, v32
v_med3_f32 v7, v7, v31, v32
v_cvt_pk_fp8_f32 v10, v1, v7
	;;#ASMEND
	v_cvt_f32_f16_e32 v8, v9
	v_cvt_f32_f16_sdwa v9, v9 dst_sel:DWORD dst_unused:UNUSED_PAD src0_sel:WORD_1
	;;#ASMSTART
	v_pk_mul_f32 v[6:7], v[8:9], v[18:19]
	;;#ASMEND
	v_mov_b32_e32 v1, v7
	;;#ASMSTART
	v_med3_f32 v6, v6, v31, v32
v_med3_f32 v1, v1, v31, v32
v_cvt_pk_fp8_f32 v7, v6, v1
	;;#ASMEND
	v_cvt_f32_f16_e32 v12, v2
	v_cvt_f32_f16_sdwa v13, v2 dst_sel:DWORD dst_unused:UNUSED_PAD src0_sel:WORD_1
	v_cvt_f32_f16_e32 v2, v3
	v_cvt_f32_f16_sdwa v3, v3 dst_sel:DWORD dst_unused:UNUSED_PAD src0_sel:WORD_1
	v_perm_b32 v1, v10, v7, s6
	;;#ASMSTART
	v_pk_mul_f32 v[6:7], v[12:13], v[18:19]
	;;#ASMEND
	;;#ASMSTART
	v_med3_f32 v6, v6, v31, v32
v_med3_f32 v7, v7, v31, v32
v_cvt_pk_fp8_f32 v8, v6, v7
	;;#ASMEND
	;;#ASMSTART
	v_pk_mul_f32 v[2:3], v[2:3], v[18:19]
	;;#ASMEND
	;;#ASMSTART
	v_med3_f32 v2, v2, v31, v32
v_med3_f32 v3, v3, v31, v32
v_cvt_pk_fp8_f32 v6, v2, v3
	;;#ASMEND
	v_cvt_f32_f16_e32 v14, v4
	v_cvt_f32_f16_sdwa v15, v4 dst_sel:DWORD dst_unused:UNUSED_PAD src0_sel:WORD_1
	v_perm_b32 v2, v8, v6, s6
	;;#ASMSTART
	v_pk_mul_f32 v[6:7], v[14:15], v[18:19]
	;;#ASMEND
	v_mov_b32_e32 v3, v6
	v_cvt_f32_f16_e32 v4, v5
	v_cvt_f32_f16_sdwa v5, v5 dst_sel:DWORD dst_unused:UNUSED_PAD src0_sel:WORD_1
	;;#ASMSTART
	v_med3_f32 v3, v3, v31, v32
v_med3_f32 v7, v7, v31, v32
v_cvt_pk_fp8_f32 v6, v3, v7
	;;#ASMEND
	;;#ASMSTART
	v_pk_mul_f32 v[4:5], v[4:5], v[18:19]
	;;#ASMEND
	v_mov_b32_e32 v3, v5
	;;#ASMSTART
	v_med3_f32 v4, v4, v31, v32
v_med3_f32 v3, v3, v31, v32
v_cvt_pk_fp8_f32 v5, v4, v3
	;;#ASMEND
	v_perm_b32 v3, v6, v5, s6
	buffer_store_dwordx4 v[0:3], v30, s[0:3], 16 offen
	;;#ASMSTART
	s_nop 0
	;;#ASMEND
	s_endpgm
	.section	.rodata,"a",@progbits
	.p2align	6, 0x0
	.amdhsa_kernel _ZN5aiter37dynamic_per_group_scaled_quant_kernelIDF16_DB8_Li32ELi128ELb1ELi64ELb0EEEvPT0_PfPKT_PKfliilPKii
		.amdhsa_group_segment_fixed_size 0
		.amdhsa_private_segment_fixed_size 0
		.amdhsa_kernarg_size 68
		.amdhsa_user_sgpr_count 6
		.amdhsa_user_sgpr_private_segment_buffer 1
		.amdhsa_user_sgpr_dispatch_ptr 0
		.amdhsa_user_sgpr_queue_ptr 0
		.amdhsa_user_sgpr_kernarg_segment_ptr 1
		.amdhsa_user_sgpr_dispatch_id 0
		.amdhsa_user_sgpr_flat_scratch_init 0
		.amdhsa_user_sgpr_kernarg_preload_length 0
		.amdhsa_user_sgpr_kernarg_preload_offset 0
		.amdhsa_user_sgpr_private_segment_size 0
		.amdhsa_uses_dynamic_stack 0
		.amdhsa_system_sgpr_private_segment_wavefront_offset 0
		.amdhsa_system_sgpr_workgroup_id_x 1
		.amdhsa_system_sgpr_workgroup_id_y 0
		.amdhsa_system_sgpr_workgroup_id_z 0
		.amdhsa_system_sgpr_workgroup_info 0
		.amdhsa_system_vgpr_workitem_id 0
		.amdhsa_next_free_vgpr 55
		.amdhsa_next_free_sgpr 15
		.amdhsa_accum_offset 56
		.amdhsa_reserve_vcc 1
		.amdhsa_reserve_flat_scratch 0
		.amdhsa_float_round_mode_32 0
		.amdhsa_float_round_mode_16_64 0
		.amdhsa_float_denorm_mode_32 3
		.amdhsa_float_denorm_mode_16_64 3
		.amdhsa_dx10_clamp 1
		.amdhsa_ieee_mode 1
		.amdhsa_fp16_overflow 0
		.amdhsa_tg_split 0
		.amdhsa_exception_fp_ieee_invalid_op 0
		.amdhsa_exception_fp_denorm_src 0
		.amdhsa_exception_fp_ieee_div_zero 0
		.amdhsa_exception_fp_ieee_overflow 0
		.amdhsa_exception_fp_ieee_underflow 0
		.amdhsa_exception_fp_ieee_inexact 0
		.amdhsa_exception_int_div_zero 0
	.end_amdhsa_kernel
	.section	.text._ZN5aiter37dynamic_per_group_scaled_quant_kernelIDF16_DB8_Li32ELi128ELb1ELi64ELb0EEEvPT0_PfPKT_PKfliilPKii,"axG",@progbits,_ZN5aiter37dynamic_per_group_scaled_quant_kernelIDF16_DB8_Li32ELi128ELb1ELi64ELb0EEEvPT0_PfPKT_PKfliilPKii,comdat
.Lfunc_end26:
	.size	_ZN5aiter37dynamic_per_group_scaled_quant_kernelIDF16_DB8_Li32ELi128ELb1ELi64ELb0EEEvPT0_PfPKT_PKfliilPKii, .Lfunc_end26-_ZN5aiter37dynamic_per_group_scaled_quant_kernelIDF16_DB8_Li32ELi128ELb1ELi64ELb0EEEvPT0_PfPKT_PKfliilPKii
                                        ; -- End function
	.section	.AMDGPU.csdata,"",@progbits
; Kernel info:
; codeLenInByte = 2704
; NumSgprs: 19
; NumVgprs: 55
; NumAgprs: 0
; TotalNumVgprs: 55
; ScratchSize: 0
; MemoryBound: 0
; FloatMode: 240
; IeeeMode: 1
; LDSByteSize: 0 bytes/workgroup (compile time only)
; SGPRBlocks: 2
; VGPRBlocks: 6
; NumSGPRsForWavesPerEU: 19
; NumVGPRsForWavesPerEU: 55
; AccumOffset: 56
; Occupancy: 8
; WaveLimiterHint : 0
; COMPUTE_PGM_RSRC2:SCRATCH_EN: 0
; COMPUTE_PGM_RSRC2:USER_SGPR: 6
; COMPUTE_PGM_RSRC2:TRAP_HANDLER: 0
; COMPUTE_PGM_RSRC2:TGID_X_EN: 1
; COMPUTE_PGM_RSRC2:TGID_Y_EN: 0
; COMPUTE_PGM_RSRC2:TGID_Z_EN: 0
; COMPUTE_PGM_RSRC2:TIDIG_COMP_CNT: 0
; COMPUTE_PGM_RSRC3_GFX90A:ACCUM_OFFSET: 13
; COMPUTE_PGM_RSRC3_GFX90A:TG_SPLIT: 0
	.section	.text._ZN5aiter37dynamic_per_group_scaled_quant_kernelItDB8_Li32ELi128ELb1ELi64ELb0EEEvPT0_PfPKT_PKfliilPKii,"axG",@progbits,_ZN5aiter37dynamic_per_group_scaled_quant_kernelItDB8_Li32ELi128ELb1ELi64ELb0EEEvPT0_PfPKT_PKfliilPKii,comdat
	.protected	_ZN5aiter37dynamic_per_group_scaled_quant_kernelItDB8_Li32ELi128ELb1ELi64ELb0EEEvPT0_PfPKT_PKfliilPKii ; -- Begin function _ZN5aiter37dynamic_per_group_scaled_quant_kernelItDB8_Li32ELi128ELb1ELi64ELb0EEEvPT0_PfPKT_PKfliilPKii
	.globl	_ZN5aiter37dynamic_per_group_scaled_quant_kernelItDB8_Li32ELi128ELb1ELi64ELb0EEEvPT0_PfPKT_PKfliilPKii
	.p2align	8
	.type	_ZN5aiter37dynamic_per_group_scaled_quant_kernelItDB8_Li32ELi128ELb1ELi64ELb0EEEvPT0_PfPKT_PKfliilPKii,@function
_ZN5aiter37dynamic_per_group_scaled_quant_kernelItDB8_Li32ELi128ELb1ELi64ELb0EEEvPT0_PfPKT_PKfliilPKii: ; @_ZN5aiter37dynamic_per_group_scaled_quant_kernelItDB8_Li32ELi128ELb1ELi64ELb0EEEvPT0_PfPKT_PKfliilPKii
; %bb.0:
	s_load_dwordx2 s[0:1], s[4:5], 0x38
	s_waitcnt lgkmcnt(0)
	s_cmp_eq_u64 s[0:1], 0
	s_cbranch_scc1 .LBB27_2
; %bb.1:
	s_load_dword s2, s[4:5], 0x40
	s_load_dword s7, s[0:1], 0x0
	s_waitcnt lgkmcnt(0)
	s_mul_hi_i32 s3, s7, s2
	s_mul_i32 s2, s7, s2
	s_branch .LBB27_3
.LBB27_2:
	s_load_dwordx2 s[2:3], s[4:5], 0x20
.LBB27_3:
	s_load_dwordx2 s[8:9], s[4:5], 0x28
	s_mov_b32 s7, 0
	s_lshl_b64 s[0:1], s[6:7], 6
	v_or_b32_e32 v4, s0, v0
	v_mov_b32_e32 v5, s1
	s_waitcnt lgkmcnt(0)
	s_ashr_i32 s0, s8, 31
	s_lshr_b32 s0, s0, 25
	s_add_i32 s0, s8, s0
	s_ashr_i32 s8, s0, 7
	v_lshrrev_b64 v[2:3], 2, v[4:5]
	s_ashr_i32 s14, s8, 31
	v_or_b32_e32 v7, s14, v3
	v_mov_b32_e32 v6, 0
	v_cmp_ne_u64_e32 vcc, 0, v[6:7]
                                        ; implicit-def: $vgpr8_vgpr9
	s_and_saveexec_b64 s[0:1], vcc
	s_xor_b64 s[6:7], exec, s[0:1]
	s_cbranch_execnz .LBB27_7
; %bb.4:
	s_andn2_saveexec_b64 s[0:1], s[6:7]
	s_cbranch_execnz .LBB27_8
.LBB27_5:
	s_or_b64 exec, exec, s[0:1]
	v_cmp_gt_i64_e32 vcc, s[2:3], v[8:9]
	s_and_saveexec_b64 s[0:1], vcc
	s_cbranch_execnz .LBB27_9
.LBB27_6:
	s_endpgm
.LBB27_7:
	s_add_u32 s0, s8, s14
	s_mov_b32 s10, s14
	s_mov_b32 s11, s14
	s_addc_u32 s1, s14, s14
	s_xor_b64 s[12:13], s[0:1], s[10:11]
	v_cvt_f32_u32_e32 v1, s12
	v_cvt_f32_u32_e32 v4, s13
	s_sub_u32 s0, 0, s12
	s_subb_u32 s1, 0, s13
	v_madmk_f32 v1, v4, 0x4f800000, v1
	v_rcp_f32_e32 v1, v1
	v_mul_f32_e32 v1, 0x5f7ffffc, v1
	v_mul_f32_e32 v4, 0x2f800000, v1
	v_trunc_f32_e32 v4, v4
	v_madmk_f32 v1, v4, 0xcf800000, v1
	v_cvt_u32_f32_e32 v4, v4
	v_cvt_u32_f32_e32 v1, v1
	v_mul_lo_u32 v5, s0, v4
	v_mul_hi_u32 v7, s0, v1
	v_mul_lo_u32 v6, s1, v1
	v_add_u32_e32 v5, v7, v5
	v_mul_lo_u32 v8, s0, v1
	v_add_u32_e32 v5, v5, v6
	v_mul_lo_u32 v7, v1, v5
	v_mul_hi_u32 v9, v1, v8
	v_mul_hi_u32 v6, v1, v5
	v_add_co_u32_e32 v7, vcc, v9, v7
	v_addc_co_u32_e32 v6, vcc, 0, v6, vcc
	v_mul_hi_u32 v10, v4, v8
	v_mul_lo_u32 v8, v4, v8
	v_add_co_u32_e32 v7, vcc, v7, v8
	v_mul_hi_u32 v9, v4, v5
	v_addc_co_u32_e32 v6, vcc, v6, v10, vcc
	v_addc_co_u32_e32 v7, vcc, 0, v9, vcc
	v_mul_lo_u32 v5, v4, v5
	v_add_co_u32_e32 v5, vcc, v6, v5
	v_addc_co_u32_e32 v6, vcc, 0, v7, vcc
	v_add_co_u32_e32 v1, vcc, v1, v5
	v_addc_co_u32_e32 v4, vcc, v4, v6, vcc
	v_mul_lo_u32 v5, s0, v4
	v_mul_hi_u32 v6, s0, v1
	v_add_u32_e32 v5, v6, v5
	v_mul_lo_u32 v6, s1, v1
	v_add_u32_e32 v5, v5, v6
	v_mul_lo_u32 v7, s0, v1
	v_mul_hi_u32 v8, v4, v7
	v_mul_lo_u32 v9, v4, v7
	v_mul_lo_u32 v11, v1, v5
	v_mul_hi_u32 v7, v1, v7
	v_mul_hi_u32 v10, v1, v5
	v_add_co_u32_e32 v7, vcc, v7, v11
	v_addc_co_u32_e32 v10, vcc, 0, v10, vcc
	v_add_co_u32_e32 v7, vcc, v7, v9
	v_mul_hi_u32 v6, v4, v5
	v_addc_co_u32_e32 v7, vcc, v10, v8, vcc
	v_addc_co_u32_e32 v6, vcc, 0, v6, vcc
	v_mul_lo_u32 v5, v4, v5
	v_add_co_u32_e32 v5, vcc, v7, v5
	v_addc_co_u32_e32 v6, vcc, 0, v6, vcc
	v_add_co_u32_e32 v1, vcc, v1, v5
	v_addc_co_u32_e32 v6, vcc, v4, v6, vcc
	v_mad_u64_u32 v[4:5], s[0:1], v2, v6, 0
	v_mul_hi_u32 v7, v2, v1
	v_add_co_u32_e32 v8, vcc, v7, v4
	v_addc_co_u32_e32 v9, vcc, 0, v5, vcc
	v_mad_u64_u32 v[4:5], s[0:1], v3, v6, 0
	v_mad_u64_u32 v[6:7], s[0:1], v3, v1, 0
	v_add_co_u32_e32 v1, vcc, v8, v6
	v_addc_co_u32_e32 v1, vcc, v9, v7, vcc
	v_addc_co_u32_e32 v5, vcc, 0, v5, vcc
	v_add_co_u32_e32 v1, vcc, v1, v4
	v_addc_co_u32_e32 v6, vcc, 0, v5, vcc
	v_mul_lo_u32 v7, s13, v1
	v_mul_lo_u32 v8, s12, v6
	v_mad_u64_u32 v[4:5], s[0:1], s12, v1, 0
	v_add3_u32 v5, v5, v8, v7
	v_sub_u32_e32 v7, v3, v5
	v_mov_b32_e32 v8, s13
	v_sub_co_u32_e32 v4, vcc, v2, v4
	v_subb_co_u32_e64 v7, s[0:1], v7, v8, vcc
	v_subrev_co_u32_e64 v8, s[0:1], s12, v4
	v_subbrev_co_u32_e64 v7, s[0:1], 0, v7, s[0:1]
	v_cmp_le_u32_e64 s[0:1], s13, v7
	v_cndmask_b32_e64 v9, 0, -1, s[0:1]
	v_cmp_le_u32_e64 s[0:1], s12, v8
	v_cndmask_b32_e64 v8, 0, -1, s[0:1]
	v_cmp_eq_u32_e64 s[0:1], s13, v7
	v_cndmask_b32_e64 v7, v9, v8, s[0:1]
	v_add_co_u32_e64 v8, s[0:1], 2, v1
	v_addc_co_u32_e64 v9, s[0:1], 0, v6, s[0:1]
	v_add_co_u32_e64 v10, s[0:1], 1, v1
	v_addc_co_u32_e64 v11, s[0:1], 0, v6, s[0:1]
	v_subb_co_u32_e32 v5, vcc, v3, v5, vcc
	v_cmp_ne_u32_e64 s[0:1], 0, v7
	v_cmp_le_u32_e32 vcc, s13, v5
	v_cndmask_b32_e64 v7, v11, v9, s[0:1]
	v_cndmask_b32_e64 v9, 0, -1, vcc
	v_cmp_le_u32_e32 vcc, s12, v4
	v_cndmask_b32_e64 v4, 0, -1, vcc
	v_cmp_eq_u32_e32 vcc, s13, v5
	v_cndmask_b32_e32 v4, v9, v4, vcc
	v_cmp_ne_u32_e32 vcc, 0, v4
	v_cndmask_b32_e64 v5, v10, v8, s[0:1]
	v_cndmask_b32_e32 v1, v1, v5, vcc
	v_cndmask_b32_e32 v4, v6, v7, vcc
	v_xor_b32_e32 v1, s10, v1
	v_xor_b32_e32 v4, s11, v4
	v_mov_b32_e32 v5, s14
	v_subrev_co_u32_e32 v8, vcc, s10, v1
	v_subb_co_u32_e32 v9, vcc, v4, v5, vcc
                                        ; implicit-def: $vgpr4_vgpr5
	s_andn2_saveexec_b64 s[0:1], s[6:7]
	s_cbranch_execz .LBB27_5
.LBB27_8:
	v_cvt_f32_u32_e32 v1, s8
	s_sub_i32 s6, 0, s8
	v_alignbit_b32 v4, v5, v4, 2
	v_mov_b32_e32 v9, 0
	v_rcp_iflag_f32_e32 v1, v1
	v_mul_f32_e32 v1, 0x4f7ffffe, v1
	v_cvt_u32_f32_e32 v1, v1
	v_mul_lo_u32 v5, s6, v1
	v_mul_hi_u32 v5, v1, v5
	v_add_u32_e32 v1, v1, v5
	v_mul_hi_u32 v1, v4, v1
	v_mul_lo_u32 v5, v1, s8
	v_sub_u32_e32 v4, v4, v5
	v_add_u32_e32 v6, 1, v1
	v_subrev_u32_e32 v5, s8, v4
	v_cmp_le_u32_e32 vcc, s8, v4
	v_cndmask_b32_e32 v4, v4, v5, vcc
	v_cndmask_b32_e32 v1, v1, v6, vcc
	v_add_u32_e32 v5, 1, v1
	v_cmp_le_u32_e32 vcc, s8, v4
	v_cndmask_b32_e32 v8, v1, v5, vcc
	s_or_b64 exec, exec, s[0:1]
	v_cmp_gt_i64_e32 vcc, s[2:3], v[8:9]
	s_and_saveexec_b64 s[0:1], vcc
	s_cbranch_execz .LBB27_6
.LBB27_9:
	s_load_dwordx2 s[0:1], s[4:5], 0x10
	v_mul_lo_u32 v1, v9, s8
	v_mul_lo_u32 v6, v8, s14
	v_mad_u64_u32 v[4:5], s[6:7], v8, s8, 0
	v_add3_u32 v5, v5, v6, v1
	v_sub_co_u32_e32 v1, vcc, v2, v4
	s_ashr_i32 s6, s9, 31
	v_subb_co_u32_e32 v3, vcc, v3, v5, vcc
	v_mul_lo_u32 v6, v9, s9
	v_mul_lo_u32 v7, v8, s6
	v_mad_u64_u32 v[4:5], s[6:7], v8, s9, 0
	v_add3_u32 v5, v5, v7, v6
	v_lshlrev_b64 v[4:5], 1, v[4:5]
	v_lshlrev_b32_e32 v6, 7, v1
	v_mov_b32_e32 v7, 0
	s_waitcnt lgkmcnt(0)
	v_mov_b32_e32 v10, s1
	v_add_co_u32_e32 v11, vcc, s0, v4
	v_addc_co_u32_e32 v10, vcc, v10, v5, vcc
	v_lshlrev_b64 v[4:5], 1, v[6:7]
	v_add_co_u32_e32 v4, vcc, v11, v4
	v_and_b32_e32 v46, 3, v0
	v_addc_co_u32_e32 v5, vcc, v10, v5, vcc
	v_lshlrev_b32_e32 v6, 6, v46
	v_add_co_u32_e32 v14, vcc, v4, v6
	v_addc_co_u32_e32 v15, vcc, 0, v5, vcc
	global_load_dwordx4 v[4:7], v[14:15], off
	global_load_dwordx4 v[10:13], v[14:15], off offset:16
	global_load_dwordx4 v[38:41], v[14:15], off offset:32
	;; [unrolled: 1-line block ×3, first 2 shown]
	s_mov_b32 s6, 0x2edbe6ff
	s_load_dwordx2 s[0:1], s[4:5], 0x0
	s_waitcnt vmcnt(3)
	v_cvt_f32_u32_sdwa v37, v4 dst_sel:DWORD dst_unused:UNUSED_PAD src0_sel:WORD_1
	v_cvt_f32_u32_sdwa v36, v4 dst_sel:DWORD dst_unused:UNUSED_PAD src0_sel:WORD_0
	v_cvt_f32_u32_sdwa v35, v5 dst_sel:DWORD dst_unused:UNUSED_PAD src0_sel:WORD_1
	v_cvt_f32_u32_sdwa v34, v5 dst_sel:DWORD dst_unused:UNUSED_PAD src0_sel:WORD_0
	;; [unrolled: 2-line block ×4, first 2 shown]
	s_waitcnt vmcnt(2)
	v_cvt_f32_u32_sdwa v29, v10 dst_sel:DWORD dst_unused:UNUSED_PAD src0_sel:WORD_1
	v_cvt_f32_u32_sdwa v28, v10 dst_sel:DWORD dst_unused:UNUSED_PAD src0_sel:WORD_0
	s_waitcnt vmcnt(1)
	v_cvt_f32_u32_sdwa v21, v38 dst_sel:DWORD dst_unused:UNUSED_PAD src0_sel:WORD_1
	v_cvt_f32_u32_sdwa v20, v38 dst_sel:DWORD dst_unused:UNUSED_PAD src0_sel:WORD_0
	v_max3_f32 v38, v36, s6, v37
	v_cvt_f32_u32_sdwa v27, v11 dst_sel:DWORD dst_unused:UNUSED_PAD src0_sel:WORD_1
	v_cvt_f32_u32_sdwa v26, v11 dst_sel:DWORD dst_unused:UNUSED_PAD src0_sel:WORD_0
	v_max3_f32 v38, v38, v34, v35
	;; [unrolled: 3-line block ×4, first 2 shown]
	v_max3_f32 v38, v38, v28, v29
	v_cvt_f32_u32_sdwa v19, v39 dst_sel:DWORD dst_unused:UNUSED_PAD src0_sel:WORD_1
	v_cvt_f32_u32_sdwa v18, v39 dst_sel:DWORD dst_unused:UNUSED_PAD src0_sel:WORD_0
	v_max3_f32 v38, v38, v26, v27
	v_cvt_f32_u32_sdwa v17, v40 dst_sel:DWORD dst_unused:UNUSED_PAD src0_sel:WORD_1
	v_cvt_f32_u32_sdwa v16, v40 dst_sel:DWORD dst_unused:UNUSED_PAD src0_sel:WORD_0
	;; [unrolled: 3-line block ×3, first 2 shown]
	v_max3_f32 v38, v38, v22, v23
	s_waitcnt vmcnt(0)
	v_cvt_f32_u32_sdwa v13, v42 dst_sel:DWORD dst_unused:UNUSED_PAD src0_sel:WORD_1
	v_cvt_f32_u32_sdwa v12, v42 dst_sel:DWORD dst_unused:UNUSED_PAD src0_sel:WORD_0
	v_max3_f32 v38, v38, v20, v21
	v_cvt_f32_u32_sdwa v11, v43 dst_sel:DWORD dst_unused:UNUSED_PAD src0_sel:WORD_1
	v_cvt_f32_u32_sdwa v10, v43 dst_sel:DWORD dst_unused:UNUSED_PAD src0_sel:WORD_0
	v_max3_f32 v38, v38, v18, v19
	;; [unrolled: 3-line block ×4, first 2 shown]
	v_max3_f32 v38, v38, v12, v13
	v_max3_f32 v38, v38, v10, v11
	v_max3_f32 v38, v38, v6, v7
	v_max3_f32 v38, v38, v4, v5
	s_nop 1
	v_mov_b32_dpp v39, v38 quad_perm:[1,0,3,2] row_mask:0xf bank_mask:0xf
	v_cmp_gt_f32_e32 vcc, v38, v39
	v_cndmask_b32_e32 v38, v39, v38, vcc
	s_nop 1
	v_mov_b32_dpp v39, v38 quad_perm:[2,3,0,1] row_mask:0xf bank_mask:0xf
	v_cmp_gt_f32_e32 vcc, v38, v39
	v_cndmask_b32_e32 v38, v39, v38, vcc
	v_mul_f32_e32 v38, 0x3b124925, v38
	v_cmp_eq_u32_e32 vcc, 0, v46
	s_and_saveexec_b64 s[6:7], vcc
	s_cbranch_execz .LBB27_11
; %bb.10:
	s_load_dwordx2 s[8:9], s[4:5], 0x8
	v_mul_lo_u32 v3, v3, s2
	v_mul_lo_u32 v39, v1, s3
	v_mad_u64_u32 v[40:41], s[2:3], v1, s2, 0
	v_add3_u32 v41, v41, v39, v3
	v_lshlrev_b64 v[40:41], 2, v[40:41]
	s_waitcnt lgkmcnt(0)
	v_mov_b32_e32 v1, s9
	v_add_co_u32_e32 v3, vcc, s8, v40
	v_addc_co_u32_e32 v1, vcc, v1, v41, vcc
	v_lshlrev_b64 v[8:9], 2, v[8:9]
	v_add_co_u32_e32 v8, vcc, v3, v8
	v_addc_co_u32_e32 v9, vcc, v1, v9, vcc
	global_store_dword v[8:9], v38, off
.LBB27_11:
	s_or_b64 exec, exec, s[6:7]
	v_div_scale_f32 v1, s[2:3], v38, v38, 1.0
	v_rcp_f32_e32 v3, v1
	v_lshlrev_b32_e32 v2, 7, v2
	v_lshlrev_b32_e32 v0, 5, v0
	s_load_dword s2, s[4:5], 0x30
	v_fma_f32 v8, -v1, v3, 1.0
	v_fmac_f32_e32 v3, v8, v3
	v_div_scale_f32 v8, vcc, 1.0, v38, 1.0
	v_mul_f32_e32 v9, v8, v3
	v_fma_f32 v39, -v1, v9, v8
	v_fmac_f32_e32 v9, v39, v3
	v_fma_f32 v1, -v1, v9, v8
	v_div_fmas_f32 v1, v1, v3, v9
	v_div_fixup_f32 v8, v1, v38, 1.0
	s_movk_i32 s4, 0x60
	v_and_or_b32 v38, v0, s4, v2
	v_mov_b32_e32 v9, v8
	;;#ASMSTART
	v_pk_mul_f32 v[0:1], v[36:37], v[8:9]
	;;#ASMEND
	v_mov_b32_e32 v36, 0xc3e00000
	v_mov_b32_e32 v37, 0x43e00000
	;;#ASMSTART
	v_med3_f32 v0, v0, v36, v37
v_med3_f32 v1, v1, v36, v37
v_cvt_pk_fp8_f32 v2, v0, v1
	;;#ASMEND
	;;#ASMSTART
	v_pk_mul_f32 v[0:1], v[34:35], v[8:9]
	;;#ASMEND
	;;#ASMSTART
	v_med3_f32 v0, v0, v36, v37
v_med3_f32 v1, v1, v36, v37
v_cvt_pk_fp8_f32 v3, v0, v1
	;;#ASMEND
	s_mov_b32 s4, 0x5040100
	v_perm_b32 v0, v3, v2, s4
	s_mov_b32 s5, 0x1060504
	v_perm_b32 v0, v0, v3, s5
	;;#ASMSTART
	v_pk_mul_f32 v[2:3], v[32:33], v[8:9]
	;;#ASMEND
	v_mov_b32_e32 v1, v3
	;;#ASMSTART
	v_med3_f32 v2, v2, v36, v37
v_med3_f32 v1, v1, v36, v37
v_cvt_pk_fp8_f32 v32, v2, v1
	;;#ASMEND
	;;#ASMSTART
	v_pk_mul_f32 v[2:3], v[30:31], v[8:9]
	;;#ASMEND
	v_mov_b32_e32 v1, v3
	;;#ASMSTART
	v_med3_f32 v2, v2, v36, v37
v_med3_f32 v1, v1, v36, v37
v_cvt_pk_fp8_f32 v3, v2, v1
	;;#ASMEND
	s_mov_b32 s6, 0x1000504
	v_perm_b32 v1, v32, v3, s6
	;;#ASMSTART
	v_pk_mul_f32 v[2:3], v[28:29], v[8:9]
	;;#ASMEND
	;;#ASMSTART
	v_med3_f32 v2, v2, v36, v37
v_med3_f32 v3, v3, v36, v37
v_cvt_pk_fp8_f32 v28, v2, v3
	;;#ASMEND
	;;#ASMSTART
	v_pk_mul_f32 v[2:3], v[26:27], v[8:9]
	;;#ASMEND
	;;#ASMSTART
	v_med3_f32 v2, v2, v36, v37
v_med3_f32 v3, v3, v36, v37
v_cvt_pk_fp8_f32 v26, v2, v3
	;;#ASMEND
	;;#ASMSTART
	v_pk_mul_f32 v[24:25], v[24:25], v[8:9]
	;;#ASMEND
	v_mov_b32_e32 v3, v25
	;;#ASMSTART
	v_med3_f32 v24, v24, v36, v37
v_med3_f32 v3, v3, v36, v37
v_cvt_pk_fp8_f32 v25, v24, v3
	;;#ASMEND
	;;#ASMSTART
	v_pk_mul_f32 v[22:23], v[22:23], v[8:9]
	;;#ASMEND
	v_mov_b32_e32 v3, v23
	;;#ASMSTART
	v_med3_f32 v22, v22, v36, v37
v_med3_f32 v3, v3, v36, v37
v_cvt_pk_fp8_f32 v23, v22, v3
	;;#ASMEND
	s_waitcnt lgkmcnt(0)
	s_and_b32 s1, s1, 0xffff
	s_mov_b32 s3, 0x20000
	v_perm_b32 v2, v28, v26, s6
	v_perm_b32 v3, v25, v23, s6
	buffer_store_dwordx4 v[0:3], v38, s[0:3], 0 offen
	;;#ASMSTART
	s_nop 0
	;;#ASMEND
	s_nop 0
	;;#ASMSTART
	v_pk_mul_f32 v[0:1], v[20:21], v[8:9]
	;;#ASMEND
	;;#ASMSTART
	v_med3_f32 v0, v0, v36, v37
v_med3_f32 v1, v1, v36, v37
v_cvt_pk_fp8_f32 v2, v0, v1
	;;#ASMEND
	;;#ASMSTART
	v_pk_mul_f32 v[0:1], v[18:19], v[8:9]
	;;#ASMEND
	;;#ASMSTART
	v_med3_f32 v0, v0, v36, v37
v_med3_f32 v1, v1, v36, v37
v_cvt_pk_fp8_f32 v3, v0, v1
	;;#ASMEND
	v_perm_b32 v0, v3, v2, s4
	v_perm_b32 v0, v0, v3, s5
	;;#ASMSTART
	v_pk_mul_f32 v[2:3], v[16:17], v[8:9]
	;;#ASMEND
	v_mov_b32_e32 v1, v3
	;;#ASMSTART
	v_med3_f32 v2, v2, v36, v37
v_med3_f32 v1, v1, v36, v37
v_cvt_pk_fp8_f32 v16, v2, v1
	;;#ASMEND
	;;#ASMSTART
	v_pk_mul_f32 v[2:3], v[14:15], v[8:9]
	;;#ASMEND
	v_mov_b32_e32 v1, v3
	;;#ASMSTART
	v_med3_f32 v2, v2, v36, v37
v_med3_f32 v1, v1, v36, v37
v_cvt_pk_fp8_f32 v3, v2, v1
	;;#ASMEND
	v_perm_b32 v1, v16, v3, s6
	;;#ASMSTART
	v_pk_mul_f32 v[2:3], v[12:13], v[8:9]
	;;#ASMEND
	;;#ASMSTART
	v_med3_f32 v2, v2, v36, v37
v_med3_f32 v3, v3, v36, v37
v_cvt_pk_fp8_f32 v12, v2, v3
	;;#ASMEND
	;;#ASMSTART
	v_pk_mul_f32 v[2:3], v[10:11], v[8:9]
	;;#ASMEND
	;;#ASMSTART
	v_med3_f32 v2, v2, v36, v37
v_med3_f32 v3, v3, v36, v37
v_cvt_pk_fp8_f32 v10, v2, v3
	;;#ASMEND
	;;#ASMSTART
	v_pk_mul_f32 v[6:7], v[6:7], v[8:9]
	;;#ASMEND
	v_mov_b32_e32 v3, v7
	;;#ASMSTART
	v_med3_f32 v6, v6, v36, v37
v_med3_f32 v3, v3, v36, v37
v_cvt_pk_fp8_f32 v7, v6, v3
	;;#ASMEND
	;;#ASMSTART
	v_pk_mul_f32 v[4:5], v[4:5], v[8:9]
	;;#ASMEND
	v_mov_b32_e32 v3, v5
	;;#ASMSTART
	v_med3_f32 v4, v4, v36, v37
v_med3_f32 v3, v3, v36, v37
v_cvt_pk_fp8_f32 v5, v4, v3
	;;#ASMEND
	v_perm_b32 v2, v12, v10, s6
	v_perm_b32 v3, v7, v5, s6
	buffer_store_dwordx4 v[0:3], v38, s[0:3], 16 offen
	;;#ASMSTART
	s_nop 0
	;;#ASMEND
	s_endpgm
	.section	.rodata,"a",@progbits
	.p2align	6, 0x0
	.amdhsa_kernel _ZN5aiter37dynamic_per_group_scaled_quant_kernelItDB8_Li32ELi128ELb1ELi64ELb0EEEvPT0_PfPKT_PKfliilPKii
		.amdhsa_group_segment_fixed_size 0
		.amdhsa_private_segment_fixed_size 0
		.amdhsa_kernarg_size 68
		.amdhsa_user_sgpr_count 6
		.amdhsa_user_sgpr_private_segment_buffer 1
		.amdhsa_user_sgpr_dispatch_ptr 0
		.amdhsa_user_sgpr_queue_ptr 0
		.amdhsa_user_sgpr_kernarg_segment_ptr 1
		.amdhsa_user_sgpr_dispatch_id 0
		.amdhsa_user_sgpr_flat_scratch_init 0
		.amdhsa_user_sgpr_kernarg_preload_length 0
		.amdhsa_user_sgpr_kernarg_preload_offset 0
		.amdhsa_user_sgpr_private_segment_size 0
		.amdhsa_uses_dynamic_stack 0
		.amdhsa_system_sgpr_private_segment_wavefront_offset 0
		.amdhsa_system_sgpr_workgroup_id_x 1
		.amdhsa_system_sgpr_workgroup_id_y 0
		.amdhsa_system_sgpr_workgroup_id_z 0
		.amdhsa_system_sgpr_workgroup_info 0
		.amdhsa_system_vgpr_workitem_id 0
		.amdhsa_next_free_vgpr 47
		.amdhsa_next_free_sgpr 15
		.amdhsa_accum_offset 48
		.amdhsa_reserve_vcc 1
		.amdhsa_reserve_flat_scratch 0
		.amdhsa_float_round_mode_32 0
		.amdhsa_float_round_mode_16_64 0
		.amdhsa_float_denorm_mode_32 3
		.amdhsa_float_denorm_mode_16_64 3
		.amdhsa_dx10_clamp 1
		.amdhsa_ieee_mode 1
		.amdhsa_fp16_overflow 0
		.amdhsa_tg_split 0
		.amdhsa_exception_fp_ieee_invalid_op 0
		.amdhsa_exception_fp_denorm_src 0
		.amdhsa_exception_fp_ieee_div_zero 0
		.amdhsa_exception_fp_ieee_overflow 0
		.amdhsa_exception_fp_ieee_underflow 0
		.amdhsa_exception_fp_ieee_inexact 0
		.amdhsa_exception_int_div_zero 0
	.end_amdhsa_kernel
	.section	.text._ZN5aiter37dynamic_per_group_scaled_quant_kernelItDB8_Li32ELi128ELb1ELi64ELb0EEEvPT0_PfPKT_PKfliilPKii,"axG",@progbits,_ZN5aiter37dynamic_per_group_scaled_quant_kernelItDB8_Li32ELi128ELb1ELi64ELb0EEEvPT0_PfPKT_PKfliilPKii,comdat
.Lfunc_end27:
	.size	_ZN5aiter37dynamic_per_group_scaled_quant_kernelItDB8_Li32ELi128ELb1ELi64ELb0EEEvPT0_PfPKT_PKfliilPKii, .Lfunc_end27-_ZN5aiter37dynamic_per_group_scaled_quant_kernelItDB8_Li32ELi128ELb1ELi64ELb0EEEvPT0_PfPKT_PKfliilPKii
                                        ; -- End function
	.section	.AMDGPU.csdata,"",@progbits
; Kernel info:
; codeLenInByte = 2532
; NumSgprs: 19
; NumVgprs: 47
; NumAgprs: 0
; TotalNumVgprs: 47
; ScratchSize: 0
; MemoryBound: 0
; FloatMode: 240
; IeeeMode: 1
; LDSByteSize: 0 bytes/workgroup (compile time only)
; SGPRBlocks: 2
; VGPRBlocks: 5
; NumSGPRsForWavesPerEU: 19
; NumVGPRsForWavesPerEU: 47
; AccumOffset: 48
; Occupancy: 8
; WaveLimiterHint : 0
; COMPUTE_PGM_RSRC2:SCRATCH_EN: 0
; COMPUTE_PGM_RSRC2:USER_SGPR: 6
; COMPUTE_PGM_RSRC2:TRAP_HANDLER: 0
; COMPUTE_PGM_RSRC2:TGID_X_EN: 1
; COMPUTE_PGM_RSRC2:TGID_Y_EN: 0
; COMPUTE_PGM_RSRC2:TGID_Z_EN: 0
; COMPUTE_PGM_RSRC2:TIDIG_COMP_CNT: 0
; COMPUTE_PGM_RSRC3_GFX90A:ACCUM_OFFSET: 11
; COMPUTE_PGM_RSRC3_GFX90A:TG_SPLIT: 0
	.section	.text._ZN5aiter37dynamic_per_group_scaled_quant_kernelIDF16_aLi32ELi128ELb1ELi64ELb0EEEvPT0_PfPKT_PKfliilPKii,"axG",@progbits,_ZN5aiter37dynamic_per_group_scaled_quant_kernelIDF16_aLi32ELi128ELb1ELi64ELb0EEEvPT0_PfPKT_PKfliilPKii,comdat
	.protected	_ZN5aiter37dynamic_per_group_scaled_quant_kernelIDF16_aLi32ELi128ELb1ELi64ELb0EEEvPT0_PfPKT_PKfliilPKii ; -- Begin function _ZN5aiter37dynamic_per_group_scaled_quant_kernelIDF16_aLi32ELi128ELb1ELi64ELb0EEEvPT0_PfPKT_PKfliilPKii
	.globl	_ZN5aiter37dynamic_per_group_scaled_quant_kernelIDF16_aLi32ELi128ELb1ELi64ELb0EEEvPT0_PfPKT_PKfliilPKii
	.p2align	8
	.type	_ZN5aiter37dynamic_per_group_scaled_quant_kernelIDF16_aLi32ELi128ELb1ELi64ELb0EEEvPT0_PfPKT_PKfliilPKii,@function
_ZN5aiter37dynamic_per_group_scaled_quant_kernelIDF16_aLi32ELi128ELb1ELi64ELb0EEEvPT0_PfPKT_PKfliilPKii: ; @_ZN5aiter37dynamic_per_group_scaled_quant_kernelIDF16_aLi32ELi128ELb1ELi64ELb0EEEvPT0_PfPKT_PKfliilPKii
; %bb.0:
	s_load_dwordx2 s[0:1], s[4:5], 0x38
	s_waitcnt lgkmcnt(0)
	s_cmp_eq_u64 s[0:1], 0
	s_cbranch_scc1 .LBB28_2
; %bb.1:
	s_load_dword s2, s[4:5], 0x40
	s_load_dword s7, s[0:1], 0x0
	s_waitcnt lgkmcnt(0)
	s_mul_hi_i32 s3, s7, s2
	s_mul_i32 s2, s7, s2
	s_branch .LBB28_3
.LBB28_2:
	s_load_dwordx2 s[2:3], s[4:5], 0x20
.LBB28_3:
	s_load_dwordx2 s[8:9], s[4:5], 0x28
	s_mov_b32 s7, 0
	s_lshl_b64 s[0:1], s[6:7], 6
	v_or_b32_e32 v2, s0, v0
	v_mov_b32_e32 v3, s1
	s_waitcnt lgkmcnt(0)
	s_ashr_i32 s0, s8, 31
	s_lshr_b32 s0, s0, 25
	s_add_i32 s0, s8, s0
	s_ashr_i32 s8, s0, 7
	v_lshrrev_b64 v[18:19], 2, v[2:3]
	s_ashr_i32 s14, s8, 31
	v_or_b32_e32 v5, s14, v19
	v_mov_b32_e32 v4, 0
	v_cmp_ne_u64_e32 vcc, 0, v[4:5]
                                        ; implicit-def: $vgpr20_vgpr21
	s_and_saveexec_b64 s[0:1], vcc
	s_xor_b64 s[6:7], exec, s[0:1]
	s_cbranch_execnz .LBB28_7
; %bb.4:
	s_andn2_saveexec_b64 s[0:1], s[6:7]
	s_cbranch_execnz .LBB28_8
.LBB28_5:
	s_or_b64 exec, exec, s[0:1]
	v_cmp_gt_i64_e32 vcc, s[2:3], v[20:21]
	s_and_saveexec_b64 s[0:1], vcc
	s_cbranch_execnz .LBB28_9
.LBB28_6:
	s_endpgm
.LBB28_7:
	s_add_u32 s0, s8, s14
	s_mov_b32 s10, s14
	s_mov_b32 s11, s14
	s_addc_u32 s1, s14, s14
	s_xor_b64 s[12:13], s[0:1], s[10:11]
	v_cvt_f32_u32_e32 v1, s12
	v_cvt_f32_u32_e32 v2, s13
	s_sub_u32 s0, 0, s12
	s_subb_u32 s1, 0, s13
	v_madmk_f32 v1, v2, 0x4f800000, v1
	v_rcp_f32_e32 v1, v1
	v_mul_f32_e32 v1, 0x5f7ffffc, v1
	v_mul_f32_e32 v2, 0x2f800000, v1
	v_trunc_f32_e32 v2, v2
	v_madmk_f32 v1, v2, 0xcf800000, v1
	v_cvt_u32_f32_e32 v2, v2
	v_cvt_u32_f32_e32 v1, v1
	v_mul_lo_u32 v3, s0, v2
	v_mul_hi_u32 v5, s0, v1
	v_mul_lo_u32 v4, s1, v1
	v_add_u32_e32 v3, v5, v3
	v_mul_lo_u32 v6, s0, v1
	v_add_u32_e32 v3, v3, v4
	v_mul_lo_u32 v5, v1, v3
	v_mul_hi_u32 v7, v1, v6
	v_mul_hi_u32 v4, v1, v3
	v_add_co_u32_e32 v5, vcc, v7, v5
	v_addc_co_u32_e32 v4, vcc, 0, v4, vcc
	v_mul_hi_u32 v8, v2, v6
	v_mul_lo_u32 v6, v2, v6
	v_add_co_u32_e32 v5, vcc, v5, v6
	v_mul_hi_u32 v7, v2, v3
	v_addc_co_u32_e32 v4, vcc, v4, v8, vcc
	v_addc_co_u32_e32 v5, vcc, 0, v7, vcc
	v_mul_lo_u32 v3, v2, v3
	v_add_co_u32_e32 v3, vcc, v4, v3
	v_addc_co_u32_e32 v4, vcc, 0, v5, vcc
	v_add_co_u32_e32 v1, vcc, v1, v3
	v_addc_co_u32_e32 v2, vcc, v2, v4, vcc
	v_mul_lo_u32 v3, s0, v2
	v_mul_hi_u32 v4, s0, v1
	v_add_u32_e32 v3, v4, v3
	v_mul_lo_u32 v4, s1, v1
	v_add_u32_e32 v3, v3, v4
	v_mul_lo_u32 v5, s0, v1
	v_mul_hi_u32 v6, v2, v5
	v_mul_lo_u32 v7, v2, v5
	v_mul_lo_u32 v9, v1, v3
	v_mul_hi_u32 v5, v1, v5
	v_mul_hi_u32 v8, v1, v3
	v_add_co_u32_e32 v5, vcc, v5, v9
	v_addc_co_u32_e32 v8, vcc, 0, v8, vcc
	v_add_co_u32_e32 v5, vcc, v5, v7
	v_mul_hi_u32 v4, v2, v3
	v_addc_co_u32_e32 v5, vcc, v8, v6, vcc
	v_addc_co_u32_e32 v4, vcc, 0, v4, vcc
	v_mul_lo_u32 v3, v2, v3
	v_add_co_u32_e32 v3, vcc, v5, v3
	v_addc_co_u32_e32 v4, vcc, 0, v4, vcc
	v_add_co_u32_e32 v1, vcc, v1, v3
	v_addc_co_u32_e32 v4, vcc, v2, v4, vcc
	v_mad_u64_u32 v[2:3], s[0:1], v18, v4, 0
	v_mul_hi_u32 v5, v18, v1
	v_add_co_u32_e32 v6, vcc, v5, v2
	v_addc_co_u32_e32 v7, vcc, 0, v3, vcc
	v_mad_u64_u32 v[2:3], s[0:1], v19, v4, 0
	v_mad_u64_u32 v[4:5], s[0:1], v19, v1, 0
	v_add_co_u32_e32 v1, vcc, v6, v4
	v_addc_co_u32_e32 v1, vcc, v7, v5, vcc
	v_addc_co_u32_e32 v3, vcc, 0, v3, vcc
	v_add_co_u32_e32 v1, vcc, v1, v2
	v_addc_co_u32_e32 v4, vcc, 0, v3, vcc
	v_mul_lo_u32 v5, s13, v1
	v_mul_lo_u32 v6, s12, v4
	v_mad_u64_u32 v[2:3], s[0:1], s12, v1, 0
	v_add3_u32 v3, v3, v6, v5
	v_sub_u32_e32 v5, v19, v3
	v_mov_b32_e32 v6, s13
	v_sub_co_u32_e32 v2, vcc, v18, v2
	v_subb_co_u32_e64 v5, s[0:1], v5, v6, vcc
	v_subrev_co_u32_e64 v6, s[0:1], s12, v2
	v_subbrev_co_u32_e64 v5, s[0:1], 0, v5, s[0:1]
	v_cmp_le_u32_e64 s[0:1], s13, v5
	v_cndmask_b32_e64 v7, 0, -1, s[0:1]
	v_cmp_le_u32_e64 s[0:1], s12, v6
	v_cndmask_b32_e64 v6, 0, -1, s[0:1]
	v_cmp_eq_u32_e64 s[0:1], s13, v5
	v_cndmask_b32_e64 v5, v7, v6, s[0:1]
	v_add_co_u32_e64 v6, s[0:1], 2, v1
	v_addc_co_u32_e64 v7, s[0:1], 0, v4, s[0:1]
	v_add_co_u32_e64 v8, s[0:1], 1, v1
	v_addc_co_u32_e64 v9, s[0:1], 0, v4, s[0:1]
	v_subb_co_u32_e32 v3, vcc, v19, v3, vcc
	v_cmp_ne_u32_e64 s[0:1], 0, v5
	v_cmp_le_u32_e32 vcc, s13, v3
	v_cndmask_b32_e64 v5, v9, v7, s[0:1]
	v_cndmask_b32_e64 v7, 0, -1, vcc
	v_cmp_le_u32_e32 vcc, s12, v2
	v_cndmask_b32_e64 v2, 0, -1, vcc
	v_cmp_eq_u32_e32 vcc, s13, v3
	v_cndmask_b32_e32 v2, v7, v2, vcc
	v_cmp_ne_u32_e32 vcc, 0, v2
	v_cndmask_b32_e64 v3, v8, v6, s[0:1]
	v_cndmask_b32_e32 v1, v1, v3, vcc
	v_cndmask_b32_e32 v2, v4, v5, vcc
	v_xor_b32_e32 v1, s10, v1
	v_xor_b32_e32 v2, s11, v2
	v_mov_b32_e32 v3, s14
	v_subrev_co_u32_e32 v20, vcc, s10, v1
	v_subb_co_u32_e32 v21, vcc, v2, v3, vcc
                                        ; implicit-def: $vgpr2_vgpr3
	s_andn2_saveexec_b64 s[0:1], s[6:7]
	s_cbranch_execz .LBB28_5
.LBB28_8:
	v_cvt_f32_u32_e32 v1, s8
	s_sub_i32 s6, 0, s8
	v_alignbit_b32 v2, v3, v2, 2
	v_mov_b32_e32 v21, 0
	v_rcp_iflag_f32_e32 v1, v1
	v_mul_f32_e32 v1, 0x4f7ffffe, v1
	v_cvt_u32_f32_e32 v1, v1
	v_mul_lo_u32 v3, s6, v1
	v_mul_hi_u32 v3, v1, v3
	v_add_u32_e32 v1, v1, v3
	v_mul_hi_u32 v1, v2, v1
	v_mul_lo_u32 v3, v1, s8
	v_sub_u32_e32 v2, v2, v3
	v_add_u32_e32 v4, 1, v1
	v_subrev_u32_e32 v3, s8, v2
	v_cmp_le_u32_e32 vcc, s8, v2
	v_cndmask_b32_e32 v2, v2, v3, vcc
	v_cndmask_b32_e32 v1, v1, v4, vcc
	v_add_u32_e32 v3, 1, v1
	v_cmp_le_u32_e32 vcc, s8, v2
	v_cndmask_b32_e32 v20, v1, v3, vcc
	s_or_b64 exec, exec, s[0:1]
	v_cmp_gt_i64_e32 vcc, s[2:3], v[20:21]
	s_and_saveexec_b64 s[0:1], vcc
	s_cbranch_execz .LBB28_6
.LBB28_9:
	s_load_dwordx2 s[0:1], s[4:5], 0x10
	v_mul_lo_u32 v1, v21, s8
	v_mul_lo_u32 v4, v20, s14
	v_mad_u64_u32 v[2:3], s[6:7], v20, s8, 0
	v_add3_u32 v3, v3, v4, v1
	v_sub_co_u32_e32 v1, vcc, v18, v2
	s_ashr_i32 s6, s9, 31
	v_subb_co_u32_e32 v19, vcc, v19, v3, vcc
	v_mul_lo_u32 v4, v21, s9
	v_mul_lo_u32 v5, v20, s6
	v_mad_u64_u32 v[2:3], s[6:7], v20, s9, 0
	v_add3_u32 v3, v3, v5, v4
	v_lshlrev_b64 v[2:3], 1, v[2:3]
	v_lshlrev_b32_e32 v4, 7, v1
	v_mov_b32_e32 v5, 0
	s_waitcnt lgkmcnt(0)
	v_mov_b32_e32 v6, s1
	v_add_co_u32_e32 v7, vcc, s0, v2
	v_addc_co_u32_e32 v6, vcc, v6, v3, vcc
	v_lshlrev_b64 v[2:3], 1, v[4:5]
	v_add_co_u32_e32 v2, vcc, v7, v2
	v_and_b32_e32 v24, 3, v0
	v_addc_co_u32_e32 v3, vcc, v6, v3, vcc
	v_lshlrev_b32_e32 v4, 6, v24
	v_add_co_u32_e32 v22, vcc, v2, v4
	v_addc_co_u32_e32 v23, vcc, 0, v3, vcc
	global_load_dwordx4 v[14:17], v[22:23], off
	global_load_dwordx4 v[10:13], v[22:23], off offset:16
	global_load_dwordx4 v[6:9], v[22:23], off offset:32
	;; [unrolled: 1-line block ×3, first 2 shown]
	s_mov_b32 s6, 0x2edbe6ff
	s_load_dwordx2 s[0:1], s[4:5], 0x0
	s_waitcnt vmcnt(3)
	v_cvt_f32_f16_e64 v22, |v14|
	v_cvt_f32_f16_sdwa v23, |v14| dst_sel:DWORD dst_unused:UNUSED_PAD src0_sel:WORD_1
	v_cvt_f32_f16_e64 v25, |v15|
	v_cvt_f32_f16_sdwa v26, |v15| dst_sel:DWORD dst_unused:UNUSED_PAD src0_sel:WORD_1
	v_cvt_f32_f16_e64 v27, |v16|
	v_cvt_f32_f16_sdwa v28, |v16| dst_sel:DWORD dst_unused:UNUSED_PAD src0_sel:WORD_1
	v_cvt_f32_f16_e64 v29, |v17|
	v_cvt_f32_f16_sdwa v30, |v17| dst_sel:DWORD dst_unused:UNUSED_PAD src0_sel:WORD_1
	s_waitcnt vmcnt(2)
	v_cvt_f32_f16_e64 v31, |v10|
	v_cvt_f32_f16_sdwa v32, |v10| dst_sel:DWORD dst_unused:UNUSED_PAD src0_sel:WORD_1
	v_max3_f32 v22, v22, s6, v23
	v_cvt_f32_f16_e64 v33, |v11|
	v_cvt_f32_f16_sdwa v34, |v11| dst_sel:DWORD dst_unused:UNUSED_PAD src0_sel:WORD_1
	v_max3_f32 v22, v22, v25, v26
	v_cvt_f32_f16_e64 v35, |v12|
	v_cvt_f32_f16_sdwa v36, |v12| dst_sel:DWORD dst_unused:UNUSED_PAD src0_sel:WORD_1
	v_max3_f32 v22, v22, v27, v28
	v_cvt_f32_f16_e64 v37, |v13|
	v_cvt_f32_f16_sdwa v38, |v13| dst_sel:DWORD dst_unused:UNUSED_PAD src0_sel:WORD_1
	v_max3_f32 v22, v22, v29, v30
	s_waitcnt vmcnt(1)
	v_cvt_f32_f16_e64 v39, |v6|
	v_cvt_f32_f16_sdwa v40, |v6| dst_sel:DWORD dst_unused:UNUSED_PAD src0_sel:WORD_1
	v_max3_f32 v22, v22, v31, v32
	v_cvt_f32_f16_e64 v41, |v7|
	v_cvt_f32_f16_sdwa v42, |v7| dst_sel:DWORD dst_unused:UNUSED_PAD src0_sel:WORD_1
	v_max3_f32 v22, v22, v33, v34
	v_cvt_f32_f16_e64 v43, |v8|
	v_cvt_f32_f16_sdwa v44, |v8| dst_sel:DWORD dst_unused:UNUSED_PAD src0_sel:WORD_1
	v_max3_f32 v22, v22, v35, v36
	v_cvt_f32_f16_e64 v45, |v9|
	v_cvt_f32_f16_sdwa v46, |v9| dst_sel:DWORD dst_unused:UNUSED_PAD src0_sel:WORD_1
	v_max3_f32 v22, v22, v37, v38
	s_waitcnt vmcnt(0)
	v_cvt_f32_f16_e64 v47, |v2|
	v_cvt_f32_f16_sdwa v48, |v2| dst_sel:DWORD dst_unused:UNUSED_PAD src0_sel:WORD_1
	v_max3_f32 v22, v22, v39, v40
	v_cvt_f32_f16_e64 v49, |v3|
	v_cvt_f32_f16_sdwa v50, |v3| dst_sel:DWORD dst_unused:UNUSED_PAD src0_sel:WORD_1
	v_max3_f32 v22, v22, v41, v42
	v_cvt_f32_f16_e64 v51, |v4|
	v_cvt_f32_f16_sdwa v52, |v4| dst_sel:DWORD dst_unused:UNUSED_PAD src0_sel:WORD_1
	v_max3_f32 v22, v22, v43, v44
	v_cvt_f32_f16_e64 v53, |v5|
	v_cvt_f32_f16_sdwa v54, |v5| dst_sel:DWORD dst_unused:UNUSED_PAD src0_sel:WORD_1
	v_max3_f32 v22, v22, v45, v46
	v_max3_f32 v22, v22, v47, v48
	v_max3_f32 v22, v22, v49, v50
	;; [unrolled: 1-line block ×4, first 2 shown]
	s_nop 1
	v_mov_b32_dpp v23, v22 quad_perm:[1,0,3,2] row_mask:0xf bank_mask:0xf
	v_cmp_gt_f32_e32 vcc, v22, v23
	v_cndmask_b32_e32 v22, v23, v22, vcc
	s_nop 1
	v_mov_b32_dpp v23, v22 quad_perm:[2,3,0,1] row_mask:0xf bank_mask:0xf
	v_cmp_gt_f32_e32 vcc, v22, v23
	v_cndmask_b32_e32 v22, v23, v22, vcc
	v_mul_f32_e32 v22, 0x3c010204, v22
	v_cmp_eq_u32_e32 vcc, 0, v24
	s_and_saveexec_b64 s[6:7], vcc
	s_cbranch_execz .LBB28_11
; %bb.10:
	s_load_dwordx2 s[8:9], s[4:5], 0x8
	v_mul_lo_u32 v19, v19, s2
	v_mul_lo_u32 v23, v1, s3
	v_mad_u64_u32 v[24:25], s[2:3], v1, s2, 0
	v_add3_u32 v25, v25, v23, v19
	v_lshlrev_b64 v[24:25], 2, v[24:25]
	s_waitcnt lgkmcnt(0)
	v_mov_b32_e32 v1, s9
	v_add_co_u32_e32 v19, vcc, s8, v24
	v_addc_co_u32_e32 v1, vcc, v1, v25, vcc
	v_lshlrev_b64 v[20:21], 2, v[20:21]
	v_add_co_u32_e32 v20, vcc, v19, v20
	v_addc_co_u32_e32 v21, vcc, v1, v21, vcc
	global_store_dword v[20:21], v22, off
.LBB28_11:
	s_or_b64 exec, exec, s[6:7]
	v_div_scale_f32 v1, s[2:3], v22, v22, 1.0
	v_rcp_f32_e32 v19, v1
	v_lshlrev_b32_e32 v20, 5, v0
	v_lshlrev_b32_e32 v18, 7, v18
	s_load_dword s2, s[4:5], 0x30
	v_fma_f32 v0, -v1, v19, 1.0
	v_fmac_f32_e32 v19, v0, v19
	v_div_scale_f32 v0, vcc, 1.0, v22, 1.0
	v_mul_f32_e32 v21, v0, v19
	v_fma_f32 v23, -v1, v21, v0
	v_fmac_f32_e32 v21, v23, v19
	v_fma_f32 v0, -v1, v21, v0
	v_div_fmas_f32 v0, v0, v19, v21
	s_movk_i32 s4, 0x60
	v_div_fixup_f32 v0, v0, v22, 1.0
	v_and_or_b32 v26, v20, s4, v18
	v_cvt_f32_f16_e32 v18, v14
	v_cvt_f32_f16_sdwa v19, v14 dst_sel:DWORD dst_unused:UNUSED_PAD src0_sel:WORD_1
	v_cvt_f32_f16_e32 v14, v15
	v_cvt_f32_f16_sdwa v15, v15 dst_sel:DWORD dst_unused:UNUSED_PAD src0_sel:WORD_1
	v_mov_b32_e32 v1, v0
	;;#ASMSTART
	v_pk_mul_f32 v[18:19], v[18:19], v[0:1]
	;;#ASMEND
	;;#ASMSTART
	v_pk_mul_f32 v[14:15], v[14:15], v[0:1]
	;;#ASMEND
	v_cvt_f32_f16_e32 v20, v16
	v_cvt_f32_f16_sdwa v21, v16 dst_sel:DWORD dst_unused:UNUSED_PAD src0_sel:WORD_1
	v_cvt_i32_f32_e32 v27, v14
	v_cvt_i32_f32_sdwa v28, v15 dst_sel:BYTE_1 dst_unused:UNUSED_PAD src0_sel:DWORD
	;;#ASMSTART
	v_pk_mul_f32 v[14:15], v[20:21], v[0:1]
	;;#ASMEND
	v_cvt_f32_f16_e32 v16, v17
	v_cvt_f32_f16_sdwa v17, v17 dst_sel:DWORD dst_unused:UNUSED_PAD src0_sel:WORD_1
	v_cvt_f32_f16_e32 v22, v10
	v_cvt_f32_f16_sdwa v23, v10 dst_sel:DWORD dst_unused:UNUSED_PAD src0_sel:WORD_1
	;; [unrolled: 2-line block ×3, first 2 shown]
	v_cvt_i32_f32_e32 v18, v18
	v_cvt_i32_f32_sdwa v19, v19 dst_sel:BYTE_1 dst_unused:UNUSED_PAD src0_sel:DWORD
	v_cvt_i32_f32_e32 v20, v14
	v_cvt_i32_f32_sdwa v21, v15 dst_sel:BYTE_1 dst_unused:UNUSED_PAD src0_sel:DWORD
	;;#ASMSTART
	v_pk_mul_f32 v[14:15], v[16:17], v[0:1]
	;;#ASMEND
	v_cvt_i32_f32_e32 v16, v14
	v_cvt_i32_f32_sdwa v17, v15 dst_sel:BYTE_1 dst_unused:UNUSED_PAD src0_sel:DWORD
	;;#ASMSTART
	v_pk_mul_f32 v[14:15], v[22:23], v[0:1]
	;;#ASMEND
	;;#ASMSTART
	v_pk_mul_f32 v[10:11], v[10:11], v[0:1]
	;;#ASMEND
	v_cvt_f32_f16_e32 v24, v12
	v_cvt_f32_f16_sdwa v25, v12 dst_sel:DWORD dst_unused:UNUSED_PAD src0_sel:WORD_1
	v_cvt_f32_f16_e32 v12, v13
	v_cvt_f32_f16_sdwa v13, v13 dst_sel:DWORD dst_unused:UNUSED_PAD src0_sel:WORD_1
	v_cvt_i32_f32_e32 v14, v14
	v_cvt_i32_f32_sdwa v15, v15 dst_sel:BYTE_1 dst_unused:UNUSED_PAD src0_sel:DWORD
	v_cvt_i32_f32_e32 v22, v10
	v_cvt_i32_f32_sdwa v23, v11 dst_sel:BYTE_1 dst_unused:UNUSED_PAD src0_sel:DWORD
	;;#ASMSTART
	v_pk_mul_f32 v[10:11], v[24:25], v[0:1]
	;;#ASMEND
	v_cvt_i32_f32_e32 v24, v10
	v_cvt_i32_f32_sdwa v25, v11 dst_sel:BYTE_1 dst_unused:UNUSED_PAD src0_sel:DWORD
	;;#ASMSTART
	v_pk_mul_f32 v[10:11], v[12:13], v[0:1]
	;;#ASMEND
	v_cvt_i32_f32_e32 v13, v10
	v_cvt_i32_f32_sdwa v29, v11 dst_sel:BYTE_1 dst_unused:UNUSED_PAD src0_sel:DWORD
	v_or_b32_sdwa v10, v18, v19 dst_sel:DWORD dst_unused:UNUSED_PAD src0_sel:BYTE_0 src1_sel:DWORD
	v_or_b32_sdwa v11, v27, v28 dst_sel:WORD_1 dst_unused:UNUSED_PAD src0_sel:BYTE_0 src1_sel:DWORD
	v_or_b32_sdwa v10, v10, v11 dst_sel:DWORD dst_unused:UNUSED_PAD src0_sel:WORD_0 src1_sel:DWORD
	v_or_b32_sdwa v11, v20, v21 dst_sel:DWORD dst_unused:UNUSED_PAD src0_sel:BYTE_0 src1_sel:DWORD
	v_or_b32_sdwa v12, v16, v17 dst_sel:WORD_1 dst_unused:UNUSED_PAD src0_sel:BYTE_0 src1_sel:DWORD
	v_or_b32_sdwa v11, v11, v12 dst_sel:DWORD dst_unused:UNUSED_PAD src0_sel:WORD_0 src1_sel:DWORD
	;; [unrolled: 3-line block ×3, first 2 shown]
	v_or_b32_sdwa v14, v24, v25 dst_sel:DWORD dst_unused:UNUSED_PAD src0_sel:BYTE_0 src1_sel:DWORD
	v_or_b32_sdwa v13, v13, v29 dst_sel:WORD_1 dst_unused:UNUSED_PAD src0_sel:BYTE_0 src1_sel:DWORD
	s_waitcnt lgkmcnt(0)
	s_and_b32 s1, s1, 0xffff
	s_mov_b32 s3, 0x20000
	v_or_b32_sdwa v13, v14, v13 dst_sel:DWORD dst_unused:UNUSED_PAD src0_sel:WORD_0 src1_sel:DWORD
	buffer_store_dwordx4 v[10:13], v26, s[0:3], 0 offen
	;;#ASMSTART
	s_nop 0
	;;#ASMEND
	v_cvt_f32_f16_e32 v14, v2
	v_cvt_f32_f16_e32 v10, v6
	v_cvt_f32_f16_sdwa v11, v6 dst_sel:DWORD dst_unused:UNUSED_PAD src0_sel:WORD_1
	v_cvt_f32_f16_e32 v6, v7
	v_cvt_f32_f16_sdwa v7, v7 dst_sel:DWORD dst_unused:UNUSED_PAD src0_sel:WORD_1
	;;#ASMSTART
	v_pk_mul_f32 v[10:11], v[10:11], v[0:1]
	;;#ASMEND
	;;#ASMSTART
	v_pk_mul_f32 v[6:7], v[6:7], v[0:1]
	;;#ASMEND
	v_cvt_f32_f16_e32 v12, v8
	v_cvt_f32_f16_sdwa v13, v8 dst_sel:DWORD dst_unused:UNUSED_PAD src0_sel:WORD_1
	v_cvt_i32_f32_e32 v18, v6
	v_cvt_i32_f32_sdwa v19, v7 dst_sel:BYTE_1 dst_unused:UNUSED_PAD src0_sel:DWORD
	;;#ASMSTART
	v_pk_mul_f32 v[6:7], v[12:13], v[0:1]
	;;#ASMEND
	v_cvt_f32_f16_e32 v8, v9
	v_cvt_f32_f16_sdwa v9, v9 dst_sel:DWORD dst_unused:UNUSED_PAD src0_sel:WORD_1
	v_cvt_f32_f16_sdwa v15, v2 dst_sel:DWORD dst_unused:UNUSED_PAD src0_sel:WORD_1
	v_cvt_f32_f16_e32 v2, v3
	v_cvt_f32_f16_sdwa v3, v3 dst_sel:DWORD dst_unused:UNUSED_PAD src0_sel:WORD_1
	v_cvt_i32_f32_e32 v12, v6
	v_cvt_i32_f32_sdwa v13, v7 dst_sel:BYTE_1 dst_unused:UNUSED_PAD src0_sel:DWORD
	;;#ASMSTART
	v_pk_mul_f32 v[6:7], v[8:9], v[0:1]
	;;#ASMEND
	v_cvt_i32_f32_e32 v10, v10
	v_cvt_i32_f32_sdwa v11, v11 dst_sel:BYTE_1 dst_unused:UNUSED_PAD src0_sel:DWORD
	v_cvt_i32_f32_e32 v8, v6
	v_cvt_i32_f32_sdwa v9, v7 dst_sel:BYTE_1 dst_unused:UNUSED_PAD src0_sel:DWORD
	;;#ASMSTART
	v_pk_mul_f32 v[6:7], v[14:15], v[0:1]
	;;#ASMEND
	;;#ASMSTART
	v_pk_mul_f32 v[2:3], v[2:3], v[0:1]
	;;#ASMEND
	v_cvt_f32_f16_e32 v16, v4
	v_cvt_f32_f16_sdwa v17, v4 dst_sel:DWORD dst_unused:UNUSED_PAD src0_sel:WORD_1
	v_cvt_f32_f16_e32 v4, v5
	v_cvt_f32_f16_sdwa v5, v5 dst_sel:DWORD dst_unused:UNUSED_PAD src0_sel:WORD_1
	v_cvt_i32_f32_e32 v14, v2
	v_cvt_i32_f32_sdwa v15, v3 dst_sel:BYTE_1 dst_unused:UNUSED_PAD src0_sel:DWORD
	;;#ASMSTART
	v_pk_mul_f32 v[2:3], v[16:17], v[0:1]
	;;#ASMEND
	v_cvt_i32_f32_e32 v6, v6
	v_cvt_i32_f32_sdwa v7, v7 dst_sel:BYTE_1 dst_unused:UNUSED_PAD src0_sel:DWORD
	v_cvt_i32_f32_e32 v16, v2
	v_cvt_i32_f32_sdwa v3, v3 dst_sel:BYTE_1 dst_unused:UNUSED_PAD src0_sel:DWORD
	;;#ASMSTART
	v_pk_mul_f32 v[0:1], v[4:5], v[0:1]
	;;#ASMEND
	v_cvt_i32_f32_e32 v4, v0
	v_cvt_i32_f32_sdwa v5, v1 dst_sel:BYTE_1 dst_unused:UNUSED_PAD src0_sel:DWORD
	v_or_b32_sdwa v0, v10, v11 dst_sel:DWORD dst_unused:UNUSED_PAD src0_sel:BYTE_0 src1_sel:DWORD
	v_or_b32_sdwa v1, v18, v19 dst_sel:WORD_1 dst_unused:UNUSED_PAD src0_sel:BYTE_0 src1_sel:DWORD
	v_or_b32_sdwa v0, v0, v1 dst_sel:DWORD dst_unused:UNUSED_PAD src0_sel:WORD_0 src1_sel:DWORD
	v_or_b32_sdwa v1, v12, v13 dst_sel:DWORD dst_unused:UNUSED_PAD src0_sel:BYTE_0 src1_sel:DWORD
	v_or_b32_sdwa v2, v8, v9 dst_sel:WORD_1 dst_unused:UNUSED_PAD src0_sel:BYTE_0 src1_sel:DWORD
	v_or_b32_sdwa v1, v1, v2 dst_sel:DWORD dst_unused:UNUSED_PAD src0_sel:WORD_0 src1_sel:DWORD
	v_or_b32_sdwa v2, v6, v7 dst_sel:DWORD dst_unused:UNUSED_PAD src0_sel:BYTE_0 src1_sel:DWORD
	v_or_b32_sdwa v6, v14, v15 dst_sel:WORD_1 dst_unused:UNUSED_PAD src0_sel:BYTE_0 src1_sel:DWORD
	v_or_b32_sdwa v3, v16, v3 dst_sel:DWORD dst_unused:UNUSED_PAD src0_sel:BYTE_0 src1_sel:DWORD
	v_or_b32_sdwa v4, v4, v5 dst_sel:WORD_1 dst_unused:UNUSED_PAD src0_sel:BYTE_0 src1_sel:DWORD
	v_or_b32_sdwa v2, v2, v6 dst_sel:DWORD dst_unused:UNUSED_PAD src0_sel:WORD_0 src1_sel:DWORD
	v_or_b32_sdwa v3, v3, v4 dst_sel:DWORD dst_unused:UNUSED_PAD src0_sel:WORD_0 src1_sel:DWORD
	buffer_store_dwordx4 v[0:3], v26, s[0:3], 16 offen
	;;#ASMSTART
	s_nop 0
	;;#ASMEND
	s_endpgm
	.section	.rodata,"a",@progbits
	.p2align	6, 0x0
	.amdhsa_kernel _ZN5aiter37dynamic_per_group_scaled_quant_kernelIDF16_aLi32ELi128ELb1ELi64ELb0EEEvPT0_PfPKT_PKfliilPKii
		.amdhsa_group_segment_fixed_size 0
		.amdhsa_private_segment_fixed_size 0
		.amdhsa_kernarg_size 68
		.amdhsa_user_sgpr_count 6
		.amdhsa_user_sgpr_private_segment_buffer 1
		.amdhsa_user_sgpr_dispatch_ptr 0
		.amdhsa_user_sgpr_queue_ptr 0
		.amdhsa_user_sgpr_kernarg_segment_ptr 1
		.amdhsa_user_sgpr_dispatch_id 0
		.amdhsa_user_sgpr_flat_scratch_init 0
		.amdhsa_user_sgpr_kernarg_preload_length 0
		.amdhsa_user_sgpr_kernarg_preload_offset 0
		.amdhsa_user_sgpr_private_segment_size 0
		.amdhsa_uses_dynamic_stack 0
		.amdhsa_system_sgpr_private_segment_wavefront_offset 0
		.amdhsa_system_sgpr_workgroup_id_x 1
		.amdhsa_system_sgpr_workgroup_id_y 0
		.amdhsa_system_sgpr_workgroup_id_z 0
		.amdhsa_system_sgpr_workgroup_info 0
		.amdhsa_system_vgpr_workitem_id 0
		.amdhsa_next_free_vgpr 55
		.amdhsa_next_free_sgpr 15
		.amdhsa_accum_offset 56
		.amdhsa_reserve_vcc 1
		.amdhsa_reserve_flat_scratch 0
		.amdhsa_float_round_mode_32 0
		.amdhsa_float_round_mode_16_64 0
		.amdhsa_float_denorm_mode_32 3
		.amdhsa_float_denorm_mode_16_64 3
		.amdhsa_dx10_clamp 1
		.amdhsa_ieee_mode 1
		.amdhsa_fp16_overflow 0
		.amdhsa_tg_split 0
		.amdhsa_exception_fp_ieee_invalid_op 0
		.amdhsa_exception_fp_denorm_src 0
		.amdhsa_exception_fp_ieee_div_zero 0
		.amdhsa_exception_fp_ieee_overflow 0
		.amdhsa_exception_fp_ieee_underflow 0
		.amdhsa_exception_fp_ieee_inexact 0
		.amdhsa_exception_int_div_zero 0
	.end_amdhsa_kernel
	.section	.text._ZN5aiter37dynamic_per_group_scaled_quant_kernelIDF16_aLi32ELi128ELb1ELi64ELb0EEEvPT0_PfPKT_PKfliilPKii,"axG",@progbits,_ZN5aiter37dynamic_per_group_scaled_quant_kernelIDF16_aLi32ELi128ELb1ELi64ELb0EEEvPT0_PfPKT_PKfliilPKii,comdat
.Lfunc_end28:
	.size	_ZN5aiter37dynamic_per_group_scaled_quant_kernelIDF16_aLi32ELi128ELb1ELi64ELb0EEEvPT0_PfPKT_PKfliilPKii, .Lfunc_end28-_ZN5aiter37dynamic_per_group_scaled_quant_kernelIDF16_aLi32ELi128ELb1ELi64ELb0EEEvPT0_PfPKT_PKfliilPKii
                                        ; -- End function
	.section	.AMDGPU.csdata,"",@progbits
; Kernel info:
; codeLenInByte = 2568
; NumSgprs: 19
; NumVgprs: 55
; NumAgprs: 0
; TotalNumVgprs: 55
; ScratchSize: 0
; MemoryBound: 0
; FloatMode: 240
; IeeeMode: 1
; LDSByteSize: 0 bytes/workgroup (compile time only)
; SGPRBlocks: 2
; VGPRBlocks: 6
; NumSGPRsForWavesPerEU: 19
; NumVGPRsForWavesPerEU: 55
; AccumOffset: 56
; Occupancy: 8
; WaveLimiterHint : 0
; COMPUTE_PGM_RSRC2:SCRATCH_EN: 0
; COMPUTE_PGM_RSRC2:USER_SGPR: 6
; COMPUTE_PGM_RSRC2:TRAP_HANDLER: 0
; COMPUTE_PGM_RSRC2:TGID_X_EN: 1
; COMPUTE_PGM_RSRC2:TGID_Y_EN: 0
; COMPUTE_PGM_RSRC2:TGID_Z_EN: 0
; COMPUTE_PGM_RSRC2:TIDIG_COMP_CNT: 0
; COMPUTE_PGM_RSRC3_GFX90A:ACCUM_OFFSET: 13
; COMPUTE_PGM_RSRC3_GFX90A:TG_SPLIT: 0
	.section	.text._ZN5aiter37dynamic_per_group_scaled_quant_kernelItaLi32ELi128ELb1ELi64ELb0EEEvPT0_PfPKT_PKfliilPKii,"axG",@progbits,_ZN5aiter37dynamic_per_group_scaled_quant_kernelItaLi32ELi128ELb1ELi64ELb0EEEvPT0_PfPKT_PKfliilPKii,comdat
	.protected	_ZN5aiter37dynamic_per_group_scaled_quant_kernelItaLi32ELi128ELb1ELi64ELb0EEEvPT0_PfPKT_PKfliilPKii ; -- Begin function _ZN5aiter37dynamic_per_group_scaled_quant_kernelItaLi32ELi128ELb1ELi64ELb0EEEvPT0_PfPKT_PKfliilPKii
	.globl	_ZN5aiter37dynamic_per_group_scaled_quant_kernelItaLi32ELi128ELb1ELi64ELb0EEEvPT0_PfPKT_PKfliilPKii
	.p2align	8
	.type	_ZN5aiter37dynamic_per_group_scaled_quant_kernelItaLi32ELi128ELb1ELi64ELb0EEEvPT0_PfPKT_PKfliilPKii,@function
_ZN5aiter37dynamic_per_group_scaled_quant_kernelItaLi32ELi128ELb1ELi64ELb0EEEvPT0_PfPKT_PKfliilPKii: ; @_ZN5aiter37dynamic_per_group_scaled_quant_kernelItaLi32ELi128ELb1ELi64ELb0EEEvPT0_PfPKT_PKfliilPKii
; %bb.0:
	s_load_dwordx2 s[0:1], s[4:5], 0x38
	s_waitcnt lgkmcnt(0)
	s_cmp_eq_u64 s[0:1], 0
	s_cbranch_scc1 .LBB29_2
; %bb.1:
	s_load_dword s2, s[4:5], 0x40
	s_load_dword s7, s[0:1], 0x0
	s_waitcnt lgkmcnt(0)
	s_mul_hi_i32 s3, s7, s2
	s_mul_i32 s2, s7, s2
	s_branch .LBB29_3
.LBB29_2:
	s_load_dwordx2 s[2:3], s[4:5], 0x20
.LBB29_3:
	s_load_dwordx2 s[8:9], s[4:5], 0x28
	s_mov_b32 s7, 0
	s_lshl_b64 s[0:1], s[6:7], 6
	v_or_b32_e32 v6, s0, v0
	v_mov_b32_e32 v7, s1
	s_waitcnt lgkmcnt(0)
	s_ashr_i32 s0, s8, 31
	s_lshr_b32 s0, s0, 25
	s_add_i32 s0, s8, s0
	s_ashr_i32 s8, s0, 7
	v_lshrrev_b64 v[2:3], 2, v[6:7]
	s_ashr_i32 s14, s8, 31
	v_or_b32_e32 v5, s14, v3
	v_mov_b32_e32 v4, 0
	v_cmp_ne_u64_e32 vcc, 0, v[4:5]
                                        ; implicit-def: $vgpr4_vgpr5
	s_and_saveexec_b64 s[0:1], vcc
	s_xor_b64 s[6:7], exec, s[0:1]
	s_cbranch_execnz .LBB29_7
; %bb.4:
	s_andn2_saveexec_b64 s[0:1], s[6:7]
	s_cbranch_execnz .LBB29_8
.LBB29_5:
	s_or_b64 exec, exec, s[0:1]
	v_cmp_gt_i64_e32 vcc, s[2:3], v[4:5]
	s_and_saveexec_b64 s[0:1], vcc
	s_cbranch_execnz .LBB29_9
.LBB29_6:
	s_endpgm
.LBB29_7:
	s_add_u32 s0, s8, s14
	s_mov_b32 s10, s14
	s_mov_b32 s11, s14
	s_addc_u32 s1, s14, s14
	s_xor_b64 s[12:13], s[0:1], s[10:11]
	v_cvt_f32_u32_e32 v1, s12
	v_cvt_f32_u32_e32 v4, s13
	s_sub_u32 s0, 0, s12
	s_subb_u32 s1, 0, s13
	v_madmk_f32 v1, v4, 0x4f800000, v1
	v_rcp_f32_e32 v1, v1
	v_mul_f32_e32 v1, 0x5f7ffffc, v1
	v_mul_f32_e32 v4, 0x2f800000, v1
	v_trunc_f32_e32 v4, v4
	v_madmk_f32 v1, v4, 0xcf800000, v1
	v_cvt_u32_f32_e32 v4, v4
	v_cvt_u32_f32_e32 v1, v1
	v_mul_lo_u32 v5, s0, v4
	v_mul_hi_u32 v7, s0, v1
	v_mul_lo_u32 v6, s1, v1
	v_add_u32_e32 v5, v7, v5
	v_mul_lo_u32 v8, s0, v1
	v_add_u32_e32 v5, v5, v6
	v_mul_lo_u32 v7, v1, v5
	v_mul_hi_u32 v9, v1, v8
	v_mul_hi_u32 v6, v1, v5
	v_add_co_u32_e32 v7, vcc, v9, v7
	v_addc_co_u32_e32 v6, vcc, 0, v6, vcc
	v_mul_hi_u32 v10, v4, v8
	v_mul_lo_u32 v8, v4, v8
	v_add_co_u32_e32 v7, vcc, v7, v8
	v_mul_hi_u32 v9, v4, v5
	v_addc_co_u32_e32 v6, vcc, v6, v10, vcc
	v_addc_co_u32_e32 v7, vcc, 0, v9, vcc
	v_mul_lo_u32 v5, v4, v5
	v_add_co_u32_e32 v5, vcc, v6, v5
	v_addc_co_u32_e32 v6, vcc, 0, v7, vcc
	v_add_co_u32_e32 v1, vcc, v1, v5
	v_addc_co_u32_e32 v4, vcc, v4, v6, vcc
	v_mul_lo_u32 v5, s0, v4
	v_mul_hi_u32 v6, s0, v1
	v_add_u32_e32 v5, v6, v5
	v_mul_lo_u32 v6, s1, v1
	v_add_u32_e32 v5, v5, v6
	v_mul_lo_u32 v7, s0, v1
	v_mul_hi_u32 v8, v4, v7
	v_mul_lo_u32 v9, v4, v7
	v_mul_lo_u32 v11, v1, v5
	v_mul_hi_u32 v7, v1, v7
	v_mul_hi_u32 v10, v1, v5
	v_add_co_u32_e32 v7, vcc, v7, v11
	v_addc_co_u32_e32 v10, vcc, 0, v10, vcc
	v_add_co_u32_e32 v7, vcc, v7, v9
	v_mul_hi_u32 v6, v4, v5
	v_addc_co_u32_e32 v7, vcc, v10, v8, vcc
	v_addc_co_u32_e32 v6, vcc, 0, v6, vcc
	v_mul_lo_u32 v5, v4, v5
	v_add_co_u32_e32 v5, vcc, v7, v5
	v_addc_co_u32_e32 v6, vcc, 0, v6, vcc
	v_add_co_u32_e32 v1, vcc, v1, v5
	v_addc_co_u32_e32 v6, vcc, v4, v6, vcc
	v_mad_u64_u32 v[4:5], s[0:1], v2, v6, 0
	v_mul_hi_u32 v7, v2, v1
	v_add_co_u32_e32 v8, vcc, v7, v4
	v_addc_co_u32_e32 v9, vcc, 0, v5, vcc
	v_mad_u64_u32 v[4:5], s[0:1], v3, v6, 0
	v_mad_u64_u32 v[6:7], s[0:1], v3, v1, 0
	v_add_co_u32_e32 v1, vcc, v8, v6
	v_addc_co_u32_e32 v1, vcc, v9, v7, vcc
	v_addc_co_u32_e32 v5, vcc, 0, v5, vcc
	v_add_co_u32_e32 v1, vcc, v1, v4
	v_addc_co_u32_e32 v6, vcc, 0, v5, vcc
	v_mul_lo_u32 v7, s13, v1
	v_mul_lo_u32 v8, s12, v6
	v_mad_u64_u32 v[4:5], s[0:1], s12, v1, 0
	v_add3_u32 v5, v5, v8, v7
	v_sub_u32_e32 v7, v3, v5
	v_mov_b32_e32 v8, s13
	v_sub_co_u32_e32 v4, vcc, v2, v4
	v_subb_co_u32_e64 v7, s[0:1], v7, v8, vcc
	v_subrev_co_u32_e64 v8, s[0:1], s12, v4
	v_subbrev_co_u32_e64 v7, s[0:1], 0, v7, s[0:1]
	v_cmp_le_u32_e64 s[0:1], s13, v7
	v_cndmask_b32_e64 v9, 0, -1, s[0:1]
	v_cmp_le_u32_e64 s[0:1], s12, v8
	v_cndmask_b32_e64 v8, 0, -1, s[0:1]
	v_cmp_eq_u32_e64 s[0:1], s13, v7
	v_cndmask_b32_e64 v7, v9, v8, s[0:1]
	v_add_co_u32_e64 v8, s[0:1], 2, v1
	v_addc_co_u32_e64 v9, s[0:1], 0, v6, s[0:1]
	v_add_co_u32_e64 v10, s[0:1], 1, v1
	v_addc_co_u32_e64 v11, s[0:1], 0, v6, s[0:1]
	v_subb_co_u32_e32 v5, vcc, v3, v5, vcc
	v_cmp_ne_u32_e64 s[0:1], 0, v7
	v_cmp_le_u32_e32 vcc, s13, v5
	v_cndmask_b32_e64 v7, v11, v9, s[0:1]
	v_cndmask_b32_e64 v9, 0, -1, vcc
	v_cmp_le_u32_e32 vcc, s12, v4
	v_cndmask_b32_e64 v4, 0, -1, vcc
	v_cmp_eq_u32_e32 vcc, s13, v5
	v_cndmask_b32_e32 v4, v9, v4, vcc
	v_cmp_ne_u32_e32 vcc, 0, v4
	v_cndmask_b32_e64 v5, v10, v8, s[0:1]
	v_cndmask_b32_e32 v1, v1, v5, vcc
	v_cndmask_b32_e32 v4, v6, v7, vcc
	v_xor_b32_e32 v1, s10, v1
	v_xor_b32_e32 v5, s11, v4
	v_mov_b32_e32 v6, s14
	v_subrev_co_u32_e32 v4, vcc, s10, v1
	v_subb_co_u32_e32 v5, vcc, v5, v6, vcc
                                        ; implicit-def: $vgpr6_vgpr7
	s_andn2_saveexec_b64 s[0:1], s[6:7]
	s_cbranch_execz .LBB29_5
.LBB29_8:
	v_cvt_f32_u32_e32 v1, s8
	s_sub_i32 s6, 0, s8
	v_alignbit_b32 v4, v7, v6, 2
	v_rcp_iflag_f32_e32 v1, v1
	v_mul_f32_e32 v1, 0x4f7ffffe, v1
	v_cvt_u32_f32_e32 v1, v1
	v_mul_lo_u32 v5, s6, v1
	v_mul_hi_u32 v5, v1, v5
	v_add_u32_e32 v1, v1, v5
	v_mul_hi_u32 v1, v4, v1
	v_mul_lo_u32 v5, v1, s8
	v_sub_u32_e32 v4, v4, v5
	v_add_u32_e32 v6, 1, v1
	v_subrev_u32_e32 v5, s8, v4
	v_cmp_le_u32_e32 vcc, s8, v4
	v_cndmask_b32_e32 v4, v4, v5, vcc
	v_cndmask_b32_e32 v1, v1, v6, vcc
	v_add_u32_e32 v5, 1, v1
	v_cmp_le_u32_e32 vcc, s8, v4
	v_cndmask_b32_e32 v4, v1, v5, vcc
	v_mov_b32_e32 v5, 0
	s_or_b64 exec, exec, s[0:1]
	v_cmp_gt_i64_e32 vcc, s[2:3], v[4:5]
	s_and_saveexec_b64 s[0:1], vcc
	s_cbranch_execz .LBB29_6
.LBB29_9:
	s_load_dwordx2 s[0:1], s[4:5], 0x10
	v_mul_lo_u32 v1, v5, s8
	v_mul_lo_u32 v8, v4, s14
	v_mad_u64_u32 v[6:7], s[6:7], v4, s8, 0
	v_add3_u32 v7, v7, v8, v1
	v_sub_co_u32_e32 v1, vcc, v2, v6
	s_ashr_i32 s6, s9, 31
	v_subb_co_u32_e32 v3, vcc, v3, v7, vcc
	v_mul_lo_u32 v8, v5, s9
	v_mul_lo_u32 v9, v4, s6
	v_mad_u64_u32 v[6:7], s[6:7], v4, s9, 0
	v_add3_u32 v7, v7, v9, v8
	v_lshlrev_b64 v[6:7], 1, v[6:7]
	v_lshlrev_b32_e32 v8, 7, v1
	v_mov_b32_e32 v9, 0
	s_waitcnt lgkmcnt(0)
	v_mov_b32_e32 v10, s1
	v_add_co_u32_e32 v11, vcc, s0, v6
	v_addc_co_u32_e32 v10, vcc, v10, v7, vcc
	v_lshlrev_b64 v[6:7], 1, v[8:9]
	v_add_co_u32_e32 v6, vcc, v11, v6
	v_and_b32_e32 v42, 3, v0
	v_addc_co_u32_e32 v7, vcc, v10, v7, vcc
	v_lshlrev_b32_e32 v8, 6, v42
	v_add_co_u32_e32 v18, vcc, v6, v8
	v_addc_co_u32_e32 v19, vcc, 0, v7, vcc
	global_load_dwordx4 v[6:9], v[18:19], off
	global_load_dwordx4 v[10:13], v[18:19], off offset:16
	global_load_dwordx4 v[14:17], v[18:19], off offset:32
	global_load_dwordx4 v[38:41], v[18:19], off offset:48
	s_mov_b32 s6, 0x2edbe6ff
	s_load_dwordx2 s[0:1], s[4:5], 0x0
	s_waitcnt vmcnt(3)
	v_cvt_f32_u32_sdwa v27, v6 dst_sel:DWORD dst_unused:UNUSED_PAD src0_sel:WORD_1
	v_cvt_f32_u32_sdwa v26, v6 dst_sel:DWORD dst_unused:UNUSED_PAD src0_sel:WORD_0
	v_cvt_f32_u32_sdwa v23, v7 dst_sel:DWORD dst_unused:UNUSED_PAD src0_sel:WORD_1
	v_cvt_f32_u32_sdwa v22, v7 dst_sel:DWORD dst_unused:UNUSED_PAD src0_sel:WORD_0
	;; [unrolled: 2-line block ×4, first 2 shown]
	s_waitcnt vmcnt(2)
	v_cvt_f32_u32_sdwa v31, v10 dst_sel:DWORD dst_unused:UNUSED_PAD src0_sel:WORD_1
	v_cvt_f32_u32_sdwa v30, v10 dst_sel:DWORD dst_unused:UNUSED_PAD src0_sel:WORD_0
	s_waitcnt vmcnt(1)
	v_cvt_f32_u32_sdwa v7, v14 dst_sel:DWORD dst_unused:UNUSED_PAD src0_sel:WORD_1
	v_cvt_f32_u32_sdwa v6, v14 dst_sel:DWORD dst_unused:UNUSED_PAD src0_sel:WORD_0
	v_cvt_f32_u32_sdwa v9, v15 dst_sel:DWORD dst_unused:UNUSED_PAD src0_sel:WORD_1
	v_cvt_f32_u32_sdwa v8, v15 dst_sel:DWORD dst_unused:UNUSED_PAD src0_sel:WORD_0
	s_waitcnt vmcnt(0)
	v_cvt_f32_u32_sdwa v15, v38 dst_sel:DWORD dst_unused:UNUSED_PAD src0_sel:WORD_1
	v_cvt_f32_u32_sdwa v14, v38 dst_sel:DWORD dst_unused:UNUSED_PAD src0_sel:WORD_0
	v_max3_f32 v38, v26, s6, v27
	v_cvt_f32_u32_sdwa v33, v11 dst_sel:DWORD dst_unused:UNUSED_PAD src0_sel:WORD_1
	v_cvt_f32_u32_sdwa v32, v11 dst_sel:DWORD dst_unused:UNUSED_PAD src0_sel:WORD_0
	v_max3_f32 v38, v38, v22, v23
	;; [unrolled: 3-line block ×4, first 2 shown]
	v_max3_f32 v38, v38, v30, v31
	v_max3_f32 v38, v38, v32, v33
	v_cvt_f32_u32_sdwa v11, v16 dst_sel:DWORD dst_unused:UNUSED_PAD src0_sel:WORD_1
	v_cvt_f32_u32_sdwa v10, v16 dst_sel:DWORD dst_unused:UNUSED_PAD src0_sel:WORD_0
	v_max3_f32 v38, v38, v34, v35
	v_cvt_f32_u32_sdwa v13, v17 dst_sel:DWORD dst_unused:UNUSED_PAD src0_sel:WORD_1
	v_cvt_f32_u32_sdwa v12, v17 dst_sel:DWORD dst_unused:UNUSED_PAD src0_sel:WORD_0
	v_max3_f32 v38, v38, v36, v37
	v_max3_f32 v38, v38, v6, v7
	v_cvt_f32_u32_sdwa v17, v39 dst_sel:DWORD dst_unused:UNUSED_PAD src0_sel:WORD_1
	v_cvt_f32_u32_sdwa v16, v39 dst_sel:DWORD dst_unused:UNUSED_PAD src0_sel:WORD_0
	v_max3_f32 v38, v38, v8, v9
	v_cvt_f32_u32_sdwa v19, v40 dst_sel:DWORD dst_unused:UNUSED_PAD src0_sel:WORD_1
	v_cvt_f32_u32_sdwa v18, v40 dst_sel:DWORD dst_unused:UNUSED_PAD src0_sel:WORD_0
	;; [unrolled: 3-line block ×3, first 2 shown]
	v_max3_f32 v38, v38, v12, v13
	v_max3_f32 v38, v38, v14, v15
	;; [unrolled: 1-line block ×5, first 2 shown]
	s_nop 1
	v_mov_b32_dpp v39, v38 quad_perm:[1,0,3,2] row_mask:0xf bank_mask:0xf
	v_cmp_gt_f32_e32 vcc, v38, v39
	v_cndmask_b32_e32 v38, v39, v38, vcc
	s_nop 1
	v_mov_b32_dpp v39, v38 quad_perm:[2,3,0,1] row_mask:0xf bank_mask:0xf
	v_cmp_gt_f32_e32 vcc, v38, v39
	v_cndmask_b32_e32 v38, v39, v38, vcc
	v_mul_f32_e32 v38, 0x3c010204, v38
	v_cmp_eq_u32_e32 vcc, 0, v42
	s_and_saveexec_b64 s[6:7], vcc
	s_cbranch_execz .LBB29_11
; %bb.10:
	s_load_dwordx2 s[8:9], s[4:5], 0x8
	v_mul_lo_u32 v3, v3, s2
	v_mul_lo_u32 v39, v1, s3
	v_mad_u64_u32 v[40:41], s[2:3], v1, s2, 0
	v_add3_u32 v41, v41, v39, v3
	v_lshlrev_b64 v[40:41], 2, v[40:41]
	s_waitcnt lgkmcnt(0)
	v_mov_b32_e32 v1, s9
	v_add_co_u32_e32 v3, vcc, s8, v40
	v_addc_co_u32_e32 v1, vcc, v1, v41, vcc
	v_lshlrev_b64 v[4:5], 2, v[4:5]
	v_add_co_u32_e32 v4, vcc, v3, v4
	v_addc_co_u32_e32 v5, vcc, v1, v5, vcc
	global_store_dword v[4:5], v38, off
.LBB29_11:
	s_or_b64 exec, exec, s[6:7]
	v_div_scale_f32 v1, s[2:3], v38, v38, 1.0
	v_rcp_f32_e32 v3, v1
	v_lshlrev_b32_e32 v2, 7, v2
	v_lshlrev_b32_e32 v0, 5, v0
	s_load_dword s2, s[4:5], 0x30
	v_fma_f32 v4, -v1, v3, 1.0
	v_fmac_f32_e32 v3, v4, v3
	v_div_scale_f32 v4, vcc, 1.0, v38, 1.0
	v_mul_f32_e32 v5, v4, v3
	v_fma_f32 v39, -v1, v5, v4
	v_fmac_f32_e32 v5, v39, v3
	v_fma_f32 v1, -v1, v5, v4
	v_div_fmas_f32 v1, v1, v3, v5
	v_div_fixup_f32 v4, v1, v38, 1.0
	s_movk_i32 s4, 0x60
	v_and_or_b32 v38, v0, s4, v2
	v_mov_b32_e32 v5, v4
	;;#ASMSTART
	v_pk_mul_f32 v[0:1], v[26:27], v[4:5]
	;;#ASMEND
	v_cvt_i32_f32_e32 v2, v0
	v_cvt_i32_f32_sdwa v3, v1 dst_sel:BYTE_1 dst_unused:UNUSED_PAD src0_sel:DWORD
	;;#ASMSTART
	v_pk_mul_f32 v[0:1], v[22:23], v[4:5]
	;;#ASMEND
	v_cvt_i32_f32_e32 v22, v0
	v_cvt_i32_f32_sdwa v23, v1 dst_sel:BYTE_1 dst_unused:UNUSED_PAD src0_sel:DWORD
	;; [unrolled: 5-line block ×8, first 2 shown]
	v_or_b32_sdwa v0, v2, v3 dst_sel:DWORD dst_unused:UNUSED_PAD src0_sel:BYTE_0 src1_sel:DWORD
	v_or_b32_sdwa v1, v22, v23 dst_sel:WORD_1 dst_unused:UNUSED_PAD src0_sel:BYTE_0 src1_sel:DWORD
	v_or_b32_sdwa v0, v0, v1 dst_sel:DWORD dst_unused:UNUSED_PAD src0_sel:WORD_0 src1_sel:DWORD
	v_or_b32_sdwa v1, v24, v25 dst_sel:DWORD dst_unused:UNUSED_PAD src0_sel:BYTE_0 src1_sel:DWORD
	v_or_b32_sdwa v2, v26, v27 dst_sel:WORD_1 dst_unused:UNUSED_PAD src0_sel:BYTE_0 src1_sel:DWORD
	v_or_b32_sdwa v1, v1, v2 dst_sel:DWORD dst_unused:UNUSED_PAD src0_sel:WORD_0 src1_sel:DWORD
	;; [unrolled: 3-line block ×3, first 2 shown]
	v_or_b32_sdwa v3, v32, v33 dst_sel:DWORD dst_unused:UNUSED_PAD src0_sel:BYTE_0 src1_sel:DWORD
	v_or_b32_sdwa v22, v34, v35 dst_sel:WORD_1 dst_unused:UNUSED_PAD src0_sel:BYTE_0 src1_sel:DWORD
	s_waitcnt lgkmcnt(0)
	s_and_b32 s1, s1, 0xffff
	s_mov_b32 s3, 0x20000
	v_or_b32_sdwa v3, v3, v22 dst_sel:DWORD dst_unused:UNUSED_PAD src0_sel:WORD_0 src1_sel:DWORD
	buffer_store_dwordx4 v[0:3], v38, s[0:3], 0 offen
	;;#ASMSTART
	s_nop 0
	;;#ASMEND
	s_nop 0
	;;#ASMSTART
	v_pk_mul_f32 v[0:1], v[6:7], v[4:5]
	;;#ASMEND
	v_cvt_i32_f32_e32 v2, v0
	v_cvt_i32_f32_sdwa v3, v1 dst_sel:BYTE_1 dst_unused:UNUSED_PAD src0_sel:DWORD
	;;#ASMSTART
	v_pk_mul_f32 v[0:1], v[8:9], v[4:5]
	;;#ASMEND
	v_cvt_i32_f32_e32 v6, v0
	v_cvt_i32_f32_sdwa v7, v1 dst_sel:BYTE_1 dst_unused:UNUSED_PAD src0_sel:DWORD
	;; [unrolled: 5-line block ×8, first 2 shown]
	v_or_b32_sdwa v0, v2, v3 dst_sel:DWORD dst_unused:UNUSED_PAD src0_sel:BYTE_0 src1_sel:DWORD
	v_or_b32_sdwa v1, v6, v7 dst_sel:WORD_1 dst_unused:UNUSED_PAD src0_sel:BYTE_0 src1_sel:DWORD
	v_or_b32_sdwa v0, v0, v1 dst_sel:DWORD dst_unused:UNUSED_PAD src0_sel:WORD_0 src1_sel:DWORD
	v_or_b32_sdwa v1, v8, v9 dst_sel:DWORD dst_unused:UNUSED_PAD src0_sel:BYTE_0 src1_sel:DWORD
	v_or_b32_sdwa v2, v10, v11 dst_sel:WORD_1 dst_unused:UNUSED_PAD src0_sel:BYTE_0 src1_sel:DWORD
	v_or_b32_sdwa v1, v1, v2 dst_sel:DWORD dst_unused:UNUSED_PAD src0_sel:WORD_0 src1_sel:DWORD
	;; [unrolled: 3-line block ×4, first 2 shown]
	buffer_store_dwordx4 v[0:3], v38, s[0:3], 16 offen
	;;#ASMSTART
	s_nop 0
	;;#ASMEND
	s_endpgm
	.section	.rodata,"a",@progbits
	.p2align	6, 0x0
	.amdhsa_kernel _ZN5aiter37dynamic_per_group_scaled_quant_kernelItaLi32ELi128ELb1ELi64ELb0EEEvPT0_PfPKT_PKfliilPKii
		.amdhsa_group_segment_fixed_size 0
		.amdhsa_private_segment_fixed_size 0
		.amdhsa_kernarg_size 68
		.amdhsa_user_sgpr_count 6
		.amdhsa_user_sgpr_private_segment_buffer 1
		.amdhsa_user_sgpr_dispatch_ptr 0
		.amdhsa_user_sgpr_queue_ptr 0
		.amdhsa_user_sgpr_kernarg_segment_ptr 1
		.amdhsa_user_sgpr_dispatch_id 0
		.amdhsa_user_sgpr_flat_scratch_init 0
		.amdhsa_user_sgpr_kernarg_preload_length 0
		.amdhsa_user_sgpr_kernarg_preload_offset 0
		.amdhsa_user_sgpr_private_segment_size 0
		.amdhsa_uses_dynamic_stack 0
		.amdhsa_system_sgpr_private_segment_wavefront_offset 0
		.amdhsa_system_sgpr_workgroup_id_x 1
		.amdhsa_system_sgpr_workgroup_id_y 0
		.amdhsa_system_sgpr_workgroup_id_z 0
		.amdhsa_system_sgpr_workgroup_info 0
		.amdhsa_system_vgpr_workitem_id 0
		.amdhsa_next_free_vgpr 43
		.amdhsa_next_free_sgpr 15
		.amdhsa_accum_offset 44
		.amdhsa_reserve_vcc 1
		.amdhsa_reserve_flat_scratch 0
		.amdhsa_float_round_mode_32 0
		.amdhsa_float_round_mode_16_64 0
		.amdhsa_float_denorm_mode_32 3
		.amdhsa_float_denorm_mode_16_64 3
		.amdhsa_dx10_clamp 1
		.amdhsa_ieee_mode 1
		.amdhsa_fp16_overflow 0
		.amdhsa_tg_split 0
		.amdhsa_exception_fp_ieee_invalid_op 0
		.amdhsa_exception_fp_denorm_src 0
		.amdhsa_exception_fp_ieee_div_zero 0
		.amdhsa_exception_fp_ieee_overflow 0
		.amdhsa_exception_fp_ieee_underflow 0
		.amdhsa_exception_fp_ieee_inexact 0
		.amdhsa_exception_int_div_zero 0
	.end_amdhsa_kernel
	.section	.text._ZN5aiter37dynamic_per_group_scaled_quant_kernelItaLi32ELi128ELb1ELi64ELb0EEEvPT0_PfPKT_PKfliilPKii,"axG",@progbits,_ZN5aiter37dynamic_per_group_scaled_quant_kernelItaLi32ELi128ELb1ELi64ELb0EEEvPT0_PfPKT_PKfliilPKii,comdat
.Lfunc_end29:
	.size	_ZN5aiter37dynamic_per_group_scaled_quant_kernelItaLi32ELi128ELb1ELi64ELb0EEEvPT0_PfPKT_PKfliilPKii, .Lfunc_end29-_ZN5aiter37dynamic_per_group_scaled_quant_kernelItaLi32ELi128ELb1ELi64ELb0EEEvPT0_PfPKT_PKfliilPKii
                                        ; -- End function
	.section	.AMDGPU.csdata,"",@progbits
; Kernel info:
; codeLenInByte = 2380
; NumSgprs: 19
; NumVgprs: 43
; NumAgprs: 0
; TotalNumVgprs: 43
; ScratchSize: 0
; MemoryBound: 0
; FloatMode: 240
; IeeeMode: 1
; LDSByteSize: 0 bytes/workgroup (compile time only)
; SGPRBlocks: 2
; VGPRBlocks: 5
; NumSGPRsForWavesPerEU: 19
; NumVGPRsForWavesPerEU: 43
; AccumOffset: 44
; Occupancy: 8
; WaveLimiterHint : 0
; COMPUTE_PGM_RSRC2:SCRATCH_EN: 0
; COMPUTE_PGM_RSRC2:USER_SGPR: 6
; COMPUTE_PGM_RSRC2:TRAP_HANDLER: 0
; COMPUTE_PGM_RSRC2:TGID_X_EN: 1
; COMPUTE_PGM_RSRC2:TGID_Y_EN: 0
; COMPUTE_PGM_RSRC2:TGID_Z_EN: 0
; COMPUTE_PGM_RSRC2:TIDIG_COMP_CNT: 0
; COMPUTE_PGM_RSRC3_GFX90A:ACCUM_OFFSET: 10
; COMPUTE_PGM_RSRC3_GFX90A:TG_SPLIT: 0
	.section	.text._ZN5aiter37dynamic_per_group_scaled_quant_kernelIDF16_DB8_Li32ELi128ELb0ELi64ELb0EEEvPT0_PfPKT_PKfliilPKii,"axG",@progbits,_ZN5aiter37dynamic_per_group_scaled_quant_kernelIDF16_DB8_Li32ELi128ELb0ELi64ELb0EEEvPT0_PfPKT_PKfliilPKii,comdat
	.protected	_ZN5aiter37dynamic_per_group_scaled_quant_kernelIDF16_DB8_Li32ELi128ELb0ELi64ELb0EEEvPT0_PfPKT_PKfliilPKii ; -- Begin function _ZN5aiter37dynamic_per_group_scaled_quant_kernelIDF16_DB8_Li32ELi128ELb0ELi64ELb0EEEvPT0_PfPKT_PKfliilPKii
	.globl	_ZN5aiter37dynamic_per_group_scaled_quant_kernelIDF16_DB8_Li32ELi128ELb0ELi64ELb0EEEvPT0_PfPKT_PKfliilPKii
	.p2align	8
	.type	_ZN5aiter37dynamic_per_group_scaled_quant_kernelIDF16_DB8_Li32ELi128ELb0ELi64ELb0EEEvPT0_PfPKT_PKfliilPKii,@function
_ZN5aiter37dynamic_per_group_scaled_quant_kernelIDF16_DB8_Li32ELi128ELb0ELi64ELb0EEEvPT0_PfPKT_PKfliilPKii: ; @_ZN5aiter37dynamic_per_group_scaled_quant_kernelIDF16_DB8_Li32ELi128ELb0ELi64ELb0EEEvPT0_PfPKT_PKfliilPKii
; %bb.0:
	s_load_dwordx2 s[0:1], s[4:5], 0x38
	s_waitcnt lgkmcnt(0)
	s_cmp_eq_u64 s[0:1], 0
	s_cbranch_scc1 .LBB30_2
; %bb.1:
	s_load_dword s2, s[4:5], 0x40
	s_load_dword s3, s[0:1], 0x0
	s_waitcnt lgkmcnt(0)
	s_mul_hi_i32 s9, s3, s2
	s_mul_i32 s8, s3, s2
	s_branch .LBB30_3
.LBB30_2:
	s_load_dwordx2 s[8:9], s[4:5], 0x20
.LBB30_3:
	s_load_dwordx2 s[2:3], s[4:5], 0x28
	s_mov_b32 s7, 0
	s_lshl_b64 s[0:1], s[6:7], 6
	v_or_b32_e32 v4, s0, v0
	v_mov_b32_e32 v5, s1
	s_waitcnt lgkmcnt(0)
	s_ashr_i32 s0, s2, 31
	s_lshr_b32 s0, s0, 25
	s_add_i32 s0, s2, s0
	s_ashr_i32 s2, s0, 7
	v_lshrrev_b64 v[18:19], 2, v[4:5]
	s_ashr_i32 s0, s2, 31
	v_or_b32_e32 v3, s0, v19
	v_mov_b32_e32 v2, 0
	v_cmp_ne_u64_e32 vcc, 0, v[2:3]
                                        ; implicit-def: $vgpr2_vgpr3
	s_and_saveexec_b64 s[6:7], vcc
	s_xor_b64 s[6:7], exec, s[6:7]
	s_cbranch_execnz .LBB30_7
; %bb.4:
	s_andn2_saveexec_b64 s[0:1], s[6:7]
	s_cbranch_execnz .LBB30_8
.LBB30_5:
	s_or_b64 exec, exec, s[0:1]
	v_cmp_gt_i64_e32 vcc, s[8:9], v[2:3]
	s_and_saveexec_b64 s[0:1], vcc
	s_cbranch_execnz .LBB30_9
.LBB30_6:
	s_endpgm
.LBB30_7:
	s_add_u32 s12, s2, s0
	s_mov_b32 s10, s0
	s_mov_b32 s11, s0
	s_addc_u32 s13, s0, s0
	s_xor_b64 s[12:13], s[12:13], s[10:11]
	v_cvt_f32_u32_e32 v1, s12
	v_cvt_f32_u32_e32 v2, s13
	s_sub_u32 s0, 0, s12
	s_subb_u32 s1, 0, s13
	v_madmk_f32 v1, v2, 0x4f800000, v1
	v_rcp_f32_e32 v1, v1
	v_mul_f32_e32 v1, 0x5f7ffffc, v1
	v_mul_f32_e32 v2, 0x2f800000, v1
	v_trunc_f32_e32 v2, v2
	v_madmk_f32 v1, v2, 0xcf800000, v1
	v_cvt_u32_f32_e32 v2, v2
	v_cvt_u32_f32_e32 v1, v1
	v_mul_lo_u32 v3, s0, v2
	v_mul_hi_u32 v5, s0, v1
	v_mul_lo_u32 v4, s1, v1
	v_add_u32_e32 v3, v5, v3
	v_mul_lo_u32 v6, s0, v1
	v_add_u32_e32 v3, v3, v4
	v_mul_lo_u32 v5, v1, v3
	v_mul_hi_u32 v7, v1, v6
	v_mul_hi_u32 v4, v1, v3
	v_add_co_u32_e32 v5, vcc, v7, v5
	v_addc_co_u32_e32 v4, vcc, 0, v4, vcc
	v_mul_hi_u32 v8, v2, v6
	v_mul_lo_u32 v6, v2, v6
	v_add_co_u32_e32 v5, vcc, v5, v6
	v_mul_hi_u32 v7, v2, v3
	v_addc_co_u32_e32 v4, vcc, v4, v8, vcc
	v_addc_co_u32_e32 v5, vcc, 0, v7, vcc
	v_mul_lo_u32 v3, v2, v3
	v_add_co_u32_e32 v3, vcc, v4, v3
	v_addc_co_u32_e32 v4, vcc, 0, v5, vcc
	v_add_co_u32_e32 v1, vcc, v1, v3
	v_addc_co_u32_e32 v2, vcc, v2, v4, vcc
	v_mul_lo_u32 v3, s0, v2
	v_mul_hi_u32 v4, s0, v1
	v_add_u32_e32 v3, v4, v3
	v_mul_lo_u32 v4, s1, v1
	v_add_u32_e32 v3, v3, v4
	v_mul_lo_u32 v5, s0, v1
	v_mul_hi_u32 v6, v2, v5
	v_mul_lo_u32 v7, v2, v5
	v_mul_lo_u32 v9, v1, v3
	v_mul_hi_u32 v5, v1, v5
	v_mul_hi_u32 v8, v1, v3
	v_add_co_u32_e32 v5, vcc, v5, v9
	v_addc_co_u32_e32 v8, vcc, 0, v8, vcc
	v_add_co_u32_e32 v5, vcc, v5, v7
	v_mul_hi_u32 v4, v2, v3
	v_addc_co_u32_e32 v5, vcc, v8, v6, vcc
	v_addc_co_u32_e32 v4, vcc, 0, v4, vcc
	v_mul_lo_u32 v3, v2, v3
	v_add_co_u32_e32 v3, vcc, v5, v3
	v_addc_co_u32_e32 v4, vcc, 0, v4, vcc
	v_add_co_u32_e32 v1, vcc, v1, v3
	v_addc_co_u32_e32 v4, vcc, v2, v4, vcc
	v_mad_u64_u32 v[2:3], s[0:1], v18, v4, 0
	v_mul_hi_u32 v5, v18, v1
	v_add_co_u32_e32 v6, vcc, v5, v2
	v_addc_co_u32_e32 v7, vcc, 0, v3, vcc
	v_mad_u64_u32 v[2:3], s[0:1], v19, v4, 0
	v_mad_u64_u32 v[4:5], s[0:1], v19, v1, 0
	v_add_co_u32_e32 v1, vcc, v6, v4
	v_addc_co_u32_e32 v1, vcc, v7, v5, vcc
	v_addc_co_u32_e32 v3, vcc, 0, v3, vcc
	v_add_co_u32_e32 v1, vcc, v1, v2
	v_addc_co_u32_e32 v4, vcc, 0, v3, vcc
	v_mul_lo_u32 v5, s13, v1
	v_mul_lo_u32 v6, s12, v4
	v_mad_u64_u32 v[2:3], s[0:1], s12, v1, 0
	v_add3_u32 v3, v3, v6, v5
	v_sub_u32_e32 v5, v19, v3
	v_mov_b32_e32 v6, s13
	v_sub_co_u32_e32 v2, vcc, v18, v2
	v_subb_co_u32_e64 v5, s[0:1], v5, v6, vcc
	v_subrev_co_u32_e64 v6, s[0:1], s12, v2
	v_subbrev_co_u32_e64 v5, s[0:1], 0, v5, s[0:1]
	v_cmp_le_u32_e64 s[0:1], s13, v5
	v_cndmask_b32_e64 v7, 0, -1, s[0:1]
	v_cmp_le_u32_e64 s[0:1], s12, v6
	v_cndmask_b32_e64 v6, 0, -1, s[0:1]
	v_cmp_eq_u32_e64 s[0:1], s13, v5
	v_cndmask_b32_e64 v5, v7, v6, s[0:1]
	v_add_co_u32_e64 v6, s[0:1], 2, v1
	v_addc_co_u32_e64 v7, s[0:1], 0, v4, s[0:1]
	v_add_co_u32_e64 v8, s[0:1], 1, v1
	v_addc_co_u32_e64 v9, s[0:1], 0, v4, s[0:1]
	v_subb_co_u32_e32 v3, vcc, v19, v3, vcc
	v_cmp_ne_u32_e64 s[0:1], 0, v5
	v_cmp_le_u32_e32 vcc, s13, v3
	v_cndmask_b32_e64 v5, v9, v7, s[0:1]
	v_cndmask_b32_e64 v7, 0, -1, vcc
	v_cmp_le_u32_e32 vcc, s12, v2
	v_cndmask_b32_e64 v2, 0, -1, vcc
	v_cmp_eq_u32_e32 vcc, s13, v3
	v_cndmask_b32_e32 v2, v7, v2, vcc
	v_cmp_ne_u32_e32 vcc, 0, v2
	v_cndmask_b32_e64 v3, v8, v6, s[0:1]
	v_cndmask_b32_e32 v1, v1, v3, vcc
	v_cndmask_b32_e32 v2, v4, v5, vcc
	v_xor_b32_e32 v1, s10, v1
	v_xor_b32_e32 v3, s11, v2
	v_mov_b32_e32 v4, s11
	v_subrev_co_u32_e32 v2, vcc, s10, v1
	v_subb_co_u32_e32 v3, vcc, v3, v4, vcc
                                        ; implicit-def: $vgpr4_vgpr5
	s_andn2_saveexec_b64 s[0:1], s[6:7]
	s_cbranch_execz .LBB30_5
.LBB30_8:
	v_cvt_f32_u32_e32 v1, s2
	s_sub_i32 s6, 0, s2
	v_alignbit_b32 v2, v5, v4, 2
	v_rcp_iflag_f32_e32 v1, v1
	v_mul_f32_e32 v1, 0x4f7ffffe, v1
	v_cvt_u32_f32_e32 v1, v1
	v_mul_lo_u32 v3, s6, v1
	v_mul_hi_u32 v3, v1, v3
	v_add_u32_e32 v1, v1, v3
	v_mul_hi_u32 v1, v2, v1
	v_mul_lo_u32 v3, v1, s2
	v_sub_u32_e32 v2, v2, v3
	v_add_u32_e32 v4, 1, v1
	v_subrev_u32_e32 v3, s2, v2
	v_cmp_le_u32_e32 vcc, s2, v2
	v_cndmask_b32_e32 v2, v2, v3, vcc
	v_cndmask_b32_e32 v1, v1, v4, vcc
	v_add_u32_e32 v3, 1, v1
	v_cmp_le_u32_e32 vcc, s2, v2
	v_cndmask_b32_e32 v2, v1, v3, vcc
	v_mov_b32_e32 v3, 0
	s_or_b64 exec, exec, s[0:1]
	v_cmp_gt_i64_e32 vcc, s[8:9], v[2:3]
	s_and_saveexec_b64 s[0:1], vcc
	s_cbranch_execz .LBB30_6
.LBB30_9:
	s_load_dwordx2 s[0:1], s[4:5], 0x10
	v_mul_lo_u32 v1, v2, s2
	s_ashr_i32 s2, s3, 31
	v_mul_lo_u32 v4, v3, s3
	v_mul_lo_u32 v5, v2, s2
	v_mad_u64_u32 v[2:3], s[2:3], v2, s3, 0
	v_add3_u32 v3, v3, v5, v4
	v_sub_u32_e32 v1, v18, v1
	v_lshlrev_b64 v[2:3], 1, v[2:3]
	v_lshlrev_b32_e32 v4, 7, v1
	v_mov_b32_e32 v5, 0
	s_waitcnt lgkmcnt(0)
	v_mov_b32_e32 v1, s1
	v_add_co_u32_e32 v6, vcc, s0, v2
	v_addc_co_u32_e32 v1, vcc, v1, v3, vcc
	v_lshlrev_b64 v[2:3], 1, v[4:5]
	v_add_co_u32_e32 v2, vcc, v6, v2
	v_and_b32_e32 v22, 3, v0
	v_addc_co_u32_e32 v1, vcc, v1, v3, vcc
	v_lshlrev_b32_e32 v3, 6, v22
	v_add_co_u32_e32 v20, vcc, v2, v3
	v_addc_co_u32_e32 v21, vcc, 0, v1, vcc
	global_load_dwordx4 v[14:17], v[20:21], off
	global_load_dwordx4 v[10:13], v[20:21], off offset:16
	global_load_dwordx4 v[6:9], v[20:21], off offset:32
	;; [unrolled: 1-line block ×3, first 2 shown]
	s_mov_b32 s2, 0x2edbe6ff
	s_load_dwordx2 s[0:1], s[4:5], 0x0
	s_waitcnt vmcnt(3)
	v_cvt_f32_f16_e64 v1, |v14|
	v_cvt_f32_f16_sdwa v20, |v14| dst_sel:DWORD dst_unused:UNUSED_PAD src0_sel:WORD_1
	v_cvt_f32_f16_e64 v21, |v15|
	v_cvt_f32_f16_sdwa v23, |v15| dst_sel:DWORD dst_unused:UNUSED_PAD src0_sel:WORD_1
	;; [unrolled: 2-line block ×4, first 2 shown]
	s_waitcnt vmcnt(2)
	v_cvt_f32_f16_e64 v28, |v10|
	v_cvt_f32_f16_sdwa v29, |v10| dst_sel:DWORD dst_unused:UNUSED_PAD src0_sel:WORD_1
	v_max3_f32 v1, v1, s2, v20
	v_cvt_f32_f16_e64 v30, |v11|
	v_cvt_f32_f16_sdwa v31, |v11| dst_sel:DWORD dst_unused:UNUSED_PAD src0_sel:WORD_1
	v_max3_f32 v1, v1, v21, v23
	v_cvt_f32_f16_e64 v32, |v12|
	v_cvt_f32_f16_sdwa v33, |v12| dst_sel:DWORD dst_unused:UNUSED_PAD src0_sel:WORD_1
	v_max3_f32 v1, v1, v24, v25
	v_cvt_f32_f16_e64 v34, |v13|
	v_cvt_f32_f16_sdwa v35, |v13| dst_sel:DWORD dst_unused:UNUSED_PAD src0_sel:WORD_1
	v_max3_f32 v1, v1, v26, v27
	s_waitcnt vmcnt(1)
	v_cvt_f32_f16_e64 v36, |v6|
	v_cvt_f32_f16_sdwa v37, |v6| dst_sel:DWORD dst_unused:UNUSED_PAD src0_sel:WORD_1
	v_max3_f32 v1, v1, v28, v29
	v_cvt_f32_f16_e64 v38, |v7|
	v_cvt_f32_f16_sdwa v39, |v7| dst_sel:DWORD dst_unused:UNUSED_PAD src0_sel:WORD_1
	v_max3_f32 v1, v1, v30, v31
	v_cvt_f32_f16_e64 v40, |v8|
	v_cvt_f32_f16_sdwa v41, |v8| dst_sel:DWORD dst_unused:UNUSED_PAD src0_sel:WORD_1
	v_max3_f32 v1, v1, v32, v33
	v_cvt_f32_f16_e64 v42, |v9|
	v_cvt_f32_f16_sdwa v43, |v9| dst_sel:DWORD dst_unused:UNUSED_PAD src0_sel:WORD_1
	v_max3_f32 v1, v1, v34, v35
	;; [unrolled: 13-line block ×3, first 2 shown]
	v_max3_f32 v1, v1, v44, v45
	v_max3_f32 v1, v1, v46, v47
	;; [unrolled: 1-line block ×4, first 2 shown]
	s_nop 1
	v_mov_b32_dpp v20, v1 quad_perm:[1,0,3,2] row_mask:0xf bank_mask:0xf
	v_cmp_gt_f32_e32 vcc, v1, v20
	v_cndmask_b32_e32 v1, v20, v1, vcc
	s_nop 1
	v_mov_b32_dpp v20, v1 quad_perm:[2,3,0,1] row_mask:0xf bank_mask:0xf
	v_cmp_gt_f32_e32 vcc, v1, v20
	v_cndmask_b32_e32 v1, v20, v1, vcc
	v_mul_f32_e32 v1, 0x3b124925, v1
	v_cmp_eq_u32_e32 vcc, 0, v22
	s_and_saveexec_b64 s[2:3], vcc
	s_cbranch_execz .LBB30_11
; %bb.10:
	s_load_dwordx2 s[6:7], s[4:5], 0x8
	v_lshlrev_b64 v[20:21], 2, v[18:19]
	s_waitcnt lgkmcnt(0)
	v_mov_b32_e32 v19, s7
	v_add_co_u32_e32 v20, vcc, s6, v20
	v_addc_co_u32_e32 v21, vcc, v19, v21, vcc
	global_store_dword v[20:21], v1, off
.LBB30_11:
	s_or_b64 exec, exec, s[2:3]
	v_div_scale_f32 v19, s[2:3], v1, v1, 1.0
	v_rcp_f32_e32 v20, v19
	v_lshlrev_b32_e32 v21, 7, v18
	v_lshlrev_b32_e32 v0, 5, v0
	s_load_dword s2, s[4:5], 0x30
	v_fma_f32 v18, -v19, v20, 1.0
	v_fmac_f32_e32 v20, v18, v20
	v_div_scale_f32 v18, vcc, 1.0, v1, 1.0
	v_mul_f32_e32 v22, v18, v20
	v_fma_f32 v23, -v19, v22, v18
	v_fmac_f32_e32 v22, v23, v20
	v_fma_f32 v18, -v19, v22, v18
	v_div_fmas_f32 v18, v18, v20, v22
	s_movk_i32 s4, 0x60
	v_div_fixup_f32 v18, v18, v1, 1.0
	v_and_or_b32 v30, v0, s4, v21
	v_cvt_f32_f16_e32 v0, v14
	v_cvt_f32_f16_sdwa v1, v14 dst_sel:DWORD dst_unused:UNUSED_PAD src0_sel:WORD_1
	v_mov_b32_e32 v19, v18
	;;#ASMSTART
	v_pk_mul_f32 v[0:1], v[0:1], v[18:19]
	;;#ASMEND
	v_cvt_f32_f16_e32 v22, v10
	v_cvt_f32_f16_sdwa v23, v10 dst_sel:DWORD dst_unused:UNUSED_PAD src0_sel:WORD_1
	v_mov_b32_e32 v31, 0xc3e00000
	v_mov_b32_e32 v32, 0x43e00000
	;;#ASMSTART
	v_med3_f32 v0, v0, v31, v32
v_med3_f32 v1, v1, v31, v32
v_cvt_pk_fp8_f32 v10, v0, v1
	;;#ASMEND
	v_cvt_f32_f16_e32 v14, v15
	v_cvt_f32_f16_sdwa v15, v15 dst_sel:DWORD dst_unused:UNUSED_PAD src0_sel:WORD_1
	;;#ASMSTART
	v_pk_mul_f32 v[0:1], v[14:15], v[18:19]
	;;#ASMEND
	v_cvt_f32_f16_e32 v24, v11
	v_cvt_f32_f16_sdwa v25, v11 dst_sel:DWORD dst_unused:UNUSED_PAD src0_sel:WORD_1
	;;#ASMSTART
	v_med3_f32 v0, v0, v31, v32
v_med3_f32 v1, v1, v31, v32
v_cvt_pk_fp8_f32 v11, v0, v1
	;;#ASMEND
	s_mov_b32 s4, 0x5040100
	v_perm_b32 v0, v11, v10, s4
	s_mov_b32 s5, 0x1060504
	v_cvt_f32_f16_e32 v20, v16
	v_cvt_f32_f16_sdwa v21, v16 dst_sel:DWORD dst_unused:UNUSED_PAD src0_sel:WORD_1
	v_perm_b32 v10, v0, v11, s5
	;;#ASMSTART
	v_pk_mul_f32 v[0:1], v[20:21], v[18:19]
	;;#ASMEND
	;;#ASMSTART
	v_med3_f32 v0, v0, v31, v32
v_med3_f32 v1, v1, v31, v32
v_cvt_pk_fp8_f32 v11, v0, v1
	;;#ASMEND
	v_cvt_f32_f16_e32 v16, v17
	v_cvt_f32_f16_sdwa v17, v17 dst_sel:DWORD dst_unused:UNUSED_PAD src0_sel:WORD_1
	;;#ASMSTART
	v_pk_mul_f32 v[0:1], v[16:17], v[18:19]
	;;#ASMEND
	v_cvt_f32_f16_e32 v26, v12
	v_cvt_f32_f16_sdwa v27, v12 dst_sel:DWORD dst_unused:UNUSED_PAD src0_sel:WORD_1
	;;#ASMSTART
	v_med3_f32 v0, v0, v31, v32
v_med3_f32 v1, v1, v31, v32
v_cvt_pk_fp8_f32 v12, v0, v1
	;;#ASMEND
	s_mov_b32 s6, 0x1000504
	;;#ASMSTART
	v_pk_mul_f32 v[0:1], v[22:23], v[18:19]
	;;#ASMEND
	v_perm_b32 v11, v11, v12, s6
	;;#ASMSTART
	v_med3_f32 v0, v0, v31, v32
v_med3_f32 v1, v1, v31, v32
v_cvt_pk_fp8_f32 v12, v0, v1
	;;#ASMEND
	;;#ASMSTART
	v_pk_mul_f32 v[0:1], v[24:25], v[18:19]
	;;#ASMEND
	v_cvt_f32_f16_e32 v28, v13
	v_cvt_f32_f16_sdwa v29, v13 dst_sel:DWORD dst_unused:UNUSED_PAD src0_sel:WORD_1
	;;#ASMSTART
	v_med3_f32 v0, v0, v31, v32
v_med3_f32 v1, v1, v31, v32
v_cvt_pk_fp8_f32 v13, v0, v1
	;;#ASMEND
	;;#ASMSTART
	v_pk_mul_f32 v[0:1], v[26:27], v[18:19]
	;;#ASMEND
	v_perm_b32 v12, v12, v13, s6
	;;#ASMSTART
	v_med3_f32 v0, v0, v31, v32
v_med3_f32 v1, v1, v31, v32
v_cvt_pk_fp8_f32 v13, v0, v1
	;;#ASMEND
	;;#ASMSTART
	v_pk_mul_f32 v[0:1], v[28:29], v[18:19]
	;;#ASMEND
	;;#ASMSTART
	v_med3_f32 v0, v0, v31, v32
v_med3_f32 v1, v1, v31, v32
v_cvt_pk_fp8_f32 v14, v0, v1
	;;#ASMEND
	s_waitcnt lgkmcnt(0)
	s_and_b32 s1, s1, 0xffff
	s_mov_b32 s3, 0x20000
	v_perm_b32 v13, v13, v14, s6
	v_cvt_f32_f16_e32 v0, v6
	v_cvt_f32_f16_sdwa v1, v6 dst_sel:DWORD dst_unused:UNUSED_PAD src0_sel:WORD_1
	buffer_store_dwordx4 v[10:13], v30, s[0:3], 0 offen
	;;#ASMSTART
	s_nop 0
	;;#ASMEND
	;;#ASMSTART
	v_pk_mul_f32 v[0:1], v[0:1], v[18:19]
	;;#ASMEND
	;;#ASMSTART
	v_med3_f32 v0, v0, v31, v32
v_med3_f32 v1, v1, v31, v32
v_cvt_pk_fp8_f32 v16, v0, v1
	;;#ASMEND
	v_cvt_f32_f16_e32 v6, v7
	v_cvt_f32_f16_sdwa v7, v7 dst_sel:DWORD dst_unused:UNUSED_PAD src0_sel:WORD_1
	;;#ASMSTART
	v_pk_mul_f32 v[0:1], v[6:7], v[18:19]
	;;#ASMEND
	;;#ASMSTART
	v_med3_f32 v0, v0, v31, v32
v_med3_f32 v1, v1, v31, v32
v_cvt_pk_fp8_f32 v6, v0, v1
	;;#ASMEND
	v_perm_b32 v0, v6, v16, s4
	v_cvt_f32_f16_e32 v10, v8
	v_cvt_f32_f16_sdwa v11, v8 dst_sel:DWORD dst_unused:UNUSED_PAD src0_sel:WORD_1
	v_perm_b32 v0, v0, v6, s5
	;;#ASMSTART
	v_pk_mul_f32 v[6:7], v[10:11], v[18:19]
	;;#ASMEND
	v_mov_b32_e32 v1, v7
	;;#ASMSTART
	v_med3_f32 v6, v6, v31, v32
v_med3_f32 v1, v1, v31, v32
v_cvt_pk_fp8_f32 v10, v6, v1
	;;#ASMEND
	v_cvt_f32_f16_e32 v8, v9
	v_cvt_f32_f16_sdwa v9, v9 dst_sel:DWORD dst_unused:UNUSED_PAD src0_sel:WORD_1
	;;#ASMSTART
	v_pk_mul_f32 v[6:7], v[8:9], v[18:19]
	;;#ASMEND
	v_mov_b32_e32 v1, v7
	;;#ASMSTART
	v_med3_f32 v6, v6, v31, v32
v_med3_f32 v1, v1, v31, v32
v_cvt_pk_fp8_f32 v7, v6, v1
	;;#ASMEND
	v_cvt_f32_f16_e32 v12, v2
	v_cvt_f32_f16_sdwa v13, v2 dst_sel:DWORD dst_unused:UNUSED_PAD src0_sel:WORD_1
	v_cvt_f32_f16_e32 v2, v3
	v_cvt_f32_f16_sdwa v3, v3 dst_sel:DWORD dst_unused:UNUSED_PAD src0_sel:WORD_1
	v_perm_b32 v1, v10, v7, s6
	;;#ASMSTART
	v_pk_mul_f32 v[6:7], v[12:13], v[18:19]
	;;#ASMEND
	;;#ASMSTART
	v_med3_f32 v6, v6, v31, v32
v_med3_f32 v7, v7, v31, v32
v_cvt_pk_fp8_f32 v8, v6, v7
	;;#ASMEND
	;;#ASMSTART
	v_pk_mul_f32 v[2:3], v[2:3], v[18:19]
	;;#ASMEND
	;;#ASMSTART
	v_med3_f32 v2, v2, v31, v32
v_med3_f32 v3, v3, v31, v32
v_cvt_pk_fp8_f32 v6, v2, v3
	;;#ASMEND
	v_cvt_f32_f16_e32 v14, v4
	v_cvt_f32_f16_sdwa v15, v4 dst_sel:DWORD dst_unused:UNUSED_PAD src0_sel:WORD_1
	v_perm_b32 v2, v8, v6, s6
	;;#ASMSTART
	v_pk_mul_f32 v[6:7], v[14:15], v[18:19]
	;;#ASMEND
	v_mov_b32_e32 v3, v7
	v_cvt_f32_f16_e32 v4, v5
	v_cvt_f32_f16_sdwa v5, v5 dst_sel:DWORD dst_unused:UNUSED_PAD src0_sel:WORD_1
	;;#ASMSTART
	v_med3_f32 v6, v6, v31, v32
v_med3_f32 v3, v3, v31, v32
v_cvt_pk_fp8_f32 v7, v6, v3
	;;#ASMEND
	;;#ASMSTART
	v_pk_mul_f32 v[4:5], v[4:5], v[18:19]
	;;#ASMEND
	v_mov_b32_e32 v3, v5
	;;#ASMSTART
	v_med3_f32 v4, v4, v31, v32
v_med3_f32 v3, v3, v31, v32
v_cvt_pk_fp8_f32 v5, v4, v3
	;;#ASMEND
	v_perm_b32 v3, v7, v5, s6
	buffer_store_dwordx4 v[0:3], v30, s[0:3], 16 offen
	;;#ASMSTART
	s_nop 0
	;;#ASMEND
	s_endpgm
	.section	.rodata,"a",@progbits
	.p2align	6, 0x0
	.amdhsa_kernel _ZN5aiter37dynamic_per_group_scaled_quant_kernelIDF16_DB8_Li32ELi128ELb0ELi64ELb0EEEvPT0_PfPKT_PKfliilPKii
		.amdhsa_group_segment_fixed_size 0
		.amdhsa_private_segment_fixed_size 0
		.amdhsa_kernarg_size 68
		.amdhsa_user_sgpr_count 6
		.amdhsa_user_sgpr_private_segment_buffer 1
		.amdhsa_user_sgpr_dispatch_ptr 0
		.amdhsa_user_sgpr_queue_ptr 0
		.amdhsa_user_sgpr_kernarg_segment_ptr 1
		.amdhsa_user_sgpr_dispatch_id 0
		.amdhsa_user_sgpr_flat_scratch_init 0
		.amdhsa_user_sgpr_kernarg_preload_length 0
		.amdhsa_user_sgpr_kernarg_preload_offset 0
		.amdhsa_user_sgpr_private_segment_size 0
		.amdhsa_uses_dynamic_stack 0
		.amdhsa_system_sgpr_private_segment_wavefront_offset 0
		.amdhsa_system_sgpr_workgroup_id_x 1
		.amdhsa_system_sgpr_workgroup_id_y 0
		.amdhsa_system_sgpr_workgroup_id_z 0
		.amdhsa_system_sgpr_workgroup_info 0
		.amdhsa_system_vgpr_workitem_id 0
		.amdhsa_next_free_vgpr 52
		.amdhsa_next_free_sgpr 14
		.amdhsa_accum_offset 52
		.amdhsa_reserve_vcc 1
		.amdhsa_reserve_flat_scratch 0
		.amdhsa_float_round_mode_32 0
		.amdhsa_float_round_mode_16_64 0
		.amdhsa_float_denorm_mode_32 3
		.amdhsa_float_denorm_mode_16_64 3
		.amdhsa_dx10_clamp 1
		.amdhsa_ieee_mode 1
		.amdhsa_fp16_overflow 0
		.amdhsa_tg_split 0
		.amdhsa_exception_fp_ieee_invalid_op 0
		.amdhsa_exception_fp_denorm_src 0
		.amdhsa_exception_fp_ieee_div_zero 0
		.amdhsa_exception_fp_ieee_overflow 0
		.amdhsa_exception_fp_ieee_underflow 0
		.amdhsa_exception_fp_ieee_inexact 0
		.amdhsa_exception_int_div_zero 0
	.end_amdhsa_kernel
	.section	.text._ZN5aiter37dynamic_per_group_scaled_quant_kernelIDF16_DB8_Li32ELi128ELb0ELi64ELb0EEEvPT0_PfPKT_PKfliilPKii,"axG",@progbits,_ZN5aiter37dynamic_per_group_scaled_quant_kernelIDF16_DB8_Li32ELi128ELb0ELi64ELb0EEEvPT0_PfPKT_PKfliilPKii,comdat
.Lfunc_end30:
	.size	_ZN5aiter37dynamic_per_group_scaled_quant_kernelIDF16_DB8_Li32ELi128ELb0ELi64ELb0EEEvPT0_PfPKT_PKfliilPKii, .Lfunc_end30-_ZN5aiter37dynamic_per_group_scaled_quant_kernelIDF16_DB8_Li32ELi128ELb0ELi64ELb0EEEvPT0_PfPKT_PKfliilPKii
                                        ; -- End function
	.section	.AMDGPU.csdata,"",@progbits
; Kernel info:
; codeLenInByte = 2628
; NumSgprs: 18
; NumVgprs: 52
; NumAgprs: 0
; TotalNumVgprs: 52
; ScratchSize: 0
; MemoryBound: 0
; FloatMode: 240
; IeeeMode: 1
; LDSByteSize: 0 bytes/workgroup (compile time only)
; SGPRBlocks: 2
; VGPRBlocks: 6
; NumSGPRsForWavesPerEU: 18
; NumVGPRsForWavesPerEU: 52
; AccumOffset: 52
; Occupancy: 8
; WaveLimiterHint : 0
; COMPUTE_PGM_RSRC2:SCRATCH_EN: 0
; COMPUTE_PGM_RSRC2:USER_SGPR: 6
; COMPUTE_PGM_RSRC2:TRAP_HANDLER: 0
; COMPUTE_PGM_RSRC2:TGID_X_EN: 1
; COMPUTE_PGM_RSRC2:TGID_Y_EN: 0
; COMPUTE_PGM_RSRC2:TGID_Z_EN: 0
; COMPUTE_PGM_RSRC2:TIDIG_COMP_CNT: 0
; COMPUTE_PGM_RSRC3_GFX90A:ACCUM_OFFSET: 12
; COMPUTE_PGM_RSRC3_GFX90A:TG_SPLIT: 0
	.section	.text._ZN5aiter37dynamic_per_group_scaled_quant_kernelItDB8_Li32ELi128ELb0ELi64ELb0EEEvPT0_PfPKT_PKfliilPKii,"axG",@progbits,_ZN5aiter37dynamic_per_group_scaled_quant_kernelItDB8_Li32ELi128ELb0ELi64ELb0EEEvPT0_PfPKT_PKfliilPKii,comdat
	.protected	_ZN5aiter37dynamic_per_group_scaled_quant_kernelItDB8_Li32ELi128ELb0ELi64ELb0EEEvPT0_PfPKT_PKfliilPKii ; -- Begin function _ZN5aiter37dynamic_per_group_scaled_quant_kernelItDB8_Li32ELi128ELb0ELi64ELb0EEEvPT0_PfPKT_PKfliilPKii
	.globl	_ZN5aiter37dynamic_per_group_scaled_quant_kernelItDB8_Li32ELi128ELb0ELi64ELb0EEEvPT0_PfPKT_PKfliilPKii
	.p2align	8
	.type	_ZN5aiter37dynamic_per_group_scaled_quant_kernelItDB8_Li32ELi128ELb0ELi64ELb0EEEvPT0_PfPKT_PKfliilPKii,@function
_ZN5aiter37dynamic_per_group_scaled_quant_kernelItDB8_Li32ELi128ELb0ELi64ELb0EEEvPT0_PfPKT_PKfliilPKii: ; @_ZN5aiter37dynamic_per_group_scaled_quant_kernelItDB8_Li32ELi128ELb0ELi64ELb0EEEvPT0_PfPKT_PKfliilPKii
; %bb.0:
	s_load_dwordx2 s[0:1], s[4:5], 0x38
	s_waitcnt lgkmcnt(0)
	s_cmp_eq_u64 s[0:1], 0
	s_cbranch_scc1 .LBB31_2
; %bb.1:
	s_load_dword s2, s[4:5], 0x40
	s_load_dword s3, s[0:1], 0x0
	s_waitcnt lgkmcnt(0)
	s_mul_hi_i32 s9, s3, s2
	s_mul_i32 s8, s3, s2
	s_branch .LBB31_3
.LBB31_2:
	s_load_dwordx2 s[8:9], s[4:5], 0x20
.LBB31_3:
	s_load_dwordx2 s[2:3], s[4:5], 0x28
	s_mov_b32 s7, 0
	s_lshl_b64 s[0:1], s[6:7], 6
	v_or_b32_e32 v6, s0, v0
	v_mov_b32_e32 v7, s1
	s_waitcnt lgkmcnt(0)
	s_ashr_i32 s0, s2, 31
	s_lshr_b32 s0, s0, 25
	s_add_i32 s0, s2, s0
	s_ashr_i32 s2, s0, 7
	v_lshrrev_b64 v[2:3], 2, v[6:7]
	s_ashr_i32 s0, s2, 31
	v_or_b32_e32 v5, s0, v3
	v_mov_b32_e32 v4, 0
	v_cmp_ne_u64_e32 vcc, 0, v[4:5]
                                        ; implicit-def: $vgpr4_vgpr5
	s_and_saveexec_b64 s[6:7], vcc
	s_xor_b64 s[6:7], exec, s[6:7]
	s_cbranch_execnz .LBB31_7
; %bb.4:
	s_andn2_saveexec_b64 s[0:1], s[6:7]
	s_cbranch_execnz .LBB31_8
.LBB31_5:
	s_or_b64 exec, exec, s[0:1]
	v_cmp_gt_i64_e32 vcc, s[8:9], v[4:5]
	s_and_saveexec_b64 s[0:1], vcc
	s_cbranch_execnz .LBB31_9
.LBB31_6:
	s_endpgm
.LBB31_7:
	s_add_u32 s12, s2, s0
	s_mov_b32 s10, s0
	s_mov_b32 s11, s0
	s_addc_u32 s13, s0, s0
	s_xor_b64 s[12:13], s[12:13], s[10:11]
	v_cvt_f32_u32_e32 v1, s12
	v_cvt_f32_u32_e32 v4, s13
	s_sub_u32 s0, 0, s12
	s_subb_u32 s1, 0, s13
	v_madmk_f32 v1, v4, 0x4f800000, v1
	v_rcp_f32_e32 v1, v1
	v_mul_f32_e32 v1, 0x5f7ffffc, v1
	v_mul_f32_e32 v4, 0x2f800000, v1
	v_trunc_f32_e32 v4, v4
	v_madmk_f32 v1, v4, 0xcf800000, v1
	v_cvt_u32_f32_e32 v4, v4
	v_cvt_u32_f32_e32 v1, v1
	v_mul_lo_u32 v5, s0, v4
	v_mul_hi_u32 v7, s0, v1
	v_mul_lo_u32 v6, s1, v1
	v_add_u32_e32 v5, v7, v5
	v_mul_lo_u32 v8, s0, v1
	v_add_u32_e32 v5, v5, v6
	v_mul_lo_u32 v7, v1, v5
	v_mul_hi_u32 v9, v1, v8
	v_mul_hi_u32 v6, v1, v5
	v_add_co_u32_e32 v7, vcc, v9, v7
	v_addc_co_u32_e32 v6, vcc, 0, v6, vcc
	v_mul_hi_u32 v10, v4, v8
	v_mul_lo_u32 v8, v4, v8
	v_add_co_u32_e32 v7, vcc, v7, v8
	v_mul_hi_u32 v9, v4, v5
	v_addc_co_u32_e32 v6, vcc, v6, v10, vcc
	v_addc_co_u32_e32 v7, vcc, 0, v9, vcc
	v_mul_lo_u32 v5, v4, v5
	v_add_co_u32_e32 v5, vcc, v6, v5
	v_addc_co_u32_e32 v6, vcc, 0, v7, vcc
	v_add_co_u32_e32 v1, vcc, v1, v5
	v_addc_co_u32_e32 v4, vcc, v4, v6, vcc
	v_mul_lo_u32 v5, s0, v4
	v_mul_hi_u32 v6, s0, v1
	v_add_u32_e32 v5, v6, v5
	v_mul_lo_u32 v6, s1, v1
	v_add_u32_e32 v5, v5, v6
	v_mul_lo_u32 v7, s0, v1
	v_mul_hi_u32 v8, v4, v7
	v_mul_lo_u32 v9, v4, v7
	v_mul_lo_u32 v11, v1, v5
	v_mul_hi_u32 v7, v1, v7
	v_mul_hi_u32 v10, v1, v5
	v_add_co_u32_e32 v7, vcc, v7, v11
	v_addc_co_u32_e32 v10, vcc, 0, v10, vcc
	v_add_co_u32_e32 v7, vcc, v7, v9
	v_mul_hi_u32 v6, v4, v5
	v_addc_co_u32_e32 v7, vcc, v10, v8, vcc
	v_addc_co_u32_e32 v6, vcc, 0, v6, vcc
	v_mul_lo_u32 v5, v4, v5
	v_add_co_u32_e32 v5, vcc, v7, v5
	v_addc_co_u32_e32 v6, vcc, 0, v6, vcc
	v_add_co_u32_e32 v1, vcc, v1, v5
	v_addc_co_u32_e32 v6, vcc, v4, v6, vcc
	v_mad_u64_u32 v[4:5], s[0:1], v2, v6, 0
	v_mul_hi_u32 v7, v2, v1
	v_add_co_u32_e32 v8, vcc, v7, v4
	v_addc_co_u32_e32 v9, vcc, 0, v5, vcc
	v_mad_u64_u32 v[4:5], s[0:1], v3, v6, 0
	v_mad_u64_u32 v[6:7], s[0:1], v3, v1, 0
	v_add_co_u32_e32 v1, vcc, v8, v6
	v_addc_co_u32_e32 v1, vcc, v9, v7, vcc
	v_addc_co_u32_e32 v5, vcc, 0, v5, vcc
	v_add_co_u32_e32 v1, vcc, v1, v4
	v_addc_co_u32_e32 v6, vcc, 0, v5, vcc
	v_mul_lo_u32 v7, s13, v1
	v_mul_lo_u32 v8, s12, v6
	v_mad_u64_u32 v[4:5], s[0:1], s12, v1, 0
	v_add3_u32 v5, v5, v8, v7
	v_sub_u32_e32 v7, v3, v5
	v_mov_b32_e32 v8, s13
	v_sub_co_u32_e32 v4, vcc, v2, v4
	v_subb_co_u32_e64 v7, s[0:1], v7, v8, vcc
	v_subrev_co_u32_e64 v8, s[0:1], s12, v4
	v_subbrev_co_u32_e64 v7, s[0:1], 0, v7, s[0:1]
	v_cmp_le_u32_e64 s[0:1], s13, v7
	v_cndmask_b32_e64 v9, 0, -1, s[0:1]
	v_cmp_le_u32_e64 s[0:1], s12, v8
	v_cndmask_b32_e64 v8, 0, -1, s[0:1]
	v_cmp_eq_u32_e64 s[0:1], s13, v7
	v_cndmask_b32_e64 v7, v9, v8, s[0:1]
	v_add_co_u32_e64 v8, s[0:1], 2, v1
	v_addc_co_u32_e64 v9, s[0:1], 0, v6, s[0:1]
	v_add_co_u32_e64 v10, s[0:1], 1, v1
	v_addc_co_u32_e64 v11, s[0:1], 0, v6, s[0:1]
	v_subb_co_u32_e32 v5, vcc, v3, v5, vcc
	v_cmp_ne_u32_e64 s[0:1], 0, v7
	v_cmp_le_u32_e32 vcc, s13, v5
	v_cndmask_b32_e64 v7, v11, v9, s[0:1]
	v_cndmask_b32_e64 v9, 0, -1, vcc
	v_cmp_le_u32_e32 vcc, s12, v4
	v_cndmask_b32_e64 v4, 0, -1, vcc
	v_cmp_eq_u32_e32 vcc, s13, v5
	v_cndmask_b32_e32 v4, v9, v4, vcc
	v_cmp_ne_u32_e32 vcc, 0, v4
	v_cndmask_b32_e64 v5, v10, v8, s[0:1]
	v_cndmask_b32_e32 v1, v1, v5, vcc
	v_cndmask_b32_e32 v4, v6, v7, vcc
	v_xor_b32_e32 v1, s10, v1
	v_xor_b32_e32 v5, s11, v4
	v_mov_b32_e32 v6, s11
	v_subrev_co_u32_e32 v4, vcc, s10, v1
	v_subb_co_u32_e32 v5, vcc, v5, v6, vcc
                                        ; implicit-def: $vgpr6_vgpr7
	s_andn2_saveexec_b64 s[0:1], s[6:7]
	s_cbranch_execz .LBB31_5
.LBB31_8:
	v_cvt_f32_u32_e32 v1, s2
	s_sub_i32 s6, 0, s2
	v_alignbit_b32 v4, v7, v6, 2
	v_rcp_iflag_f32_e32 v1, v1
	v_mul_f32_e32 v1, 0x4f7ffffe, v1
	v_cvt_u32_f32_e32 v1, v1
	v_mul_lo_u32 v5, s6, v1
	v_mul_hi_u32 v5, v1, v5
	v_add_u32_e32 v1, v1, v5
	v_mul_hi_u32 v1, v4, v1
	v_mul_lo_u32 v5, v1, s2
	v_sub_u32_e32 v4, v4, v5
	v_add_u32_e32 v6, 1, v1
	v_subrev_u32_e32 v5, s2, v4
	v_cmp_le_u32_e32 vcc, s2, v4
	v_cndmask_b32_e32 v4, v4, v5, vcc
	v_cndmask_b32_e32 v1, v1, v6, vcc
	v_add_u32_e32 v5, 1, v1
	v_cmp_le_u32_e32 vcc, s2, v4
	v_cndmask_b32_e32 v4, v1, v5, vcc
	v_mov_b32_e32 v5, 0
	s_or_b64 exec, exec, s[0:1]
	v_cmp_gt_i64_e32 vcc, s[8:9], v[4:5]
	s_and_saveexec_b64 s[0:1], vcc
	s_cbranch_execz .LBB31_6
.LBB31_9:
	s_load_dwordx2 s[0:1], s[4:5], 0x10
	v_mul_lo_u32 v1, v4, s2
	s_ashr_i32 s2, s3, 31
	v_mul_lo_u32 v6, v5, s3
	v_mul_lo_u32 v7, v4, s2
	v_mad_u64_u32 v[4:5], s[2:3], v4, s3, 0
	v_add3_u32 v5, v5, v7, v6
	v_sub_u32_e32 v1, v2, v1
	v_lshlrev_b64 v[4:5], 1, v[4:5]
	v_lshlrev_b32_e32 v6, 7, v1
	v_mov_b32_e32 v7, 0
	s_waitcnt lgkmcnt(0)
	v_mov_b32_e32 v1, s1
	v_add_co_u32_e32 v8, vcc, s0, v4
	v_addc_co_u32_e32 v1, vcc, v1, v5, vcc
	v_lshlrev_b64 v[4:5], 1, v[6:7]
	v_add_co_u32_e32 v4, vcc, v8, v4
	v_and_b32_e32 v44, 3, v0
	v_addc_co_u32_e32 v1, vcc, v1, v5, vcc
	v_lshlrev_b32_e32 v5, 6, v44
	v_add_co_u32_e32 v12, vcc, v4, v5
	v_addc_co_u32_e32 v13, vcc, 0, v1, vcc
	global_load_dwordx4 v[4:7], v[12:13], off
	global_load_dwordx4 v[8:11], v[12:13], off offset:16
	global_load_dwordx4 v[36:39], v[12:13], off offset:32
	;; [unrolled: 1-line block ×3, first 2 shown]
	s_mov_b32 s2, 0x2edbe6ff
	s_load_dwordx2 s[0:1], s[4:5], 0x0
	s_waitcnt vmcnt(3)
	v_cvt_f32_u32_sdwa v35, v4 dst_sel:DWORD dst_unused:UNUSED_PAD src0_sel:WORD_1
	v_cvt_f32_u32_sdwa v34, v4 dst_sel:DWORD dst_unused:UNUSED_PAD src0_sel:WORD_0
	v_cvt_f32_u32_sdwa v33, v5 dst_sel:DWORD dst_unused:UNUSED_PAD src0_sel:WORD_1
	v_cvt_f32_u32_sdwa v32, v5 dst_sel:DWORD dst_unused:UNUSED_PAD src0_sel:WORD_0
	;; [unrolled: 2-line block ×4, first 2 shown]
	s_waitcnt vmcnt(2)
	v_cvt_f32_u32_sdwa v27, v8 dst_sel:DWORD dst_unused:UNUSED_PAD src0_sel:WORD_1
	v_cvt_f32_u32_sdwa v26, v8 dst_sel:DWORD dst_unused:UNUSED_PAD src0_sel:WORD_0
	v_max3_f32 v1, v34, s2, v35
	v_cvt_f32_u32_sdwa v25, v9 dst_sel:DWORD dst_unused:UNUSED_PAD src0_sel:WORD_1
	v_cvt_f32_u32_sdwa v24, v9 dst_sel:DWORD dst_unused:UNUSED_PAD src0_sel:WORD_0
	v_max3_f32 v1, v1, v32, v33
	v_cvt_f32_u32_sdwa v23, v10 dst_sel:DWORD dst_unused:UNUSED_PAD src0_sel:WORD_1
	v_cvt_f32_u32_sdwa v22, v10 dst_sel:DWORD dst_unused:UNUSED_PAD src0_sel:WORD_0
	v_max3_f32 v1, v1, v30, v31
	v_cvt_f32_u32_sdwa v21, v11 dst_sel:DWORD dst_unused:UNUSED_PAD src0_sel:WORD_1
	v_cvt_f32_u32_sdwa v20, v11 dst_sel:DWORD dst_unused:UNUSED_PAD src0_sel:WORD_0
	v_max3_f32 v1, v1, v28, v29
	s_waitcnt vmcnt(1)
	v_cvt_f32_u32_sdwa v19, v36 dst_sel:DWORD dst_unused:UNUSED_PAD src0_sel:WORD_1
	v_cvt_f32_u32_sdwa v18, v36 dst_sel:DWORD dst_unused:UNUSED_PAD src0_sel:WORD_0
	v_max3_f32 v1, v1, v26, v27
	v_cvt_f32_u32_sdwa v17, v37 dst_sel:DWORD dst_unused:UNUSED_PAD src0_sel:WORD_1
	v_cvt_f32_u32_sdwa v16, v37 dst_sel:DWORD dst_unused:UNUSED_PAD src0_sel:WORD_0
	v_max3_f32 v1, v1, v24, v25
	v_cvt_f32_u32_sdwa v15, v38 dst_sel:DWORD dst_unused:UNUSED_PAD src0_sel:WORD_1
	v_cvt_f32_u32_sdwa v14, v38 dst_sel:DWORD dst_unused:UNUSED_PAD src0_sel:WORD_0
	v_max3_f32 v1, v1, v22, v23
	v_cvt_f32_u32_sdwa v13, v39 dst_sel:DWORD dst_unused:UNUSED_PAD src0_sel:WORD_1
	v_cvt_f32_u32_sdwa v12, v39 dst_sel:DWORD dst_unused:UNUSED_PAD src0_sel:WORD_0
	v_max3_f32 v1, v1, v20, v21
	s_waitcnt vmcnt(0)
	v_cvt_f32_u32_sdwa v11, v40 dst_sel:DWORD dst_unused:UNUSED_PAD src0_sel:WORD_1
	v_cvt_f32_u32_sdwa v10, v40 dst_sel:DWORD dst_unused:UNUSED_PAD src0_sel:WORD_0
	v_max3_f32 v1, v1, v18, v19
	v_cvt_f32_u32_sdwa v9, v41 dst_sel:DWORD dst_unused:UNUSED_PAD src0_sel:WORD_1
	v_cvt_f32_u32_sdwa v8, v41 dst_sel:DWORD dst_unused:UNUSED_PAD src0_sel:WORD_0
	v_max3_f32 v1, v1, v16, v17
	v_cvt_f32_u32_sdwa v7, v42 dst_sel:DWORD dst_unused:UNUSED_PAD src0_sel:WORD_1
	v_cvt_f32_u32_sdwa v6, v42 dst_sel:DWORD dst_unused:UNUSED_PAD src0_sel:WORD_0
	v_max3_f32 v1, v1, v14, v15
	v_cvt_f32_u32_sdwa v5, v43 dst_sel:DWORD dst_unused:UNUSED_PAD src0_sel:WORD_1
	v_cvt_f32_u32_sdwa v4, v43 dst_sel:DWORD dst_unused:UNUSED_PAD src0_sel:WORD_0
	v_max3_f32 v1, v1, v12, v13
	v_max3_f32 v1, v1, v10, v11
	v_max3_f32 v1, v1, v8, v9
	;; [unrolled: 1-line block ×4, first 2 shown]
	s_nop 1
	v_mov_b32_dpp v36, v1 quad_perm:[1,0,3,2] row_mask:0xf bank_mask:0xf
	v_cmp_gt_f32_e32 vcc, v1, v36
	v_cndmask_b32_e32 v1, v36, v1, vcc
	s_nop 1
	v_mov_b32_dpp v36, v1 quad_perm:[2,3,0,1] row_mask:0xf bank_mask:0xf
	v_cmp_gt_f32_e32 vcc, v1, v36
	v_cndmask_b32_e32 v1, v36, v1, vcc
	v_mul_f32_e32 v1, 0x3b124925, v1
	v_cmp_eq_u32_e32 vcc, 0, v44
	s_and_saveexec_b64 s[2:3], vcc
	s_cbranch_execz .LBB31_11
; %bb.10:
	s_load_dwordx2 s[6:7], s[4:5], 0x8
	v_lshlrev_b64 v[36:37], 2, v[2:3]
	s_waitcnt lgkmcnt(0)
	v_mov_b32_e32 v3, s7
	v_add_co_u32_e32 v36, vcc, s6, v36
	v_addc_co_u32_e32 v37, vcc, v3, v37, vcc
	global_store_dword v[36:37], v1, off
.LBB31_11:
	s_or_b64 exec, exec, s[2:3]
	v_div_scale_f32 v3, s[2:3], v1, v1, 1.0
	v_rcp_f32_e32 v36, v3
	v_lshlrev_b32_e32 v2, 7, v2
	v_lshlrev_b32_e32 v0, 5, v0
	s_load_dword s2, s[4:5], 0x30
	v_fma_f32 v37, -v3, v36, 1.0
	v_fmac_f32_e32 v36, v37, v36
	v_div_scale_f32 v37, vcc, 1.0, v1, 1.0
	v_mul_f32_e32 v38, v37, v36
	v_fma_f32 v39, -v3, v38, v37
	v_fmac_f32_e32 v38, v39, v36
	v_fma_f32 v3, -v3, v38, v37
	v_div_fmas_f32 v3, v3, v36, v38
	v_div_fixup_f32 v36, v3, v1, 1.0
	s_movk_i32 s4, 0x60
	v_and_or_b32 v38, v0, s4, v2
	v_mov_b32_e32 v37, v36
	;;#ASMSTART
	v_pk_mul_f32 v[0:1], v[34:35], v[36:37]
	;;#ASMEND
	v_mov_b32_e32 v34, 0xc3e00000
	v_mov_b32_e32 v35, 0x43e00000
	;;#ASMSTART
	v_med3_f32 v0, v0, v34, v35
v_med3_f32 v1, v1, v34, v35
v_cvt_pk_fp8_f32 v2, v0, v1
	;;#ASMEND
	;;#ASMSTART
	v_pk_mul_f32 v[0:1], v[32:33], v[36:37]
	;;#ASMEND
	;;#ASMSTART
	v_med3_f32 v0, v0, v34, v35
v_med3_f32 v1, v1, v34, v35
v_cvt_pk_fp8_f32 v3, v0, v1
	;;#ASMEND
	s_mov_b32 s4, 0x5040100
	v_perm_b32 v0, v3, v2, s4
	s_mov_b32 s5, 0x1060504
	v_perm_b32 v0, v0, v3, s5
	;;#ASMSTART
	v_pk_mul_f32 v[2:3], v[30:31], v[36:37]
	;;#ASMEND
	v_mov_b32_e32 v1, v3
	;;#ASMSTART
	v_med3_f32 v2, v2, v34, v35
v_med3_f32 v1, v1, v34, v35
v_cvt_pk_fp8_f32 v30, v2, v1
	;;#ASMEND
	;;#ASMSTART
	v_pk_mul_f32 v[2:3], v[28:29], v[36:37]
	;;#ASMEND
	v_mov_b32_e32 v1, v2
	;;#ASMSTART
	v_med3_f32 v1, v1, v34, v35
v_med3_f32 v3, v3, v34, v35
v_cvt_pk_fp8_f32 v2, v1, v3
	;;#ASMEND
	s_mov_b32 s6, 0x1000504
	v_perm_b32 v1, v30, v2, s6
	;;#ASMSTART
	v_pk_mul_f32 v[2:3], v[26:27], v[36:37]
	;;#ASMEND
	;;#ASMSTART
	v_med3_f32 v2, v2, v34, v35
v_med3_f32 v3, v3, v34, v35
v_cvt_pk_fp8_f32 v26, v2, v3
	;;#ASMEND
	;;#ASMSTART
	v_pk_mul_f32 v[2:3], v[24:25], v[36:37]
	;;#ASMEND
	;;#ASMSTART
	v_med3_f32 v2, v2, v34, v35
v_med3_f32 v3, v3, v34, v35
v_cvt_pk_fp8_f32 v24, v2, v3
	;;#ASMEND
	;;#ASMSTART
	v_pk_mul_f32 v[22:23], v[22:23], v[36:37]
	;;#ASMEND
	v_mov_b32_e32 v3, v23
	;;#ASMSTART
	v_med3_f32 v22, v22, v34, v35
v_med3_f32 v3, v3, v34, v35
v_cvt_pk_fp8_f32 v23, v22, v3
	;;#ASMEND
	;;#ASMSTART
	v_pk_mul_f32 v[20:21], v[20:21], v[36:37]
	;;#ASMEND
	v_mov_b32_e32 v3, v20
	;;#ASMSTART
	v_med3_f32 v3, v3, v34, v35
v_med3_f32 v21, v21, v34, v35
v_cvt_pk_fp8_f32 v20, v3, v21
	;;#ASMEND
	s_waitcnt lgkmcnt(0)
	s_and_b32 s1, s1, 0xffff
	s_mov_b32 s3, 0x20000
	v_perm_b32 v2, v26, v24, s6
	v_perm_b32 v3, v23, v20, s6
	buffer_store_dwordx4 v[0:3], v38, s[0:3], 0 offen
	;;#ASMSTART
	s_nop 0
	;;#ASMEND
	s_nop 0
	;;#ASMSTART
	v_pk_mul_f32 v[0:1], v[18:19], v[36:37]
	;;#ASMEND
	;;#ASMSTART
	v_med3_f32 v0, v0, v34, v35
v_med3_f32 v1, v1, v34, v35
v_cvt_pk_fp8_f32 v2, v0, v1
	;;#ASMEND
	;;#ASMSTART
	v_pk_mul_f32 v[0:1], v[16:17], v[36:37]
	;;#ASMEND
	;;#ASMSTART
	v_med3_f32 v0, v0, v34, v35
v_med3_f32 v1, v1, v34, v35
v_cvt_pk_fp8_f32 v3, v0, v1
	;;#ASMEND
	v_perm_b32 v0, v3, v2, s4
	v_perm_b32 v0, v0, v3, s5
	;;#ASMSTART
	v_pk_mul_f32 v[2:3], v[14:15], v[36:37]
	;;#ASMEND
	v_mov_b32_e32 v1, v3
	;;#ASMSTART
	v_med3_f32 v2, v2, v34, v35
v_med3_f32 v1, v1, v34, v35
v_cvt_pk_fp8_f32 v14, v2, v1
	;;#ASMEND
	;;#ASMSTART
	v_pk_mul_f32 v[2:3], v[12:13], v[36:37]
	;;#ASMEND
	v_mov_b32_e32 v1, v2
	;;#ASMSTART
	v_med3_f32 v1, v1, v34, v35
v_med3_f32 v3, v3, v34, v35
v_cvt_pk_fp8_f32 v2, v1, v3
	;;#ASMEND
	v_perm_b32 v1, v14, v2, s6
	;;#ASMSTART
	v_pk_mul_f32 v[2:3], v[10:11], v[36:37]
	;;#ASMEND
	;;#ASMSTART
	v_med3_f32 v2, v2, v34, v35
v_med3_f32 v3, v3, v34, v35
v_cvt_pk_fp8_f32 v10, v2, v3
	;;#ASMEND
	;;#ASMSTART
	v_pk_mul_f32 v[2:3], v[8:9], v[36:37]
	;;#ASMEND
	;;#ASMSTART
	v_med3_f32 v2, v2, v34, v35
v_med3_f32 v3, v3, v34, v35
v_cvt_pk_fp8_f32 v8, v2, v3
	;;#ASMEND
	;;#ASMSTART
	v_pk_mul_f32 v[6:7], v[6:7], v[36:37]
	;;#ASMEND
	v_mov_b32_e32 v3, v7
	;;#ASMSTART
	v_med3_f32 v6, v6, v34, v35
v_med3_f32 v3, v3, v34, v35
v_cvt_pk_fp8_f32 v7, v6, v3
	;;#ASMEND
	;;#ASMSTART
	v_pk_mul_f32 v[4:5], v[4:5], v[36:37]
	;;#ASMEND
	v_mov_b32_e32 v3, v4
	;;#ASMSTART
	v_med3_f32 v3, v3, v34, v35
v_med3_f32 v5, v5, v34, v35
v_cvt_pk_fp8_f32 v4, v3, v5
	;;#ASMEND
	v_perm_b32 v2, v10, v8, s6
	v_perm_b32 v3, v7, v4, s6
	buffer_store_dwordx4 v[0:3], v38, s[0:3], 16 offen
	;;#ASMSTART
	s_nop 0
	;;#ASMEND
	s_endpgm
	.section	.rodata,"a",@progbits
	.p2align	6, 0x0
	.amdhsa_kernel _ZN5aiter37dynamic_per_group_scaled_quant_kernelItDB8_Li32ELi128ELb0ELi64ELb0EEEvPT0_PfPKT_PKfliilPKii
		.amdhsa_group_segment_fixed_size 0
		.amdhsa_private_segment_fixed_size 0
		.amdhsa_kernarg_size 68
		.amdhsa_user_sgpr_count 6
		.amdhsa_user_sgpr_private_segment_buffer 1
		.amdhsa_user_sgpr_dispatch_ptr 0
		.amdhsa_user_sgpr_queue_ptr 0
		.amdhsa_user_sgpr_kernarg_segment_ptr 1
		.amdhsa_user_sgpr_dispatch_id 0
		.amdhsa_user_sgpr_flat_scratch_init 0
		.amdhsa_user_sgpr_kernarg_preload_length 0
		.amdhsa_user_sgpr_kernarg_preload_offset 0
		.amdhsa_user_sgpr_private_segment_size 0
		.amdhsa_uses_dynamic_stack 0
		.amdhsa_system_sgpr_private_segment_wavefront_offset 0
		.amdhsa_system_sgpr_workgroup_id_x 1
		.amdhsa_system_sgpr_workgroup_id_y 0
		.amdhsa_system_sgpr_workgroup_id_z 0
		.amdhsa_system_sgpr_workgroup_info 0
		.amdhsa_system_vgpr_workitem_id 0
		.amdhsa_next_free_vgpr 45
		.amdhsa_next_free_sgpr 14
		.amdhsa_accum_offset 48
		.amdhsa_reserve_vcc 1
		.amdhsa_reserve_flat_scratch 0
		.amdhsa_float_round_mode_32 0
		.amdhsa_float_round_mode_16_64 0
		.amdhsa_float_denorm_mode_32 3
		.amdhsa_float_denorm_mode_16_64 3
		.amdhsa_dx10_clamp 1
		.amdhsa_ieee_mode 1
		.amdhsa_fp16_overflow 0
		.amdhsa_tg_split 0
		.amdhsa_exception_fp_ieee_invalid_op 0
		.amdhsa_exception_fp_denorm_src 0
		.amdhsa_exception_fp_ieee_div_zero 0
		.amdhsa_exception_fp_ieee_overflow 0
		.amdhsa_exception_fp_ieee_underflow 0
		.amdhsa_exception_fp_ieee_inexact 0
		.amdhsa_exception_int_div_zero 0
	.end_amdhsa_kernel
	.section	.text._ZN5aiter37dynamic_per_group_scaled_quant_kernelItDB8_Li32ELi128ELb0ELi64ELb0EEEvPT0_PfPKT_PKfliilPKii,"axG",@progbits,_ZN5aiter37dynamic_per_group_scaled_quant_kernelItDB8_Li32ELi128ELb0ELi64ELb0EEEvPT0_PfPKT_PKfliilPKii,comdat
.Lfunc_end31:
	.size	_ZN5aiter37dynamic_per_group_scaled_quant_kernelItDB8_Li32ELi128ELb0ELi64ELb0EEEvPT0_PfPKT_PKfliilPKii, .Lfunc_end31-_ZN5aiter37dynamic_per_group_scaled_quant_kernelItDB8_Li32ELi128ELb0ELi64ELb0EEEvPT0_PfPKT_PKfliilPKii
                                        ; -- End function
	.section	.AMDGPU.csdata,"",@progbits
; Kernel info:
; codeLenInByte = 2456
; NumSgprs: 18
; NumVgprs: 45
; NumAgprs: 0
; TotalNumVgprs: 45
; ScratchSize: 0
; MemoryBound: 0
; FloatMode: 240
; IeeeMode: 1
; LDSByteSize: 0 bytes/workgroup (compile time only)
; SGPRBlocks: 2
; VGPRBlocks: 5
; NumSGPRsForWavesPerEU: 18
; NumVGPRsForWavesPerEU: 45
; AccumOffset: 48
; Occupancy: 8
; WaveLimiterHint : 0
; COMPUTE_PGM_RSRC2:SCRATCH_EN: 0
; COMPUTE_PGM_RSRC2:USER_SGPR: 6
; COMPUTE_PGM_RSRC2:TRAP_HANDLER: 0
; COMPUTE_PGM_RSRC2:TGID_X_EN: 1
; COMPUTE_PGM_RSRC2:TGID_Y_EN: 0
; COMPUTE_PGM_RSRC2:TGID_Z_EN: 0
; COMPUTE_PGM_RSRC2:TIDIG_COMP_CNT: 0
; COMPUTE_PGM_RSRC3_GFX90A:ACCUM_OFFSET: 11
; COMPUTE_PGM_RSRC3_GFX90A:TG_SPLIT: 0
	.section	.text._ZN5aiter37dynamic_per_group_scaled_quant_kernelIDF16_aLi32ELi128ELb0ELi64ELb0EEEvPT0_PfPKT_PKfliilPKii,"axG",@progbits,_ZN5aiter37dynamic_per_group_scaled_quant_kernelIDF16_aLi32ELi128ELb0ELi64ELb0EEEvPT0_PfPKT_PKfliilPKii,comdat
	.protected	_ZN5aiter37dynamic_per_group_scaled_quant_kernelIDF16_aLi32ELi128ELb0ELi64ELb0EEEvPT0_PfPKT_PKfliilPKii ; -- Begin function _ZN5aiter37dynamic_per_group_scaled_quant_kernelIDF16_aLi32ELi128ELb0ELi64ELb0EEEvPT0_PfPKT_PKfliilPKii
	.globl	_ZN5aiter37dynamic_per_group_scaled_quant_kernelIDF16_aLi32ELi128ELb0ELi64ELb0EEEvPT0_PfPKT_PKfliilPKii
	.p2align	8
	.type	_ZN5aiter37dynamic_per_group_scaled_quant_kernelIDF16_aLi32ELi128ELb0ELi64ELb0EEEvPT0_PfPKT_PKfliilPKii,@function
_ZN5aiter37dynamic_per_group_scaled_quant_kernelIDF16_aLi32ELi128ELb0ELi64ELb0EEEvPT0_PfPKT_PKfliilPKii: ; @_ZN5aiter37dynamic_per_group_scaled_quant_kernelIDF16_aLi32ELi128ELb0ELi64ELb0EEEvPT0_PfPKT_PKfliilPKii
; %bb.0:
	s_load_dwordx2 s[0:1], s[4:5], 0x38
	s_waitcnt lgkmcnt(0)
	s_cmp_eq_u64 s[0:1], 0
	s_cbranch_scc1 .LBB32_2
; %bb.1:
	s_load_dword s2, s[4:5], 0x40
	s_load_dword s3, s[0:1], 0x0
	s_waitcnt lgkmcnt(0)
	s_mul_hi_i32 s9, s3, s2
	s_mul_i32 s8, s3, s2
	s_branch .LBB32_3
.LBB32_2:
	s_load_dwordx2 s[8:9], s[4:5], 0x20
.LBB32_3:
	s_load_dwordx2 s[2:3], s[4:5], 0x28
	s_mov_b32 s7, 0
	s_lshl_b64 s[0:1], s[6:7], 6
	v_or_b32_e32 v4, s0, v0
	v_mov_b32_e32 v5, s1
	s_waitcnt lgkmcnt(0)
	s_ashr_i32 s0, s2, 31
	s_lshr_b32 s0, s0, 25
	s_add_i32 s0, s2, s0
	s_ashr_i32 s2, s0, 7
	v_lshrrev_b64 v[18:19], 2, v[4:5]
	s_ashr_i32 s0, s2, 31
	v_or_b32_e32 v3, s0, v19
	v_mov_b32_e32 v2, 0
	v_cmp_ne_u64_e32 vcc, 0, v[2:3]
                                        ; implicit-def: $vgpr2_vgpr3
	s_and_saveexec_b64 s[6:7], vcc
	s_xor_b64 s[6:7], exec, s[6:7]
	s_cbranch_execnz .LBB32_7
; %bb.4:
	s_andn2_saveexec_b64 s[0:1], s[6:7]
	s_cbranch_execnz .LBB32_8
.LBB32_5:
	s_or_b64 exec, exec, s[0:1]
	v_cmp_gt_i64_e32 vcc, s[8:9], v[2:3]
	s_and_saveexec_b64 s[0:1], vcc
	s_cbranch_execnz .LBB32_9
.LBB32_6:
	s_endpgm
.LBB32_7:
	s_add_u32 s12, s2, s0
	s_mov_b32 s10, s0
	s_mov_b32 s11, s0
	s_addc_u32 s13, s0, s0
	s_xor_b64 s[12:13], s[12:13], s[10:11]
	v_cvt_f32_u32_e32 v1, s12
	v_cvt_f32_u32_e32 v2, s13
	s_sub_u32 s0, 0, s12
	s_subb_u32 s1, 0, s13
	v_madmk_f32 v1, v2, 0x4f800000, v1
	v_rcp_f32_e32 v1, v1
	v_mul_f32_e32 v1, 0x5f7ffffc, v1
	v_mul_f32_e32 v2, 0x2f800000, v1
	v_trunc_f32_e32 v2, v2
	v_madmk_f32 v1, v2, 0xcf800000, v1
	v_cvt_u32_f32_e32 v2, v2
	v_cvt_u32_f32_e32 v1, v1
	v_mul_lo_u32 v3, s0, v2
	v_mul_hi_u32 v5, s0, v1
	v_mul_lo_u32 v4, s1, v1
	v_add_u32_e32 v3, v5, v3
	v_mul_lo_u32 v6, s0, v1
	v_add_u32_e32 v3, v3, v4
	v_mul_lo_u32 v5, v1, v3
	v_mul_hi_u32 v7, v1, v6
	v_mul_hi_u32 v4, v1, v3
	v_add_co_u32_e32 v5, vcc, v7, v5
	v_addc_co_u32_e32 v4, vcc, 0, v4, vcc
	v_mul_hi_u32 v8, v2, v6
	v_mul_lo_u32 v6, v2, v6
	v_add_co_u32_e32 v5, vcc, v5, v6
	v_mul_hi_u32 v7, v2, v3
	v_addc_co_u32_e32 v4, vcc, v4, v8, vcc
	v_addc_co_u32_e32 v5, vcc, 0, v7, vcc
	v_mul_lo_u32 v3, v2, v3
	v_add_co_u32_e32 v3, vcc, v4, v3
	v_addc_co_u32_e32 v4, vcc, 0, v5, vcc
	v_add_co_u32_e32 v1, vcc, v1, v3
	v_addc_co_u32_e32 v2, vcc, v2, v4, vcc
	v_mul_lo_u32 v3, s0, v2
	v_mul_hi_u32 v4, s0, v1
	v_add_u32_e32 v3, v4, v3
	v_mul_lo_u32 v4, s1, v1
	v_add_u32_e32 v3, v3, v4
	v_mul_lo_u32 v5, s0, v1
	v_mul_hi_u32 v6, v2, v5
	v_mul_lo_u32 v7, v2, v5
	v_mul_lo_u32 v9, v1, v3
	v_mul_hi_u32 v5, v1, v5
	v_mul_hi_u32 v8, v1, v3
	v_add_co_u32_e32 v5, vcc, v5, v9
	v_addc_co_u32_e32 v8, vcc, 0, v8, vcc
	v_add_co_u32_e32 v5, vcc, v5, v7
	v_mul_hi_u32 v4, v2, v3
	v_addc_co_u32_e32 v5, vcc, v8, v6, vcc
	v_addc_co_u32_e32 v4, vcc, 0, v4, vcc
	v_mul_lo_u32 v3, v2, v3
	v_add_co_u32_e32 v3, vcc, v5, v3
	v_addc_co_u32_e32 v4, vcc, 0, v4, vcc
	v_add_co_u32_e32 v1, vcc, v1, v3
	v_addc_co_u32_e32 v4, vcc, v2, v4, vcc
	v_mad_u64_u32 v[2:3], s[0:1], v18, v4, 0
	v_mul_hi_u32 v5, v18, v1
	v_add_co_u32_e32 v6, vcc, v5, v2
	v_addc_co_u32_e32 v7, vcc, 0, v3, vcc
	v_mad_u64_u32 v[2:3], s[0:1], v19, v4, 0
	v_mad_u64_u32 v[4:5], s[0:1], v19, v1, 0
	v_add_co_u32_e32 v1, vcc, v6, v4
	v_addc_co_u32_e32 v1, vcc, v7, v5, vcc
	v_addc_co_u32_e32 v3, vcc, 0, v3, vcc
	v_add_co_u32_e32 v1, vcc, v1, v2
	v_addc_co_u32_e32 v4, vcc, 0, v3, vcc
	v_mul_lo_u32 v5, s13, v1
	v_mul_lo_u32 v6, s12, v4
	v_mad_u64_u32 v[2:3], s[0:1], s12, v1, 0
	v_add3_u32 v3, v3, v6, v5
	v_sub_u32_e32 v5, v19, v3
	v_mov_b32_e32 v6, s13
	v_sub_co_u32_e32 v2, vcc, v18, v2
	v_subb_co_u32_e64 v5, s[0:1], v5, v6, vcc
	v_subrev_co_u32_e64 v6, s[0:1], s12, v2
	v_subbrev_co_u32_e64 v5, s[0:1], 0, v5, s[0:1]
	v_cmp_le_u32_e64 s[0:1], s13, v5
	v_cndmask_b32_e64 v7, 0, -1, s[0:1]
	v_cmp_le_u32_e64 s[0:1], s12, v6
	v_cndmask_b32_e64 v6, 0, -1, s[0:1]
	v_cmp_eq_u32_e64 s[0:1], s13, v5
	v_cndmask_b32_e64 v5, v7, v6, s[0:1]
	v_add_co_u32_e64 v6, s[0:1], 2, v1
	v_addc_co_u32_e64 v7, s[0:1], 0, v4, s[0:1]
	v_add_co_u32_e64 v8, s[0:1], 1, v1
	v_addc_co_u32_e64 v9, s[0:1], 0, v4, s[0:1]
	v_subb_co_u32_e32 v3, vcc, v19, v3, vcc
	v_cmp_ne_u32_e64 s[0:1], 0, v5
	v_cmp_le_u32_e32 vcc, s13, v3
	v_cndmask_b32_e64 v5, v9, v7, s[0:1]
	v_cndmask_b32_e64 v7, 0, -1, vcc
	v_cmp_le_u32_e32 vcc, s12, v2
	v_cndmask_b32_e64 v2, 0, -1, vcc
	v_cmp_eq_u32_e32 vcc, s13, v3
	v_cndmask_b32_e32 v2, v7, v2, vcc
	v_cmp_ne_u32_e32 vcc, 0, v2
	v_cndmask_b32_e64 v3, v8, v6, s[0:1]
	v_cndmask_b32_e32 v1, v1, v3, vcc
	v_cndmask_b32_e32 v2, v4, v5, vcc
	v_xor_b32_e32 v1, s10, v1
	v_xor_b32_e32 v3, s11, v2
	v_mov_b32_e32 v4, s11
	v_subrev_co_u32_e32 v2, vcc, s10, v1
	v_subb_co_u32_e32 v3, vcc, v3, v4, vcc
                                        ; implicit-def: $vgpr4_vgpr5
	s_andn2_saveexec_b64 s[0:1], s[6:7]
	s_cbranch_execz .LBB32_5
.LBB32_8:
	v_cvt_f32_u32_e32 v1, s2
	s_sub_i32 s6, 0, s2
	v_alignbit_b32 v2, v5, v4, 2
	v_rcp_iflag_f32_e32 v1, v1
	v_mul_f32_e32 v1, 0x4f7ffffe, v1
	v_cvt_u32_f32_e32 v1, v1
	v_mul_lo_u32 v3, s6, v1
	v_mul_hi_u32 v3, v1, v3
	v_add_u32_e32 v1, v1, v3
	v_mul_hi_u32 v1, v2, v1
	v_mul_lo_u32 v3, v1, s2
	v_sub_u32_e32 v2, v2, v3
	v_add_u32_e32 v4, 1, v1
	v_subrev_u32_e32 v3, s2, v2
	v_cmp_le_u32_e32 vcc, s2, v2
	v_cndmask_b32_e32 v2, v2, v3, vcc
	v_cndmask_b32_e32 v1, v1, v4, vcc
	v_add_u32_e32 v3, 1, v1
	v_cmp_le_u32_e32 vcc, s2, v2
	v_cndmask_b32_e32 v2, v1, v3, vcc
	v_mov_b32_e32 v3, 0
	s_or_b64 exec, exec, s[0:1]
	v_cmp_gt_i64_e32 vcc, s[8:9], v[2:3]
	s_and_saveexec_b64 s[0:1], vcc
	s_cbranch_execz .LBB32_6
.LBB32_9:
	s_load_dwordx2 s[0:1], s[4:5], 0x10
	v_mul_lo_u32 v1, v2, s2
	s_ashr_i32 s2, s3, 31
	v_mul_lo_u32 v4, v3, s3
	v_mul_lo_u32 v5, v2, s2
	v_mad_u64_u32 v[2:3], s[2:3], v2, s3, 0
	v_add3_u32 v3, v3, v5, v4
	v_sub_u32_e32 v1, v18, v1
	v_lshlrev_b64 v[2:3], 1, v[2:3]
	v_lshlrev_b32_e32 v4, 7, v1
	v_mov_b32_e32 v5, 0
	s_waitcnt lgkmcnt(0)
	v_mov_b32_e32 v1, s1
	v_add_co_u32_e32 v6, vcc, s0, v2
	v_addc_co_u32_e32 v1, vcc, v1, v3, vcc
	v_lshlrev_b64 v[2:3], 1, v[4:5]
	v_add_co_u32_e32 v2, vcc, v6, v2
	v_and_b32_e32 v22, 3, v0
	v_addc_co_u32_e32 v1, vcc, v1, v3, vcc
	v_lshlrev_b32_e32 v3, 6, v22
	v_add_co_u32_e32 v20, vcc, v2, v3
	v_addc_co_u32_e32 v21, vcc, 0, v1, vcc
	global_load_dwordx4 v[14:17], v[20:21], off
	global_load_dwordx4 v[10:13], v[20:21], off offset:16
	global_load_dwordx4 v[6:9], v[20:21], off offset:32
	;; [unrolled: 1-line block ×3, first 2 shown]
	s_mov_b32 s2, 0x2edbe6ff
	s_load_dwordx2 s[0:1], s[4:5], 0x0
	s_waitcnt vmcnt(3)
	v_cvt_f32_f16_e64 v1, |v14|
	v_cvt_f32_f16_sdwa v20, |v14| dst_sel:DWORD dst_unused:UNUSED_PAD src0_sel:WORD_1
	v_cvt_f32_f16_e64 v21, |v15|
	v_cvt_f32_f16_sdwa v23, |v15| dst_sel:DWORD dst_unused:UNUSED_PAD src0_sel:WORD_1
	;; [unrolled: 2-line block ×4, first 2 shown]
	s_waitcnt vmcnt(2)
	v_cvt_f32_f16_e64 v28, |v10|
	v_cvt_f32_f16_sdwa v29, |v10| dst_sel:DWORD dst_unused:UNUSED_PAD src0_sel:WORD_1
	v_max3_f32 v1, v1, s2, v20
	v_cvt_f32_f16_e64 v30, |v11|
	v_cvt_f32_f16_sdwa v31, |v11| dst_sel:DWORD dst_unused:UNUSED_PAD src0_sel:WORD_1
	v_max3_f32 v1, v1, v21, v23
	v_cvt_f32_f16_e64 v32, |v12|
	v_cvt_f32_f16_sdwa v33, |v12| dst_sel:DWORD dst_unused:UNUSED_PAD src0_sel:WORD_1
	v_max3_f32 v1, v1, v24, v25
	v_cvt_f32_f16_e64 v34, |v13|
	v_cvt_f32_f16_sdwa v35, |v13| dst_sel:DWORD dst_unused:UNUSED_PAD src0_sel:WORD_1
	v_max3_f32 v1, v1, v26, v27
	s_waitcnt vmcnt(1)
	v_cvt_f32_f16_e64 v36, |v6|
	v_cvt_f32_f16_sdwa v37, |v6| dst_sel:DWORD dst_unused:UNUSED_PAD src0_sel:WORD_1
	v_max3_f32 v1, v1, v28, v29
	v_cvt_f32_f16_e64 v38, |v7|
	v_cvt_f32_f16_sdwa v39, |v7| dst_sel:DWORD dst_unused:UNUSED_PAD src0_sel:WORD_1
	v_max3_f32 v1, v1, v30, v31
	v_cvt_f32_f16_e64 v40, |v8|
	v_cvt_f32_f16_sdwa v41, |v8| dst_sel:DWORD dst_unused:UNUSED_PAD src0_sel:WORD_1
	v_max3_f32 v1, v1, v32, v33
	v_cvt_f32_f16_e64 v42, |v9|
	v_cvt_f32_f16_sdwa v43, |v9| dst_sel:DWORD dst_unused:UNUSED_PAD src0_sel:WORD_1
	v_max3_f32 v1, v1, v34, v35
	;; [unrolled: 13-line block ×3, first 2 shown]
	v_max3_f32 v1, v1, v44, v45
	v_max3_f32 v1, v1, v46, v47
	v_max3_f32 v1, v1, v48, v49
	v_max3_f32 v1, v1, v50, v51
	s_nop 1
	v_mov_b32_dpp v20, v1 quad_perm:[1,0,3,2] row_mask:0xf bank_mask:0xf
	v_cmp_gt_f32_e32 vcc, v1, v20
	v_cndmask_b32_e32 v1, v20, v1, vcc
	s_nop 1
	v_mov_b32_dpp v20, v1 quad_perm:[2,3,0,1] row_mask:0xf bank_mask:0xf
	v_cmp_gt_f32_e32 vcc, v1, v20
	v_cndmask_b32_e32 v1, v20, v1, vcc
	v_mul_f32_e32 v1, 0x3c010204, v1
	v_cmp_eq_u32_e32 vcc, 0, v22
	s_and_saveexec_b64 s[2:3], vcc
	s_cbranch_execz .LBB32_11
; %bb.10:
	s_load_dwordx2 s[6:7], s[4:5], 0x8
	v_lshlrev_b64 v[20:21], 2, v[18:19]
	s_waitcnt lgkmcnt(0)
	v_mov_b32_e32 v19, s7
	v_add_co_u32_e32 v20, vcc, s6, v20
	v_addc_co_u32_e32 v21, vcc, v19, v21, vcc
	global_store_dword v[20:21], v1, off
.LBB32_11:
	s_or_b64 exec, exec, s[2:3]
	v_div_scale_f32 v19, s[2:3], v1, v1, 1.0
	v_rcp_f32_e32 v20, v19
	v_lshlrev_b32_e32 v21, 5, v0
	v_lshlrev_b32_e32 v18, 7, v18
	s_load_dword s2, s[4:5], 0x30
	v_fma_f32 v0, -v19, v20, 1.0
	v_fmac_f32_e32 v20, v0, v20
	v_div_scale_f32 v0, vcc, 1.0, v1, 1.0
	v_mul_f32_e32 v22, v0, v20
	v_fma_f32 v23, -v19, v22, v0
	v_fmac_f32_e32 v22, v23, v20
	v_fma_f32 v0, -v19, v22, v0
	v_div_fmas_f32 v0, v0, v20, v22
	s_movk_i32 s4, 0x60
	v_div_fixup_f32 v0, v0, v1, 1.0
	v_and_or_b32 v26, v21, s4, v18
	v_cvt_f32_f16_e32 v18, v14
	v_cvt_f32_f16_sdwa v19, v14 dst_sel:DWORD dst_unused:UNUSED_PAD src0_sel:WORD_1
	v_cvt_f32_f16_e32 v14, v15
	v_cvt_f32_f16_sdwa v15, v15 dst_sel:DWORD dst_unused:UNUSED_PAD src0_sel:WORD_1
	v_mov_b32_e32 v1, v0
	;;#ASMSTART
	v_pk_mul_f32 v[18:19], v[18:19], v[0:1]
	;;#ASMEND
	;;#ASMSTART
	v_pk_mul_f32 v[14:15], v[14:15], v[0:1]
	;;#ASMEND
	v_cvt_f32_f16_e32 v20, v16
	v_cvt_f32_f16_sdwa v21, v16 dst_sel:DWORD dst_unused:UNUSED_PAD src0_sel:WORD_1
	v_cvt_i32_f32_e32 v27, v14
	v_cvt_i32_f32_sdwa v28, v15 dst_sel:BYTE_1 dst_unused:UNUSED_PAD src0_sel:DWORD
	;;#ASMSTART
	v_pk_mul_f32 v[14:15], v[20:21], v[0:1]
	;;#ASMEND
	v_cvt_f32_f16_e32 v16, v17
	v_cvt_f32_f16_sdwa v17, v17 dst_sel:DWORD dst_unused:UNUSED_PAD src0_sel:WORD_1
	v_cvt_f32_f16_e32 v22, v10
	v_cvt_f32_f16_sdwa v23, v10 dst_sel:DWORD dst_unused:UNUSED_PAD src0_sel:WORD_1
	;; [unrolled: 2-line block ×3, first 2 shown]
	v_cvt_i32_f32_e32 v18, v18
	v_cvt_i32_f32_sdwa v19, v19 dst_sel:BYTE_1 dst_unused:UNUSED_PAD src0_sel:DWORD
	v_cvt_i32_f32_e32 v20, v14
	v_cvt_i32_f32_sdwa v21, v15 dst_sel:BYTE_1 dst_unused:UNUSED_PAD src0_sel:DWORD
	;;#ASMSTART
	v_pk_mul_f32 v[14:15], v[16:17], v[0:1]
	;;#ASMEND
	v_cvt_i32_f32_e32 v16, v14
	v_cvt_i32_f32_sdwa v17, v15 dst_sel:BYTE_1 dst_unused:UNUSED_PAD src0_sel:DWORD
	;;#ASMSTART
	v_pk_mul_f32 v[14:15], v[22:23], v[0:1]
	;;#ASMEND
	;;#ASMSTART
	v_pk_mul_f32 v[10:11], v[10:11], v[0:1]
	;;#ASMEND
	v_cvt_f32_f16_e32 v24, v12
	v_cvt_f32_f16_sdwa v25, v12 dst_sel:DWORD dst_unused:UNUSED_PAD src0_sel:WORD_1
	v_cvt_f32_f16_e32 v12, v13
	v_cvt_f32_f16_sdwa v13, v13 dst_sel:DWORD dst_unused:UNUSED_PAD src0_sel:WORD_1
	v_cvt_i32_f32_e32 v14, v14
	v_cvt_i32_f32_sdwa v15, v15 dst_sel:BYTE_1 dst_unused:UNUSED_PAD src0_sel:DWORD
	v_cvt_i32_f32_e32 v22, v10
	v_cvt_i32_f32_sdwa v23, v11 dst_sel:BYTE_1 dst_unused:UNUSED_PAD src0_sel:DWORD
	;;#ASMSTART
	v_pk_mul_f32 v[10:11], v[24:25], v[0:1]
	;;#ASMEND
	v_cvt_i32_f32_e32 v24, v10
	v_cvt_i32_f32_sdwa v25, v11 dst_sel:BYTE_1 dst_unused:UNUSED_PAD src0_sel:DWORD
	;;#ASMSTART
	v_pk_mul_f32 v[10:11], v[12:13], v[0:1]
	;;#ASMEND
	v_cvt_i32_f32_e32 v13, v10
	v_cvt_i32_f32_sdwa v29, v11 dst_sel:BYTE_1 dst_unused:UNUSED_PAD src0_sel:DWORD
	v_or_b32_sdwa v10, v18, v19 dst_sel:DWORD dst_unused:UNUSED_PAD src0_sel:BYTE_0 src1_sel:DWORD
	v_or_b32_sdwa v11, v27, v28 dst_sel:WORD_1 dst_unused:UNUSED_PAD src0_sel:BYTE_0 src1_sel:DWORD
	v_or_b32_sdwa v10, v10, v11 dst_sel:DWORD dst_unused:UNUSED_PAD src0_sel:WORD_0 src1_sel:DWORD
	v_or_b32_sdwa v11, v20, v21 dst_sel:DWORD dst_unused:UNUSED_PAD src0_sel:BYTE_0 src1_sel:DWORD
	v_or_b32_sdwa v12, v16, v17 dst_sel:WORD_1 dst_unused:UNUSED_PAD src0_sel:BYTE_0 src1_sel:DWORD
	v_or_b32_sdwa v11, v11, v12 dst_sel:DWORD dst_unused:UNUSED_PAD src0_sel:WORD_0 src1_sel:DWORD
	v_or_b32_sdwa v12, v14, v15 dst_sel:DWORD dst_unused:UNUSED_PAD src0_sel:BYTE_0 src1_sel:DWORD
	v_or_b32_sdwa v14, v22, v23 dst_sel:WORD_1 dst_unused:UNUSED_PAD src0_sel:BYTE_0 src1_sel:DWORD
	v_or_b32_sdwa v12, v12, v14 dst_sel:DWORD dst_unused:UNUSED_PAD src0_sel:WORD_0 src1_sel:DWORD
	v_or_b32_sdwa v14, v24, v25 dst_sel:DWORD dst_unused:UNUSED_PAD src0_sel:BYTE_0 src1_sel:DWORD
	v_or_b32_sdwa v13, v13, v29 dst_sel:WORD_1 dst_unused:UNUSED_PAD src0_sel:BYTE_0 src1_sel:DWORD
	s_waitcnt lgkmcnt(0)
	s_and_b32 s1, s1, 0xffff
	s_mov_b32 s3, 0x20000
	v_or_b32_sdwa v13, v14, v13 dst_sel:DWORD dst_unused:UNUSED_PAD src0_sel:WORD_0 src1_sel:DWORD
	buffer_store_dwordx4 v[10:13], v26, s[0:3], 0 offen
	;;#ASMSTART
	s_nop 0
	;;#ASMEND
	v_cvt_f32_f16_e32 v14, v2
	v_cvt_f32_f16_e32 v10, v6
	v_cvt_f32_f16_sdwa v11, v6 dst_sel:DWORD dst_unused:UNUSED_PAD src0_sel:WORD_1
	v_cvt_f32_f16_e32 v6, v7
	v_cvt_f32_f16_sdwa v7, v7 dst_sel:DWORD dst_unused:UNUSED_PAD src0_sel:WORD_1
	;;#ASMSTART
	v_pk_mul_f32 v[10:11], v[10:11], v[0:1]
	;;#ASMEND
	;;#ASMSTART
	v_pk_mul_f32 v[6:7], v[6:7], v[0:1]
	;;#ASMEND
	v_cvt_f32_f16_e32 v12, v8
	v_cvt_f32_f16_sdwa v13, v8 dst_sel:DWORD dst_unused:UNUSED_PAD src0_sel:WORD_1
	v_cvt_i32_f32_e32 v18, v6
	v_cvt_i32_f32_sdwa v19, v7 dst_sel:BYTE_1 dst_unused:UNUSED_PAD src0_sel:DWORD
	;;#ASMSTART
	v_pk_mul_f32 v[6:7], v[12:13], v[0:1]
	;;#ASMEND
	v_cvt_f32_f16_e32 v8, v9
	v_cvt_f32_f16_sdwa v9, v9 dst_sel:DWORD dst_unused:UNUSED_PAD src0_sel:WORD_1
	v_cvt_f32_f16_sdwa v15, v2 dst_sel:DWORD dst_unused:UNUSED_PAD src0_sel:WORD_1
	v_cvt_f32_f16_e32 v2, v3
	v_cvt_f32_f16_sdwa v3, v3 dst_sel:DWORD dst_unused:UNUSED_PAD src0_sel:WORD_1
	v_cvt_i32_f32_e32 v12, v6
	v_cvt_i32_f32_sdwa v13, v7 dst_sel:BYTE_1 dst_unused:UNUSED_PAD src0_sel:DWORD
	;;#ASMSTART
	v_pk_mul_f32 v[6:7], v[8:9], v[0:1]
	;;#ASMEND
	v_cvt_i32_f32_e32 v10, v10
	v_cvt_i32_f32_sdwa v11, v11 dst_sel:BYTE_1 dst_unused:UNUSED_PAD src0_sel:DWORD
	v_cvt_i32_f32_e32 v8, v6
	v_cvt_i32_f32_sdwa v9, v7 dst_sel:BYTE_1 dst_unused:UNUSED_PAD src0_sel:DWORD
	;;#ASMSTART
	v_pk_mul_f32 v[6:7], v[14:15], v[0:1]
	;;#ASMEND
	;;#ASMSTART
	v_pk_mul_f32 v[2:3], v[2:3], v[0:1]
	;;#ASMEND
	v_cvt_f32_f16_e32 v16, v4
	v_cvt_f32_f16_sdwa v17, v4 dst_sel:DWORD dst_unused:UNUSED_PAD src0_sel:WORD_1
	v_cvt_f32_f16_e32 v4, v5
	v_cvt_f32_f16_sdwa v5, v5 dst_sel:DWORD dst_unused:UNUSED_PAD src0_sel:WORD_1
	v_cvt_i32_f32_e32 v14, v2
	v_cvt_i32_f32_sdwa v15, v3 dst_sel:BYTE_1 dst_unused:UNUSED_PAD src0_sel:DWORD
	;;#ASMSTART
	v_pk_mul_f32 v[2:3], v[16:17], v[0:1]
	;;#ASMEND
	v_cvt_i32_f32_e32 v6, v6
	v_cvt_i32_f32_sdwa v7, v7 dst_sel:BYTE_1 dst_unused:UNUSED_PAD src0_sel:DWORD
	v_cvt_i32_f32_e32 v16, v2
	v_cvt_i32_f32_sdwa v3, v3 dst_sel:BYTE_1 dst_unused:UNUSED_PAD src0_sel:DWORD
	;;#ASMSTART
	v_pk_mul_f32 v[0:1], v[4:5], v[0:1]
	;;#ASMEND
	v_cvt_i32_f32_e32 v4, v0
	v_cvt_i32_f32_sdwa v5, v1 dst_sel:BYTE_1 dst_unused:UNUSED_PAD src0_sel:DWORD
	v_or_b32_sdwa v0, v10, v11 dst_sel:DWORD dst_unused:UNUSED_PAD src0_sel:BYTE_0 src1_sel:DWORD
	v_or_b32_sdwa v1, v18, v19 dst_sel:WORD_1 dst_unused:UNUSED_PAD src0_sel:BYTE_0 src1_sel:DWORD
	v_or_b32_sdwa v0, v0, v1 dst_sel:DWORD dst_unused:UNUSED_PAD src0_sel:WORD_0 src1_sel:DWORD
	v_or_b32_sdwa v1, v12, v13 dst_sel:DWORD dst_unused:UNUSED_PAD src0_sel:BYTE_0 src1_sel:DWORD
	v_or_b32_sdwa v2, v8, v9 dst_sel:WORD_1 dst_unused:UNUSED_PAD src0_sel:BYTE_0 src1_sel:DWORD
	v_or_b32_sdwa v1, v1, v2 dst_sel:DWORD dst_unused:UNUSED_PAD src0_sel:WORD_0 src1_sel:DWORD
	v_or_b32_sdwa v2, v6, v7 dst_sel:DWORD dst_unused:UNUSED_PAD src0_sel:BYTE_0 src1_sel:DWORD
	v_or_b32_sdwa v6, v14, v15 dst_sel:WORD_1 dst_unused:UNUSED_PAD src0_sel:BYTE_0 src1_sel:DWORD
	v_or_b32_sdwa v3, v16, v3 dst_sel:DWORD dst_unused:UNUSED_PAD src0_sel:BYTE_0 src1_sel:DWORD
	v_or_b32_sdwa v4, v4, v5 dst_sel:WORD_1 dst_unused:UNUSED_PAD src0_sel:BYTE_0 src1_sel:DWORD
	v_or_b32_sdwa v2, v2, v6 dst_sel:DWORD dst_unused:UNUSED_PAD src0_sel:WORD_0 src1_sel:DWORD
	v_or_b32_sdwa v3, v3, v4 dst_sel:DWORD dst_unused:UNUSED_PAD src0_sel:WORD_0 src1_sel:DWORD
	buffer_store_dwordx4 v[0:3], v26, s[0:3], 16 offen
	;;#ASMSTART
	s_nop 0
	;;#ASMEND
	s_endpgm
	.section	.rodata,"a",@progbits
	.p2align	6, 0x0
	.amdhsa_kernel _ZN5aiter37dynamic_per_group_scaled_quant_kernelIDF16_aLi32ELi128ELb0ELi64ELb0EEEvPT0_PfPKT_PKfliilPKii
		.amdhsa_group_segment_fixed_size 0
		.amdhsa_private_segment_fixed_size 0
		.amdhsa_kernarg_size 68
		.amdhsa_user_sgpr_count 6
		.amdhsa_user_sgpr_private_segment_buffer 1
		.amdhsa_user_sgpr_dispatch_ptr 0
		.amdhsa_user_sgpr_queue_ptr 0
		.amdhsa_user_sgpr_kernarg_segment_ptr 1
		.amdhsa_user_sgpr_dispatch_id 0
		.amdhsa_user_sgpr_flat_scratch_init 0
		.amdhsa_user_sgpr_kernarg_preload_length 0
		.amdhsa_user_sgpr_kernarg_preload_offset 0
		.amdhsa_user_sgpr_private_segment_size 0
		.amdhsa_uses_dynamic_stack 0
		.amdhsa_system_sgpr_private_segment_wavefront_offset 0
		.amdhsa_system_sgpr_workgroup_id_x 1
		.amdhsa_system_sgpr_workgroup_id_y 0
		.amdhsa_system_sgpr_workgroup_id_z 0
		.amdhsa_system_sgpr_workgroup_info 0
		.amdhsa_system_vgpr_workitem_id 0
		.amdhsa_next_free_vgpr 52
		.amdhsa_next_free_sgpr 14
		.amdhsa_accum_offset 52
		.amdhsa_reserve_vcc 1
		.amdhsa_reserve_flat_scratch 0
		.amdhsa_float_round_mode_32 0
		.amdhsa_float_round_mode_16_64 0
		.amdhsa_float_denorm_mode_32 3
		.amdhsa_float_denorm_mode_16_64 3
		.amdhsa_dx10_clamp 1
		.amdhsa_ieee_mode 1
		.amdhsa_fp16_overflow 0
		.amdhsa_tg_split 0
		.amdhsa_exception_fp_ieee_invalid_op 0
		.amdhsa_exception_fp_denorm_src 0
		.amdhsa_exception_fp_ieee_div_zero 0
		.amdhsa_exception_fp_ieee_overflow 0
		.amdhsa_exception_fp_ieee_underflow 0
		.amdhsa_exception_fp_ieee_inexact 0
		.amdhsa_exception_int_div_zero 0
	.end_amdhsa_kernel
	.section	.text._ZN5aiter37dynamic_per_group_scaled_quant_kernelIDF16_aLi32ELi128ELb0ELi64ELb0EEEvPT0_PfPKT_PKfliilPKii,"axG",@progbits,_ZN5aiter37dynamic_per_group_scaled_quant_kernelIDF16_aLi32ELi128ELb0ELi64ELb0EEEvPT0_PfPKT_PKfliilPKii,comdat
.Lfunc_end32:
	.size	_ZN5aiter37dynamic_per_group_scaled_quant_kernelIDF16_aLi32ELi128ELb0ELi64ELb0EEEvPT0_PfPKT_PKfliilPKii, .Lfunc_end32-_ZN5aiter37dynamic_per_group_scaled_quant_kernelIDF16_aLi32ELi128ELb0ELi64ELb0EEEvPT0_PfPKT_PKfliilPKii
                                        ; -- End function
	.section	.AMDGPU.csdata,"",@progbits
; Kernel info:
; codeLenInByte = 2492
; NumSgprs: 18
; NumVgprs: 52
; NumAgprs: 0
; TotalNumVgprs: 52
; ScratchSize: 0
; MemoryBound: 0
; FloatMode: 240
; IeeeMode: 1
; LDSByteSize: 0 bytes/workgroup (compile time only)
; SGPRBlocks: 2
; VGPRBlocks: 6
; NumSGPRsForWavesPerEU: 18
; NumVGPRsForWavesPerEU: 52
; AccumOffset: 52
; Occupancy: 8
; WaveLimiterHint : 0
; COMPUTE_PGM_RSRC2:SCRATCH_EN: 0
; COMPUTE_PGM_RSRC2:USER_SGPR: 6
; COMPUTE_PGM_RSRC2:TRAP_HANDLER: 0
; COMPUTE_PGM_RSRC2:TGID_X_EN: 1
; COMPUTE_PGM_RSRC2:TGID_Y_EN: 0
; COMPUTE_PGM_RSRC2:TGID_Z_EN: 0
; COMPUTE_PGM_RSRC2:TIDIG_COMP_CNT: 0
; COMPUTE_PGM_RSRC3_GFX90A:ACCUM_OFFSET: 12
; COMPUTE_PGM_RSRC3_GFX90A:TG_SPLIT: 0
	.section	.text._ZN5aiter37dynamic_per_group_scaled_quant_kernelItaLi32ELi128ELb0ELi64ELb0EEEvPT0_PfPKT_PKfliilPKii,"axG",@progbits,_ZN5aiter37dynamic_per_group_scaled_quant_kernelItaLi32ELi128ELb0ELi64ELb0EEEvPT0_PfPKT_PKfliilPKii,comdat
	.protected	_ZN5aiter37dynamic_per_group_scaled_quant_kernelItaLi32ELi128ELb0ELi64ELb0EEEvPT0_PfPKT_PKfliilPKii ; -- Begin function _ZN5aiter37dynamic_per_group_scaled_quant_kernelItaLi32ELi128ELb0ELi64ELb0EEEvPT0_PfPKT_PKfliilPKii
	.globl	_ZN5aiter37dynamic_per_group_scaled_quant_kernelItaLi32ELi128ELb0ELi64ELb0EEEvPT0_PfPKT_PKfliilPKii
	.p2align	8
	.type	_ZN5aiter37dynamic_per_group_scaled_quant_kernelItaLi32ELi128ELb0ELi64ELb0EEEvPT0_PfPKT_PKfliilPKii,@function
_ZN5aiter37dynamic_per_group_scaled_quant_kernelItaLi32ELi128ELb0ELi64ELb0EEEvPT0_PfPKT_PKfliilPKii: ; @_ZN5aiter37dynamic_per_group_scaled_quant_kernelItaLi32ELi128ELb0ELi64ELb0EEEvPT0_PfPKT_PKfliilPKii
; %bb.0:
	s_load_dwordx2 s[0:1], s[4:5], 0x38
	s_waitcnt lgkmcnt(0)
	s_cmp_eq_u64 s[0:1], 0
	s_cbranch_scc1 .LBB33_2
; %bb.1:
	s_load_dword s2, s[4:5], 0x40
	s_load_dword s3, s[0:1], 0x0
	s_waitcnt lgkmcnt(0)
	s_mul_hi_i32 s9, s3, s2
	s_mul_i32 s8, s3, s2
	s_branch .LBB33_3
.LBB33_2:
	s_load_dwordx2 s[8:9], s[4:5], 0x20
.LBB33_3:
	s_load_dwordx2 s[2:3], s[4:5], 0x28
	s_mov_b32 s7, 0
	s_lshl_b64 s[0:1], s[6:7], 6
	v_or_b32_e32 v6, s0, v0
	v_mov_b32_e32 v7, s1
	s_waitcnt lgkmcnt(0)
	s_ashr_i32 s0, s2, 31
	s_lshr_b32 s0, s0, 25
	s_add_i32 s0, s2, s0
	s_ashr_i32 s2, s0, 7
	v_lshrrev_b64 v[2:3], 2, v[6:7]
	s_ashr_i32 s0, s2, 31
	v_or_b32_e32 v5, s0, v3
	v_mov_b32_e32 v4, 0
	v_cmp_ne_u64_e32 vcc, 0, v[4:5]
                                        ; implicit-def: $vgpr4_vgpr5
	s_and_saveexec_b64 s[6:7], vcc
	s_xor_b64 s[6:7], exec, s[6:7]
	s_cbranch_execnz .LBB33_7
; %bb.4:
	s_andn2_saveexec_b64 s[0:1], s[6:7]
	s_cbranch_execnz .LBB33_8
.LBB33_5:
	s_or_b64 exec, exec, s[0:1]
	v_cmp_gt_i64_e32 vcc, s[8:9], v[4:5]
	s_and_saveexec_b64 s[0:1], vcc
	s_cbranch_execnz .LBB33_9
.LBB33_6:
	s_endpgm
.LBB33_7:
	s_add_u32 s12, s2, s0
	s_mov_b32 s10, s0
	s_mov_b32 s11, s0
	s_addc_u32 s13, s0, s0
	s_xor_b64 s[12:13], s[12:13], s[10:11]
	v_cvt_f32_u32_e32 v1, s12
	v_cvt_f32_u32_e32 v4, s13
	s_sub_u32 s0, 0, s12
	s_subb_u32 s1, 0, s13
	v_madmk_f32 v1, v4, 0x4f800000, v1
	v_rcp_f32_e32 v1, v1
	v_mul_f32_e32 v1, 0x5f7ffffc, v1
	v_mul_f32_e32 v4, 0x2f800000, v1
	v_trunc_f32_e32 v4, v4
	v_madmk_f32 v1, v4, 0xcf800000, v1
	v_cvt_u32_f32_e32 v4, v4
	v_cvt_u32_f32_e32 v1, v1
	v_mul_lo_u32 v5, s0, v4
	v_mul_hi_u32 v7, s0, v1
	v_mul_lo_u32 v6, s1, v1
	v_add_u32_e32 v5, v7, v5
	v_mul_lo_u32 v8, s0, v1
	v_add_u32_e32 v5, v5, v6
	v_mul_lo_u32 v7, v1, v5
	v_mul_hi_u32 v9, v1, v8
	v_mul_hi_u32 v6, v1, v5
	v_add_co_u32_e32 v7, vcc, v9, v7
	v_addc_co_u32_e32 v6, vcc, 0, v6, vcc
	v_mul_hi_u32 v10, v4, v8
	v_mul_lo_u32 v8, v4, v8
	v_add_co_u32_e32 v7, vcc, v7, v8
	v_mul_hi_u32 v9, v4, v5
	v_addc_co_u32_e32 v6, vcc, v6, v10, vcc
	v_addc_co_u32_e32 v7, vcc, 0, v9, vcc
	v_mul_lo_u32 v5, v4, v5
	v_add_co_u32_e32 v5, vcc, v6, v5
	v_addc_co_u32_e32 v6, vcc, 0, v7, vcc
	v_add_co_u32_e32 v1, vcc, v1, v5
	v_addc_co_u32_e32 v4, vcc, v4, v6, vcc
	v_mul_lo_u32 v5, s0, v4
	v_mul_hi_u32 v6, s0, v1
	v_add_u32_e32 v5, v6, v5
	v_mul_lo_u32 v6, s1, v1
	v_add_u32_e32 v5, v5, v6
	v_mul_lo_u32 v7, s0, v1
	v_mul_hi_u32 v8, v4, v7
	v_mul_lo_u32 v9, v4, v7
	v_mul_lo_u32 v11, v1, v5
	v_mul_hi_u32 v7, v1, v7
	v_mul_hi_u32 v10, v1, v5
	v_add_co_u32_e32 v7, vcc, v7, v11
	v_addc_co_u32_e32 v10, vcc, 0, v10, vcc
	v_add_co_u32_e32 v7, vcc, v7, v9
	v_mul_hi_u32 v6, v4, v5
	v_addc_co_u32_e32 v7, vcc, v10, v8, vcc
	v_addc_co_u32_e32 v6, vcc, 0, v6, vcc
	v_mul_lo_u32 v5, v4, v5
	v_add_co_u32_e32 v5, vcc, v7, v5
	v_addc_co_u32_e32 v6, vcc, 0, v6, vcc
	v_add_co_u32_e32 v1, vcc, v1, v5
	v_addc_co_u32_e32 v6, vcc, v4, v6, vcc
	v_mad_u64_u32 v[4:5], s[0:1], v2, v6, 0
	v_mul_hi_u32 v7, v2, v1
	v_add_co_u32_e32 v8, vcc, v7, v4
	v_addc_co_u32_e32 v9, vcc, 0, v5, vcc
	v_mad_u64_u32 v[4:5], s[0:1], v3, v6, 0
	v_mad_u64_u32 v[6:7], s[0:1], v3, v1, 0
	v_add_co_u32_e32 v1, vcc, v8, v6
	v_addc_co_u32_e32 v1, vcc, v9, v7, vcc
	v_addc_co_u32_e32 v5, vcc, 0, v5, vcc
	v_add_co_u32_e32 v1, vcc, v1, v4
	v_addc_co_u32_e32 v6, vcc, 0, v5, vcc
	v_mul_lo_u32 v7, s13, v1
	v_mul_lo_u32 v8, s12, v6
	v_mad_u64_u32 v[4:5], s[0:1], s12, v1, 0
	v_add3_u32 v5, v5, v8, v7
	v_sub_u32_e32 v7, v3, v5
	v_mov_b32_e32 v8, s13
	v_sub_co_u32_e32 v4, vcc, v2, v4
	v_subb_co_u32_e64 v7, s[0:1], v7, v8, vcc
	v_subrev_co_u32_e64 v8, s[0:1], s12, v4
	v_subbrev_co_u32_e64 v7, s[0:1], 0, v7, s[0:1]
	v_cmp_le_u32_e64 s[0:1], s13, v7
	v_cndmask_b32_e64 v9, 0, -1, s[0:1]
	v_cmp_le_u32_e64 s[0:1], s12, v8
	v_cndmask_b32_e64 v8, 0, -1, s[0:1]
	v_cmp_eq_u32_e64 s[0:1], s13, v7
	v_cndmask_b32_e64 v7, v9, v8, s[0:1]
	v_add_co_u32_e64 v8, s[0:1], 2, v1
	v_addc_co_u32_e64 v9, s[0:1], 0, v6, s[0:1]
	v_add_co_u32_e64 v10, s[0:1], 1, v1
	v_addc_co_u32_e64 v11, s[0:1], 0, v6, s[0:1]
	v_subb_co_u32_e32 v5, vcc, v3, v5, vcc
	v_cmp_ne_u32_e64 s[0:1], 0, v7
	v_cmp_le_u32_e32 vcc, s13, v5
	v_cndmask_b32_e64 v7, v11, v9, s[0:1]
	v_cndmask_b32_e64 v9, 0, -1, vcc
	v_cmp_le_u32_e32 vcc, s12, v4
	v_cndmask_b32_e64 v4, 0, -1, vcc
	v_cmp_eq_u32_e32 vcc, s13, v5
	v_cndmask_b32_e32 v4, v9, v4, vcc
	v_cmp_ne_u32_e32 vcc, 0, v4
	v_cndmask_b32_e64 v5, v10, v8, s[0:1]
	v_cndmask_b32_e32 v1, v1, v5, vcc
	v_cndmask_b32_e32 v4, v6, v7, vcc
	v_xor_b32_e32 v1, s10, v1
	v_xor_b32_e32 v5, s11, v4
	v_mov_b32_e32 v6, s11
	v_subrev_co_u32_e32 v4, vcc, s10, v1
	v_subb_co_u32_e32 v5, vcc, v5, v6, vcc
                                        ; implicit-def: $vgpr6_vgpr7
	s_andn2_saveexec_b64 s[0:1], s[6:7]
	s_cbranch_execz .LBB33_5
.LBB33_8:
	v_cvt_f32_u32_e32 v1, s2
	s_sub_i32 s6, 0, s2
	v_alignbit_b32 v4, v7, v6, 2
	v_rcp_iflag_f32_e32 v1, v1
	v_mul_f32_e32 v1, 0x4f7ffffe, v1
	v_cvt_u32_f32_e32 v1, v1
	v_mul_lo_u32 v5, s6, v1
	v_mul_hi_u32 v5, v1, v5
	v_add_u32_e32 v1, v1, v5
	v_mul_hi_u32 v1, v4, v1
	v_mul_lo_u32 v5, v1, s2
	v_sub_u32_e32 v4, v4, v5
	v_add_u32_e32 v6, 1, v1
	v_subrev_u32_e32 v5, s2, v4
	v_cmp_le_u32_e32 vcc, s2, v4
	v_cndmask_b32_e32 v4, v4, v5, vcc
	v_cndmask_b32_e32 v1, v1, v6, vcc
	v_add_u32_e32 v5, 1, v1
	v_cmp_le_u32_e32 vcc, s2, v4
	v_cndmask_b32_e32 v4, v1, v5, vcc
	v_mov_b32_e32 v5, 0
	s_or_b64 exec, exec, s[0:1]
	v_cmp_gt_i64_e32 vcc, s[8:9], v[4:5]
	s_and_saveexec_b64 s[0:1], vcc
	s_cbranch_execz .LBB33_6
.LBB33_9:
	s_load_dwordx2 s[0:1], s[4:5], 0x10
	v_mul_lo_u32 v1, v4, s2
	s_ashr_i32 s2, s3, 31
	v_mul_lo_u32 v6, v5, s3
	v_mul_lo_u32 v7, v4, s2
	v_mad_u64_u32 v[4:5], s[2:3], v4, s3, 0
	v_add3_u32 v5, v5, v7, v6
	v_sub_u32_e32 v1, v2, v1
	v_lshlrev_b64 v[4:5], 1, v[4:5]
	v_lshlrev_b32_e32 v6, 7, v1
	v_mov_b32_e32 v7, 0
	s_waitcnt lgkmcnt(0)
	v_mov_b32_e32 v1, s1
	v_add_co_u32_e32 v8, vcc, s0, v4
	v_addc_co_u32_e32 v1, vcc, v1, v5, vcc
	v_lshlrev_b64 v[4:5], 1, v[6:7]
	v_add_co_u32_e32 v4, vcc, v8, v4
	v_and_b32_e32 v40, 3, v0
	v_addc_co_u32_e32 v1, vcc, v1, v5, vcc
	v_lshlrev_b32_e32 v5, 6, v40
	v_add_co_u32_e32 v16, vcc, v4, v5
	v_addc_co_u32_e32 v17, vcc, 0, v1, vcc
	global_load_dwordx4 v[4:7], v[16:17], off
	global_load_dwordx4 v[8:11], v[16:17], off offset:16
	global_load_dwordx4 v[12:15], v[16:17], off offset:32
	;; [unrolled: 1-line block ×3, first 2 shown]
	s_mov_b32 s2, 0x2edbe6ff
	s_load_dwordx2 s[0:1], s[4:5], 0x0
	s_waitcnt vmcnt(3)
	v_cvt_f32_u32_sdwa v25, v4 dst_sel:DWORD dst_unused:UNUSED_PAD src0_sel:WORD_1
	v_cvt_f32_u32_sdwa v24, v4 dst_sel:DWORD dst_unused:UNUSED_PAD src0_sel:WORD_0
	v_cvt_f32_u32_sdwa v21, v5 dst_sel:DWORD dst_unused:UNUSED_PAD src0_sel:WORD_1
	v_cvt_f32_u32_sdwa v20, v5 dst_sel:DWORD dst_unused:UNUSED_PAD src0_sel:WORD_0
	;; [unrolled: 2-line block ×4, first 2 shown]
	s_waitcnt vmcnt(2)
	v_cvt_f32_u32_sdwa v29, v8 dst_sel:DWORD dst_unused:UNUSED_PAD src0_sel:WORD_1
	v_cvt_f32_u32_sdwa v28, v8 dst_sel:DWORD dst_unused:UNUSED_PAD src0_sel:WORD_0
	v_max3_f32 v1, v24, s2, v25
	v_cvt_f32_u32_sdwa v31, v9 dst_sel:DWORD dst_unused:UNUSED_PAD src0_sel:WORD_1
	v_cvt_f32_u32_sdwa v30, v9 dst_sel:DWORD dst_unused:UNUSED_PAD src0_sel:WORD_0
	v_max3_f32 v1, v1, v20, v21
	v_cvt_f32_u32_sdwa v33, v10 dst_sel:DWORD dst_unused:UNUSED_PAD src0_sel:WORD_1
	v_cvt_f32_u32_sdwa v32, v10 dst_sel:DWORD dst_unused:UNUSED_PAD src0_sel:WORD_0
	v_max3_f32 v1, v1, v22, v23
	v_cvt_f32_u32_sdwa v35, v11 dst_sel:DWORD dst_unused:UNUSED_PAD src0_sel:WORD_1
	v_cvt_f32_u32_sdwa v34, v11 dst_sel:DWORD dst_unused:UNUSED_PAD src0_sel:WORD_0
	v_max3_f32 v1, v1, v26, v27
	s_waitcnt vmcnt(1)
	v_cvt_f32_u32_sdwa v5, v12 dst_sel:DWORD dst_unused:UNUSED_PAD src0_sel:WORD_1
	v_cvt_f32_u32_sdwa v4, v12 dst_sel:DWORD dst_unused:UNUSED_PAD src0_sel:WORD_0
	v_max3_f32 v1, v1, v28, v29
	v_cvt_f32_u32_sdwa v7, v13 dst_sel:DWORD dst_unused:UNUSED_PAD src0_sel:WORD_1
	v_cvt_f32_u32_sdwa v6, v13 dst_sel:DWORD dst_unused:UNUSED_PAD src0_sel:WORD_0
	v_max3_f32 v1, v1, v30, v31
	v_cvt_f32_u32_sdwa v9, v14 dst_sel:DWORD dst_unused:UNUSED_PAD src0_sel:WORD_1
	v_cvt_f32_u32_sdwa v8, v14 dst_sel:DWORD dst_unused:UNUSED_PAD src0_sel:WORD_0
	v_max3_f32 v1, v1, v32, v33
	v_cvt_f32_u32_sdwa v11, v15 dst_sel:DWORD dst_unused:UNUSED_PAD src0_sel:WORD_1
	v_cvt_f32_u32_sdwa v10, v15 dst_sel:DWORD dst_unused:UNUSED_PAD src0_sel:WORD_0
	v_max3_f32 v1, v1, v34, v35
	;; [unrolled: 13-line block ×3, first 2 shown]
	v_max3_f32 v1, v1, v12, v13
	v_max3_f32 v1, v1, v14, v15
	v_max3_f32 v1, v1, v16, v17
	v_max3_f32 v1, v1, v18, v19
	s_nop 1
	v_mov_b32_dpp v36, v1 quad_perm:[1,0,3,2] row_mask:0xf bank_mask:0xf
	v_cmp_gt_f32_e32 vcc, v1, v36
	v_cndmask_b32_e32 v1, v36, v1, vcc
	s_nop 1
	v_mov_b32_dpp v36, v1 quad_perm:[2,3,0,1] row_mask:0xf bank_mask:0xf
	v_cmp_gt_f32_e32 vcc, v1, v36
	v_cndmask_b32_e32 v1, v36, v1, vcc
	v_mul_f32_e32 v1, 0x3c010204, v1
	v_cmp_eq_u32_e32 vcc, 0, v40
	s_and_saveexec_b64 s[2:3], vcc
	s_cbranch_execz .LBB33_11
; %bb.10:
	s_load_dwordx2 s[6:7], s[4:5], 0x8
	v_lshlrev_b64 v[36:37], 2, v[2:3]
	s_waitcnt lgkmcnt(0)
	v_mov_b32_e32 v3, s7
	v_add_co_u32_e32 v36, vcc, s6, v36
	v_addc_co_u32_e32 v37, vcc, v3, v37, vcc
	global_store_dword v[36:37], v1, off
.LBB33_11:
	s_or_b64 exec, exec, s[2:3]
	v_div_scale_f32 v3, s[2:3], v1, v1, 1.0
	v_rcp_f32_e32 v36, v3
	v_lshlrev_b32_e32 v2, 7, v2
	v_lshlrev_b32_e32 v0, 5, v0
	s_load_dword s2, s[4:5], 0x30
	v_fma_f32 v37, -v3, v36, 1.0
	v_fmac_f32_e32 v36, v37, v36
	v_div_scale_f32 v37, vcc, 1.0, v1, 1.0
	v_mul_f32_e32 v38, v37, v36
	v_fma_f32 v39, -v3, v38, v37
	v_fmac_f32_e32 v38, v39, v36
	v_fma_f32 v3, -v3, v38, v37
	v_div_fmas_f32 v3, v3, v36, v38
	v_div_fixup_f32 v36, v3, v1, 1.0
	s_movk_i32 s4, 0x60
	v_and_or_b32 v38, v0, s4, v2
	v_mov_b32_e32 v37, v36
	;;#ASMSTART
	v_pk_mul_f32 v[0:1], v[24:25], v[36:37]
	;;#ASMEND
	v_cvt_i32_f32_e32 v2, v0
	v_cvt_i32_f32_sdwa v3, v1 dst_sel:BYTE_1 dst_unused:UNUSED_PAD src0_sel:DWORD
	;;#ASMSTART
	v_pk_mul_f32 v[0:1], v[20:21], v[36:37]
	;;#ASMEND
	v_cvt_i32_f32_e32 v20, v0
	v_cvt_i32_f32_sdwa v21, v1 dst_sel:BYTE_1 dst_unused:UNUSED_PAD src0_sel:DWORD
	;; [unrolled: 5-line block ×8, first 2 shown]
	v_or_b32_sdwa v0, v2, v3 dst_sel:DWORD dst_unused:UNUSED_PAD src0_sel:BYTE_0 src1_sel:DWORD
	v_or_b32_sdwa v1, v20, v21 dst_sel:WORD_1 dst_unused:UNUSED_PAD src0_sel:BYTE_0 src1_sel:DWORD
	v_or_b32_sdwa v0, v0, v1 dst_sel:DWORD dst_unused:UNUSED_PAD src0_sel:WORD_0 src1_sel:DWORD
	v_or_b32_sdwa v1, v22, v23 dst_sel:DWORD dst_unused:UNUSED_PAD src0_sel:BYTE_0 src1_sel:DWORD
	v_or_b32_sdwa v2, v24, v25 dst_sel:WORD_1 dst_unused:UNUSED_PAD src0_sel:BYTE_0 src1_sel:DWORD
	v_or_b32_sdwa v1, v1, v2 dst_sel:DWORD dst_unused:UNUSED_PAD src0_sel:WORD_0 src1_sel:DWORD
	;; [unrolled: 3-line block ×3, first 2 shown]
	v_or_b32_sdwa v3, v30, v31 dst_sel:DWORD dst_unused:UNUSED_PAD src0_sel:BYTE_0 src1_sel:DWORD
	v_or_b32_sdwa v20, v32, v33 dst_sel:WORD_1 dst_unused:UNUSED_PAD src0_sel:BYTE_0 src1_sel:DWORD
	s_waitcnt lgkmcnt(0)
	s_and_b32 s1, s1, 0xffff
	s_mov_b32 s3, 0x20000
	v_or_b32_sdwa v3, v3, v20 dst_sel:DWORD dst_unused:UNUSED_PAD src0_sel:WORD_0 src1_sel:DWORD
	buffer_store_dwordx4 v[0:3], v38, s[0:3], 0 offen
	;;#ASMSTART
	s_nop 0
	;;#ASMEND
	s_nop 0
	;;#ASMSTART
	v_pk_mul_f32 v[0:1], v[4:5], v[36:37]
	;;#ASMEND
	v_cvt_i32_f32_e32 v2, v0
	v_cvt_i32_f32_sdwa v3, v1 dst_sel:BYTE_1 dst_unused:UNUSED_PAD src0_sel:DWORD
	;;#ASMSTART
	v_pk_mul_f32 v[0:1], v[6:7], v[36:37]
	;;#ASMEND
	v_cvt_i32_f32_e32 v4, v0
	v_cvt_i32_f32_sdwa v5, v1 dst_sel:BYTE_1 dst_unused:UNUSED_PAD src0_sel:DWORD
	;; [unrolled: 5-line block ×8, first 2 shown]
	v_or_b32_sdwa v0, v2, v3 dst_sel:DWORD dst_unused:UNUSED_PAD src0_sel:BYTE_0 src1_sel:DWORD
	v_or_b32_sdwa v1, v4, v5 dst_sel:WORD_1 dst_unused:UNUSED_PAD src0_sel:BYTE_0 src1_sel:DWORD
	v_or_b32_sdwa v0, v0, v1 dst_sel:DWORD dst_unused:UNUSED_PAD src0_sel:WORD_0 src1_sel:DWORD
	v_or_b32_sdwa v1, v6, v7 dst_sel:DWORD dst_unused:UNUSED_PAD src0_sel:BYTE_0 src1_sel:DWORD
	v_or_b32_sdwa v2, v8, v9 dst_sel:WORD_1 dst_unused:UNUSED_PAD src0_sel:BYTE_0 src1_sel:DWORD
	v_or_b32_sdwa v1, v1, v2 dst_sel:DWORD dst_unused:UNUSED_PAD src0_sel:WORD_0 src1_sel:DWORD
	;; [unrolled: 3-line block ×4, first 2 shown]
	buffer_store_dwordx4 v[0:3], v38, s[0:3], 16 offen
	;;#ASMSTART
	s_nop 0
	;;#ASMEND
	s_endpgm
	.section	.rodata,"a",@progbits
	.p2align	6, 0x0
	.amdhsa_kernel _ZN5aiter37dynamic_per_group_scaled_quant_kernelItaLi32ELi128ELb0ELi64ELb0EEEvPT0_PfPKT_PKfliilPKii
		.amdhsa_group_segment_fixed_size 0
		.amdhsa_private_segment_fixed_size 0
		.amdhsa_kernarg_size 68
		.amdhsa_user_sgpr_count 6
		.amdhsa_user_sgpr_private_segment_buffer 1
		.amdhsa_user_sgpr_dispatch_ptr 0
		.amdhsa_user_sgpr_queue_ptr 0
		.amdhsa_user_sgpr_kernarg_segment_ptr 1
		.amdhsa_user_sgpr_dispatch_id 0
		.amdhsa_user_sgpr_flat_scratch_init 0
		.amdhsa_user_sgpr_kernarg_preload_length 0
		.amdhsa_user_sgpr_kernarg_preload_offset 0
		.amdhsa_user_sgpr_private_segment_size 0
		.amdhsa_uses_dynamic_stack 0
		.amdhsa_system_sgpr_private_segment_wavefront_offset 0
		.amdhsa_system_sgpr_workgroup_id_x 1
		.amdhsa_system_sgpr_workgroup_id_y 0
		.amdhsa_system_sgpr_workgroup_id_z 0
		.amdhsa_system_sgpr_workgroup_info 0
		.amdhsa_system_vgpr_workitem_id 0
		.amdhsa_next_free_vgpr 41
		.amdhsa_next_free_sgpr 14
		.amdhsa_accum_offset 44
		.amdhsa_reserve_vcc 1
		.amdhsa_reserve_flat_scratch 0
		.amdhsa_float_round_mode_32 0
		.amdhsa_float_round_mode_16_64 0
		.amdhsa_float_denorm_mode_32 3
		.amdhsa_float_denorm_mode_16_64 3
		.amdhsa_dx10_clamp 1
		.amdhsa_ieee_mode 1
		.amdhsa_fp16_overflow 0
		.amdhsa_tg_split 0
		.amdhsa_exception_fp_ieee_invalid_op 0
		.amdhsa_exception_fp_denorm_src 0
		.amdhsa_exception_fp_ieee_div_zero 0
		.amdhsa_exception_fp_ieee_overflow 0
		.amdhsa_exception_fp_ieee_underflow 0
		.amdhsa_exception_fp_ieee_inexact 0
		.amdhsa_exception_int_div_zero 0
	.end_amdhsa_kernel
	.section	.text._ZN5aiter37dynamic_per_group_scaled_quant_kernelItaLi32ELi128ELb0ELi64ELb0EEEvPT0_PfPKT_PKfliilPKii,"axG",@progbits,_ZN5aiter37dynamic_per_group_scaled_quant_kernelItaLi32ELi128ELb0ELi64ELb0EEEvPT0_PfPKT_PKfliilPKii,comdat
.Lfunc_end33:
	.size	_ZN5aiter37dynamic_per_group_scaled_quant_kernelItaLi32ELi128ELb0ELi64ELb0EEEvPT0_PfPKT_PKfliilPKii, .Lfunc_end33-_ZN5aiter37dynamic_per_group_scaled_quant_kernelItaLi32ELi128ELb0ELi64ELb0EEEvPT0_PfPKT_PKfliilPKii
                                        ; -- End function
	.section	.AMDGPU.csdata,"",@progbits
; Kernel info:
; codeLenInByte = 2304
; NumSgprs: 18
; NumVgprs: 41
; NumAgprs: 0
; TotalNumVgprs: 41
; ScratchSize: 0
; MemoryBound: 0
; FloatMode: 240
; IeeeMode: 1
; LDSByteSize: 0 bytes/workgroup (compile time only)
; SGPRBlocks: 2
; VGPRBlocks: 5
; NumSGPRsForWavesPerEU: 18
; NumVGPRsForWavesPerEU: 41
; AccumOffset: 44
; Occupancy: 8
; WaveLimiterHint : 0
; COMPUTE_PGM_RSRC2:SCRATCH_EN: 0
; COMPUTE_PGM_RSRC2:USER_SGPR: 6
; COMPUTE_PGM_RSRC2:TRAP_HANDLER: 0
; COMPUTE_PGM_RSRC2:TGID_X_EN: 1
; COMPUTE_PGM_RSRC2:TGID_Y_EN: 0
; COMPUTE_PGM_RSRC2:TGID_Z_EN: 0
; COMPUTE_PGM_RSRC2:TIDIG_COMP_CNT: 0
; COMPUTE_PGM_RSRC3_GFX90A:ACCUM_OFFSET: 10
; COMPUTE_PGM_RSRC3_GFX90A:TG_SPLIT: 0
	.section	.text._ZN5aiter37dynamic_per_token_scaled_quant_kernelIDF16_DB8_Li8EEEvPT0_PfPT_PKfiPKii,"axG",@progbits,_ZN5aiter37dynamic_per_token_scaled_quant_kernelIDF16_DB8_Li8EEEvPT0_PfPT_PKfiPKii,comdat
	.protected	_ZN5aiter37dynamic_per_token_scaled_quant_kernelIDF16_DB8_Li8EEEvPT0_PfPT_PKfiPKii ; -- Begin function _ZN5aiter37dynamic_per_token_scaled_quant_kernelIDF16_DB8_Li8EEEvPT0_PfPT_PKfiPKii
	.globl	_ZN5aiter37dynamic_per_token_scaled_quant_kernelIDF16_DB8_Li8EEEvPT0_PfPT_PKfiPKii
	.p2align	8
	.type	_ZN5aiter37dynamic_per_token_scaled_quant_kernelIDF16_DB8_Li8EEEvPT0_PfPT_PKfiPKii,@function
_ZN5aiter37dynamic_per_token_scaled_quant_kernelIDF16_DB8_Li8EEEvPT0_PfPT_PKfiPKii: ; @_ZN5aiter37dynamic_per_token_scaled_quant_kernelIDF16_DB8_Li8EEEvPT0_PfPT_PKfiPKii
; %bb.0:
	s_load_dwordx2 s[2:3], s[4:5], 0x28
	s_waitcnt lgkmcnt(0)
	s_cmp_eq_u64 s[2:3], 0
	s_cselect_b64 s[0:1], -1, 0
	s_and_b64 vcc, exec, s[0:1]
	s_cbranch_vccnz .LBB34_2
; %bb.1:
	s_load_dword s0, s[4:5], 0x30
	s_load_dword s1, s[2:3], 0x0
	s_waitcnt lgkmcnt(0)
	s_mul_i32 s1, s1, s0
	s_cmp_lt_i32 s6, s1
	s_cselect_b64 s[0:1], -1, 0
.LBB34_2:
	s_andn2_b64 vcc, exec, s[0:1]
	s_cbranch_vccnz .LBB34_11
; %bb.3:
	s_load_dword s10, s[4:5], 0x20
	v_mov_b32_e32 v1, 0
                                        ; implicit-def: $vgpr2
	s_waitcnt lgkmcnt(0)
	s_add_i32 s0, s10, 7
	s_ashr_i32 s1, s0, 31
	s_lshr_b32 s1, s1, 29
	s_add_i32 s0, s0, s1
	s_ashr_i32 s0, s0, 3
	v_cmp_gt_u32_e32 vcc, s0, v0
	s_mul_i32 s2, s6, s10
	s_and_saveexec_b64 s[0:1], vcc
	s_cbranch_execz .LBB34_5
; %bb.4:
	s_load_dwordx2 s[8:9], s[4:5], 0x10
	s_mov_b32 s3, 0
	s_lshl_b64 s[12:13], s[2:3], 1
	s_mov_b32 s15, 0x20000
	v_lshlrev_b32_e32 v1, 4, v0
	s_waitcnt lgkmcnt(0)
	s_add_u32 s12, s8, s12
	s_addc_u32 s3, s9, s13
	s_add_i32 s7, s10, 1
	s_lshr_b32 s8, s7, 31
	s_add_i32 s7, s7, s8
	s_and_b32 s13, s3, 0xffff
	s_lshl_b32 s3, s7, 1
	s_and_b32 s14, s3, -4
	buffer_load_dwordx4 v[2:5], v1, s[12:15], 0 offen
	s_waitcnt vmcnt(0)
	v_cvt_f32_f16_e64 v1, |v2|
	v_cvt_f32_f16_sdwa v6, |v2| dst_sel:DWORD dst_unused:UNUSED_PAD src0_sel:WORD_1
	v_cvt_f32_f16_e64 v7, |v3|
	v_cvt_f32_f16_sdwa v8, |v3| dst_sel:DWORD dst_unused:UNUSED_PAD src0_sel:WORD_1
	;; [unrolled: 2-line block ×4, first 2 shown]
	v_max3_f32 v1, v1, 0, v6
	v_max3_f32 v1, v1, v7, v8
	;; [unrolled: 1-line block ×4, first 2 shown]
.LBB34_5:
	s_or_b64 exec, exec, s[0:1]
	s_nop 0
	v_mov_b32_dpp v6, v1 quad_perm:[1,0,3,2] row_mask:0xf bank_mask:0xf
	v_cmp_gt_f32_e64 s[0:1], v1, v6
	v_cndmask_b32_e64 v1, v6, v1, s[0:1]
	v_and_b32_e32 v7, 63, v0
	s_nop 0
	v_mov_b32_dpp v6, v1 quad_perm:[2,3,0,1] row_mask:0xf bank_mask:0xf
	v_cmp_gt_f32_e64 s[0:1], v1, v6
	v_cndmask_b32_e64 v1, v6, v1, s[0:1]
	s_nop 1
	v_mov_b32_dpp v6, v1 row_half_mirror row_mask:0xf bank_mask:0xf
	v_cmp_gt_f32_e64 s[0:1], v1, v6
	v_cndmask_b32_e64 v1, v6, v1, s[0:1]
	s_nop 1
	v_mov_b32_dpp v6, v1 row_mirror row_mask:0xf bank_mask:0xf
	v_cmp_gt_f32_e64 s[0:1], v1, v6
	v_cndmask_b32_e64 v1, v6, v1, s[0:1]
	s_nop 1
	v_mov_b32_dpp v6, v1 row_bcast:15 row_mask:0xf bank_mask:0xf
	v_cmp_gt_f32_e64 s[0:1], v1, v6
	v_cndmask_b32_e64 v1, v6, v1, s[0:1]
	v_cmp_eq_u32_e64 s[0:1], 63, v7
	s_nop 0
	v_mov_b32_dpp v6, v1 row_bcast:31 row_mask:0xf bank_mask:0xf
	s_and_saveexec_b64 s[8:9], s[0:1]
	s_cbranch_execz .LBB34_7
; %bb.6:
	v_lshrrev_b32_e32 v7, 4, v0
	v_cmp_gt_f32_e64 s[0:1], v1, v6
	v_and_b32_e32 v7, 60, v7
	v_cndmask_b32_e64 v1, v6, v1, s[0:1]
	ds_write_b32 v7, v1
.LBB34_7:
	s_or_b64 exec, exec, s[8:9]
	v_and_b32_e32 v1, 3, v0
	v_lshlrev_b32_e32 v1, 2, v1
	s_waitcnt lgkmcnt(0)
	s_barrier
	ds_read_b32 v1, v1
	s_waitcnt lgkmcnt(0)
	s_nop 0
	v_mov_b32_dpp v6, v1 quad_perm:[1,0,3,2] row_mask:0xf bank_mask:0xf
	v_cmp_gt_f32_e64 s[0:1], v1, v6
	v_cndmask_b32_e64 v1, v6, v1, s[0:1]
	s_nop 1
	v_mov_b32_dpp v6, v1 quad_perm:[2,3,0,1] row_mask:0xf bank_mask:0xf
	v_cmp_gt_f32_e64 s[0:1], v1, v6
	v_cndmask_b32_e64 v1, v6, v1, s[0:1]
	v_mul_f32_e32 v1, 0x3b124925, v1
	v_cmp_eq_u32_e64 s[0:1], 0, v0
	s_and_saveexec_b64 s[8:9], s[0:1]
	s_cbranch_execz .LBB34_9
; %bb.8:
	s_load_dwordx2 s[0:1], s[4:5], 0x8
	s_ashr_i32 s7, s6, 31
	s_lshl_b64 s[6:7], s[6:7], 2
	v_mov_b32_e32 v6, 0
	s_waitcnt lgkmcnt(0)
	s_add_u32 s0, s0, s6
	s_addc_u32 s1, s1, s7
	global_store_dword v6, v1, s[0:1]
.LBB34_9:
	s_or_b64 exec, exec, s[8:9]
	s_and_saveexec_b64 s[0:1], vcc
	s_cbranch_execz .LBB34_11
; %bb.10:
	s_load_dwordx2 s[0:1], s[4:5], 0x0
	v_rcp_f32_e32 v6, v1
	v_lshlrev_b32_e32 v12, 3, v0
	v_cvt_f32_f16_sdwa v1, v2 dst_sel:DWORD dst_unused:UNUSED_PAD src0_sel:WORD_1
	v_cvt_f32_f16_e32 v0, v2
	s_waitcnt lgkmcnt(0)
	s_add_u32 s0, s0, s2
	s_addc_u32 s1, s1, 0
	s_add_i32 s2, s10, 3
	v_mov_b32_e32 v7, v6
	;;#ASMSTART
	v_pk_mul_f32 v[0:1], v[0:1], v[6:7]
	;;#ASMEND
	s_ashr_i32 s5, s2, 31
	v_cvt_f32_f16_sdwa v9, v3 dst_sel:DWORD dst_unused:UNUSED_PAD src0_sel:WORD_1
	v_cvt_f32_f16_e32 v8, v3
	v_cvt_f32_f16_sdwa v3, v4 dst_sel:DWORD dst_unused:UNUSED_PAD src0_sel:WORD_1
	v_cvt_f32_f16_e32 v2, v4
	;; [unrolled: 2-line block ×3, first 2 shown]
	v_mov_b32_e32 v4, 0xc3e00000
	v_mov_b32_e32 v5, 0x43e00000
	;;#ASMSTART
	v_med3_f32 v0, v0, v4, v5
v_med3_f32 v1, v1, v4, v5
v_cvt_pk_fp8_f32 v13, v0, v1
	;;#ASMEND
	s_lshr_b32 s5, s5, 30
	;;#ASMSTART
	v_pk_mul_f32 v[0:1], v[8:9], v[6:7]
	;;#ASMEND
	s_add_i32 s2, s2, s5
	;;#ASMSTART
	v_med3_f32 v0, v0, v4, v5
v_med3_f32 v1, v1, v4, v5
v_cvt_pk_fp8_f32 v8, v0, v1
	;;#ASMEND
	s_mov_b32 s5, 0x5040100
	v_perm_b32 v1, v8, v13, s5
	s_movk_i32 s5, 0xff
	v_and_b32_e32 v0, 0xffffff00, v8
	v_and_b32_sdwa v8, v1, s5 dst_sel:DWORD dst_unused:UNUSED_PAD src0_sel:WORD_1 src1_sel:DWORD
	s_mov_b32 s4, 0xffff
	v_or_b32_sdwa v0, v8, v0 dst_sel:WORD_1 dst_unused:UNUSED_PAD src0_sel:DWORD src1_sel:DWORD
	v_and_or_b32 v0, v1, s4, v0
	;;#ASMSTART
	v_pk_mul_f32 v[2:3], v[2:3], v[6:7]
	;;#ASMEND
	v_mov_b32_e32 v1, v3
	;;#ASMSTART
	v_med3_f32 v2, v2, v4, v5
v_med3_f32 v1, v1, v4, v5
v_cvt_pk_fp8_f32 v8, v2, v1
	;;#ASMEND
	;;#ASMSTART
	v_pk_mul_f32 v[2:3], v[10:11], v[6:7]
	;;#ASMEND
	v_mov_b32_e32 v1, v3
	;;#ASMSTART
	v_med3_f32 v2, v2, v4, v5
v_med3_f32 v1, v1, v4, v5
v_cvt_pk_fp8_f32 v3, v2, v1
	;;#ASMEND
	v_lshlrev_b32_e32 v1, 16, v3
	s_mov_b32 s3, 0x20000
	s_and_b32 s1, s1, 0xffff
	s_and_b32 s2, s2, -4
	v_and_or_b32 v1, v8, s4, v1
	buffer_store_dwordx2 v[0:1], v12, s[0:3], 0 offen
	;;#ASMSTART
	s_nop 0
	;;#ASMEND
.LBB34_11:
	s_endpgm
	.section	.rodata,"a",@progbits
	.p2align	6, 0x0
	.amdhsa_kernel _ZN5aiter37dynamic_per_token_scaled_quant_kernelIDF16_DB8_Li8EEEvPT0_PfPT_PKfiPKii
		.amdhsa_group_segment_fixed_size 16
		.amdhsa_private_segment_fixed_size 0
		.amdhsa_kernarg_size 52
		.amdhsa_user_sgpr_count 6
		.amdhsa_user_sgpr_private_segment_buffer 1
		.amdhsa_user_sgpr_dispatch_ptr 0
		.amdhsa_user_sgpr_queue_ptr 0
		.amdhsa_user_sgpr_kernarg_segment_ptr 1
		.amdhsa_user_sgpr_dispatch_id 0
		.amdhsa_user_sgpr_flat_scratch_init 0
		.amdhsa_user_sgpr_kernarg_preload_length 0
		.amdhsa_user_sgpr_kernarg_preload_offset 0
		.amdhsa_user_sgpr_private_segment_size 0
		.amdhsa_uses_dynamic_stack 0
		.amdhsa_system_sgpr_private_segment_wavefront_offset 0
		.amdhsa_system_sgpr_workgroup_id_x 1
		.amdhsa_system_sgpr_workgroup_id_y 0
		.amdhsa_system_sgpr_workgroup_id_z 0
		.amdhsa_system_sgpr_workgroup_info 0
		.amdhsa_system_vgpr_workitem_id 0
		.amdhsa_next_free_vgpr 14
		.amdhsa_next_free_sgpr 16
		.amdhsa_accum_offset 16
		.amdhsa_reserve_vcc 1
		.amdhsa_reserve_flat_scratch 0
		.amdhsa_float_round_mode_32 0
		.amdhsa_float_round_mode_16_64 0
		.amdhsa_float_denorm_mode_32 3
		.amdhsa_float_denorm_mode_16_64 3
		.amdhsa_dx10_clamp 1
		.amdhsa_ieee_mode 1
		.amdhsa_fp16_overflow 0
		.amdhsa_tg_split 0
		.amdhsa_exception_fp_ieee_invalid_op 0
		.amdhsa_exception_fp_denorm_src 0
		.amdhsa_exception_fp_ieee_div_zero 0
		.amdhsa_exception_fp_ieee_overflow 0
		.amdhsa_exception_fp_ieee_underflow 0
		.amdhsa_exception_fp_ieee_inexact 0
		.amdhsa_exception_int_div_zero 0
	.end_amdhsa_kernel
	.section	.text._ZN5aiter37dynamic_per_token_scaled_quant_kernelIDF16_DB8_Li8EEEvPT0_PfPT_PKfiPKii,"axG",@progbits,_ZN5aiter37dynamic_per_token_scaled_quant_kernelIDF16_DB8_Li8EEEvPT0_PfPT_PKfiPKii,comdat
.Lfunc_end34:
	.size	_ZN5aiter37dynamic_per_token_scaled_quant_kernelIDF16_DB8_Li8EEEvPT0_PfPT_PKfiPKii, .Lfunc_end34-_ZN5aiter37dynamic_per_token_scaled_quant_kernelIDF16_DB8_Li8EEEvPT0_PfPT_PKfiPKii
                                        ; -- End function
	.section	.AMDGPU.csdata,"",@progbits
; Kernel info:
; codeLenInByte = 1028
; NumSgprs: 20
; NumVgprs: 14
; NumAgprs: 0
; TotalNumVgprs: 14
; ScratchSize: 0
; MemoryBound: 0
; FloatMode: 240
; IeeeMode: 1
; LDSByteSize: 16 bytes/workgroup (compile time only)
; SGPRBlocks: 2
; VGPRBlocks: 1
; NumSGPRsForWavesPerEU: 20
; NumVGPRsForWavesPerEU: 14
; AccumOffset: 16
; Occupancy: 8
; WaveLimiterHint : 0
; COMPUTE_PGM_RSRC2:SCRATCH_EN: 0
; COMPUTE_PGM_RSRC2:USER_SGPR: 6
; COMPUTE_PGM_RSRC2:TRAP_HANDLER: 0
; COMPUTE_PGM_RSRC2:TGID_X_EN: 1
; COMPUTE_PGM_RSRC2:TGID_Y_EN: 0
; COMPUTE_PGM_RSRC2:TGID_Z_EN: 0
; COMPUTE_PGM_RSRC2:TIDIG_COMP_CNT: 0
; COMPUTE_PGM_RSRC3_GFX90A:ACCUM_OFFSET: 3
; COMPUTE_PGM_RSRC3_GFX90A:TG_SPLIT: 0
	.section	.text._ZN5aiter37dynamic_per_token_scaled_quant_kernelItDB8_Li8EEEvPT0_PfPT_PKfiPKii,"axG",@progbits,_ZN5aiter37dynamic_per_token_scaled_quant_kernelItDB8_Li8EEEvPT0_PfPT_PKfiPKii,comdat
	.protected	_ZN5aiter37dynamic_per_token_scaled_quant_kernelItDB8_Li8EEEvPT0_PfPT_PKfiPKii ; -- Begin function _ZN5aiter37dynamic_per_token_scaled_quant_kernelItDB8_Li8EEEvPT0_PfPT_PKfiPKii
	.globl	_ZN5aiter37dynamic_per_token_scaled_quant_kernelItDB8_Li8EEEvPT0_PfPT_PKfiPKii
	.p2align	8
	.type	_ZN5aiter37dynamic_per_token_scaled_quant_kernelItDB8_Li8EEEvPT0_PfPT_PKfiPKii,@function
_ZN5aiter37dynamic_per_token_scaled_quant_kernelItDB8_Li8EEEvPT0_PfPT_PKfiPKii: ; @_ZN5aiter37dynamic_per_token_scaled_quant_kernelItDB8_Li8EEEvPT0_PfPT_PKfiPKii
; %bb.0:
	s_load_dwordx2 s[2:3], s[4:5], 0x28
	s_waitcnt lgkmcnt(0)
	s_cmp_eq_u64 s[2:3], 0
	s_cselect_b64 s[0:1], -1, 0
	s_and_b64 vcc, exec, s[0:1]
	s_cbranch_vccnz .LBB35_2
; %bb.1:
	s_load_dword s0, s[4:5], 0x30
	s_load_dword s1, s[2:3], 0x0
	s_waitcnt lgkmcnt(0)
	s_mul_i32 s1, s1, s0
	s_cmp_lt_i32 s6, s1
	s_cselect_b64 s[0:1], -1, 0
.LBB35_2:
	s_andn2_b64 vcc, exec, s[0:1]
	s_cbranch_vccnz .LBB35_11
; %bb.3:
	s_load_dword s10, s[4:5], 0x20
	v_mov_b32_e32 v1, 0
                                        ; implicit-def: $vgpr2
	s_waitcnt lgkmcnt(0)
	s_add_i32 s0, s10, 7
	s_ashr_i32 s1, s0, 31
	s_lshr_b32 s1, s1, 29
	s_add_i32 s0, s0, s1
	s_ashr_i32 s0, s0, 3
	v_cmp_gt_u32_e32 vcc, s0, v0
	s_mul_i32 s2, s6, s10
	s_and_saveexec_b64 s[0:1], vcc
	s_cbranch_execz .LBB35_5
; %bb.4:
	s_load_dwordx2 s[8:9], s[4:5], 0x10
	s_mov_b32 s3, 0
	s_lshl_b64 s[12:13], s[2:3], 1
	s_mov_b32 s15, 0x20000
	v_lshlrev_b32_e32 v1, 4, v0
	s_waitcnt lgkmcnt(0)
	s_add_u32 s12, s8, s12
	s_addc_u32 s3, s9, s13
	s_add_i32 s7, s10, 1
	s_lshr_b32 s8, s7, 31
	s_add_i32 s7, s7, s8
	s_and_b32 s13, s3, 0xffff
	s_lshl_b32 s3, s7, 1
	s_and_b32 s14, s3, -4
	buffer_load_dwordx4 v[2:5], v1, s[12:15], 0 offen
	s_waitcnt vmcnt(0)
	v_cvt_f32_u32_sdwa v1, v2 dst_sel:DWORD dst_unused:UNUSED_PAD src0_sel:WORD_0
	v_cvt_f32_u32_sdwa v6, v2 dst_sel:DWORD dst_unused:UNUSED_PAD src0_sel:WORD_1
	v_cvt_f32_u32_sdwa v7, v3 dst_sel:DWORD dst_unused:UNUSED_PAD src0_sel:WORD_0
	v_cvt_f32_u32_sdwa v8, v3 dst_sel:DWORD dst_unused:UNUSED_PAD src0_sel:WORD_1
	;; [unrolled: 2-line block ×4, first 2 shown]
	v_max3_f32 v1, v1, 0, v6
	v_max3_f32 v1, v1, v7, v8
	;; [unrolled: 1-line block ×4, first 2 shown]
.LBB35_5:
	s_or_b64 exec, exec, s[0:1]
	s_nop 0
	v_mov_b32_dpp v6, v1 quad_perm:[1,0,3,2] row_mask:0xf bank_mask:0xf
	v_cmp_gt_f32_e64 s[0:1], v1, v6
	v_cndmask_b32_e64 v1, v6, v1, s[0:1]
	v_and_b32_e32 v7, 63, v0
	s_nop 0
	v_mov_b32_dpp v6, v1 quad_perm:[2,3,0,1] row_mask:0xf bank_mask:0xf
	v_cmp_gt_f32_e64 s[0:1], v1, v6
	v_cndmask_b32_e64 v1, v6, v1, s[0:1]
	s_nop 1
	v_mov_b32_dpp v6, v1 row_half_mirror row_mask:0xf bank_mask:0xf
	v_cmp_gt_f32_e64 s[0:1], v1, v6
	v_cndmask_b32_e64 v1, v6, v1, s[0:1]
	s_nop 1
	v_mov_b32_dpp v6, v1 row_mirror row_mask:0xf bank_mask:0xf
	v_cmp_gt_f32_e64 s[0:1], v1, v6
	v_cndmask_b32_e64 v1, v6, v1, s[0:1]
	s_nop 1
	v_mov_b32_dpp v6, v1 row_bcast:15 row_mask:0xf bank_mask:0xf
	v_cmp_gt_f32_e64 s[0:1], v1, v6
	v_cndmask_b32_e64 v1, v6, v1, s[0:1]
	v_cmp_eq_u32_e64 s[0:1], 63, v7
	s_nop 0
	v_mov_b32_dpp v6, v1 row_bcast:31 row_mask:0xf bank_mask:0xf
	s_and_saveexec_b64 s[8:9], s[0:1]
	s_cbranch_execz .LBB35_7
; %bb.6:
	v_lshrrev_b32_e32 v7, 4, v0
	v_cmp_gt_f32_e64 s[0:1], v1, v6
	v_and_b32_e32 v7, 60, v7
	v_cndmask_b32_e64 v1, v6, v1, s[0:1]
	ds_write_b32 v7, v1
.LBB35_7:
	s_or_b64 exec, exec, s[8:9]
	v_and_b32_e32 v1, 3, v0
	v_lshlrev_b32_e32 v1, 2, v1
	s_waitcnt lgkmcnt(0)
	s_barrier
	ds_read_b32 v1, v1
	s_waitcnt lgkmcnt(0)
	s_nop 0
	v_mov_b32_dpp v6, v1 quad_perm:[1,0,3,2] row_mask:0xf bank_mask:0xf
	v_cmp_gt_f32_e64 s[0:1], v1, v6
	v_cndmask_b32_e64 v1, v6, v1, s[0:1]
	s_nop 1
	v_mov_b32_dpp v6, v1 quad_perm:[2,3,0,1] row_mask:0xf bank_mask:0xf
	v_cmp_gt_f32_e64 s[0:1], v1, v6
	v_cndmask_b32_e64 v1, v6, v1, s[0:1]
	v_mul_f32_e32 v1, 0x3b124925, v1
	v_cmp_eq_u32_e64 s[0:1], 0, v0
	s_and_saveexec_b64 s[8:9], s[0:1]
	s_cbranch_execz .LBB35_9
; %bb.8:
	s_load_dwordx2 s[0:1], s[4:5], 0x8
	s_ashr_i32 s7, s6, 31
	s_lshl_b64 s[6:7], s[6:7], 2
	v_mov_b32_e32 v6, 0
	s_waitcnt lgkmcnt(0)
	s_add_u32 s0, s0, s6
	s_addc_u32 s1, s1, s7
	global_store_dword v6, v1, s[0:1]
.LBB35_9:
	s_or_b64 exec, exec, s[8:9]
	s_and_saveexec_b64 s[0:1], vcc
	s_cbranch_execz .LBB35_11
; %bb.10:
	s_load_dwordx2 s[0:1], s[4:5], 0x0
	v_rcp_f32_e32 v6, v1
	v_lshlrev_b32_e32 v12, 3, v0
	v_cvt_f32_u32_sdwa v1, v2 dst_sel:DWORD dst_unused:UNUSED_PAD src0_sel:WORD_1
	v_cvt_f32_u32_sdwa v0, v2 dst_sel:DWORD dst_unused:UNUSED_PAD src0_sel:WORD_0
	s_waitcnt lgkmcnt(0)
	s_add_u32 s0, s0, s2
	s_addc_u32 s1, s1, 0
	s_add_i32 s2, s10, 3
	v_mov_b32_e32 v7, v6
	;;#ASMSTART
	v_pk_mul_f32 v[0:1], v[0:1], v[6:7]
	;;#ASMEND
	s_ashr_i32 s5, s2, 31
	v_cvt_f32_u32_sdwa v9, v3 dst_sel:DWORD dst_unused:UNUSED_PAD src0_sel:WORD_1
	v_cvt_f32_u32_sdwa v8, v3 dst_sel:DWORD dst_unused:UNUSED_PAD src0_sel:WORD_0
	v_cvt_f32_u32_sdwa v3, v4 dst_sel:DWORD dst_unused:UNUSED_PAD src0_sel:WORD_1
	v_cvt_f32_u32_sdwa v2, v4 dst_sel:DWORD dst_unused:UNUSED_PAD src0_sel:WORD_0
	;; [unrolled: 2-line block ×3, first 2 shown]
	v_mov_b32_e32 v4, 0xc3e00000
	v_mov_b32_e32 v5, 0x43e00000
	;;#ASMSTART
	v_med3_f32 v0, v0, v4, v5
v_med3_f32 v1, v1, v4, v5
v_cvt_pk_fp8_f32 v13, v0, v1
	;;#ASMEND
	s_lshr_b32 s5, s5, 30
	;;#ASMSTART
	v_pk_mul_f32 v[0:1], v[8:9], v[6:7]
	;;#ASMEND
	s_add_i32 s2, s2, s5
	;;#ASMSTART
	v_med3_f32 v0, v0, v4, v5
v_med3_f32 v1, v1, v4, v5
v_cvt_pk_fp8_f32 v8, v0, v1
	;;#ASMEND
	s_mov_b32 s5, 0x5040100
	v_perm_b32 v1, v8, v13, s5
	s_movk_i32 s5, 0xff
	v_and_b32_e32 v0, 0xffffff00, v8
	v_and_b32_sdwa v8, v1, s5 dst_sel:DWORD dst_unused:UNUSED_PAD src0_sel:WORD_1 src1_sel:DWORD
	s_mov_b32 s4, 0xffff
	v_or_b32_sdwa v0, v8, v0 dst_sel:WORD_1 dst_unused:UNUSED_PAD src0_sel:DWORD src1_sel:DWORD
	v_and_or_b32 v0, v1, s4, v0
	;;#ASMSTART
	v_pk_mul_f32 v[2:3], v[2:3], v[6:7]
	;;#ASMEND
	v_mov_b32_e32 v1, v3
	;;#ASMSTART
	v_med3_f32 v2, v2, v4, v5
v_med3_f32 v1, v1, v4, v5
v_cvt_pk_fp8_f32 v8, v2, v1
	;;#ASMEND
	;;#ASMSTART
	v_pk_mul_f32 v[2:3], v[10:11], v[6:7]
	;;#ASMEND
	v_mov_b32_e32 v1, v3
	;;#ASMSTART
	v_med3_f32 v2, v2, v4, v5
v_med3_f32 v1, v1, v4, v5
v_cvt_pk_fp8_f32 v3, v2, v1
	;;#ASMEND
	v_lshlrev_b32_e32 v1, 16, v3
	s_mov_b32 s3, 0x20000
	s_and_b32 s1, s1, 0xffff
	s_and_b32 s2, s2, -4
	v_and_or_b32 v1, v8, s4, v1
	buffer_store_dwordx2 v[0:1], v12, s[0:3], 0 offen
	;;#ASMSTART
	s_nop 0
	;;#ASMEND
.LBB35_11:
	s_endpgm
	.section	.rodata,"a",@progbits
	.p2align	6, 0x0
	.amdhsa_kernel _ZN5aiter37dynamic_per_token_scaled_quant_kernelItDB8_Li8EEEvPT0_PfPT_PKfiPKii
		.amdhsa_group_segment_fixed_size 16
		.amdhsa_private_segment_fixed_size 0
		.amdhsa_kernarg_size 52
		.amdhsa_user_sgpr_count 6
		.amdhsa_user_sgpr_private_segment_buffer 1
		.amdhsa_user_sgpr_dispatch_ptr 0
		.amdhsa_user_sgpr_queue_ptr 0
		.amdhsa_user_sgpr_kernarg_segment_ptr 1
		.amdhsa_user_sgpr_dispatch_id 0
		.amdhsa_user_sgpr_flat_scratch_init 0
		.amdhsa_user_sgpr_kernarg_preload_length 0
		.amdhsa_user_sgpr_kernarg_preload_offset 0
		.amdhsa_user_sgpr_private_segment_size 0
		.amdhsa_uses_dynamic_stack 0
		.amdhsa_system_sgpr_private_segment_wavefront_offset 0
		.amdhsa_system_sgpr_workgroup_id_x 1
		.amdhsa_system_sgpr_workgroup_id_y 0
		.amdhsa_system_sgpr_workgroup_id_z 0
		.amdhsa_system_sgpr_workgroup_info 0
		.amdhsa_system_vgpr_workitem_id 0
		.amdhsa_next_free_vgpr 14
		.amdhsa_next_free_sgpr 16
		.amdhsa_accum_offset 16
		.amdhsa_reserve_vcc 1
		.amdhsa_reserve_flat_scratch 0
		.amdhsa_float_round_mode_32 0
		.amdhsa_float_round_mode_16_64 0
		.amdhsa_float_denorm_mode_32 3
		.amdhsa_float_denorm_mode_16_64 3
		.amdhsa_dx10_clamp 1
		.amdhsa_ieee_mode 1
		.amdhsa_fp16_overflow 0
		.amdhsa_tg_split 0
		.amdhsa_exception_fp_ieee_invalid_op 0
		.amdhsa_exception_fp_denorm_src 0
		.amdhsa_exception_fp_ieee_div_zero 0
		.amdhsa_exception_fp_ieee_overflow 0
		.amdhsa_exception_fp_ieee_underflow 0
		.amdhsa_exception_fp_ieee_inexact 0
		.amdhsa_exception_int_div_zero 0
	.end_amdhsa_kernel
	.section	.text._ZN5aiter37dynamic_per_token_scaled_quant_kernelItDB8_Li8EEEvPT0_PfPT_PKfiPKii,"axG",@progbits,_ZN5aiter37dynamic_per_token_scaled_quant_kernelItDB8_Li8EEEvPT0_PfPT_PKfiPKii,comdat
.Lfunc_end35:
	.size	_ZN5aiter37dynamic_per_token_scaled_quant_kernelItDB8_Li8EEEvPT0_PfPT_PKfiPKii, .Lfunc_end35-_ZN5aiter37dynamic_per_token_scaled_quant_kernelItDB8_Li8EEEvPT0_PfPT_PKfiPKii
                                        ; -- End function
	.section	.AMDGPU.csdata,"",@progbits
; Kernel info:
; codeLenInByte = 1044
; NumSgprs: 20
; NumVgprs: 14
; NumAgprs: 0
; TotalNumVgprs: 14
; ScratchSize: 0
; MemoryBound: 0
; FloatMode: 240
; IeeeMode: 1
; LDSByteSize: 16 bytes/workgroup (compile time only)
; SGPRBlocks: 2
; VGPRBlocks: 1
; NumSGPRsForWavesPerEU: 20
; NumVGPRsForWavesPerEU: 14
; AccumOffset: 16
; Occupancy: 8
; WaveLimiterHint : 0
; COMPUTE_PGM_RSRC2:SCRATCH_EN: 0
; COMPUTE_PGM_RSRC2:USER_SGPR: 6
; COMPUTE_PGM_RSRC2:TRAP_HANDLER: 0
; COMPUTE_PGM_RSRC2:TGID_X_EN: 1
; COMPUTE_PGM_RSRC2:TGID_Y_EN: 0
; COMPUTE_PGM_RSRC2:TGID_Z_EN: 0
; COMPUTE_PGM_RSRC2:TIDIG_COMP_CNT: 0
; COMPUTE_PGM_RSRC3_GFX90A:ACCUM_OFFSET: 3
; COMPUTE_PGM_RSRC3_GFX90A:TG_SPLIT: 0
	.section	.text._ZN5aiter37dynamic_per_token_scaled_quant_kernelIDF16_DB8_Li16EEEvPT0_PfPT_PKfiPKii,"axG",@progbits,_ZN5aiter37dynamic_per_token_scaled_quant_kernelIDF16_DB8_Li16EEEvPT0_PfPT_PKfiPKii,comdat
	.protected	_ZN5aiter37dynamic_per_token_scaled_quant_kernelIDF16_DB8_Li16EEEvPT0_PfPT_PKfiPKii ; -- Begin function _ZN5aiter37dynamic_per_token_scaled_quant_kernelIDF16_DB8_Li16EEEvPT0_PfPT_PKfiPKii
	.globl	_ZN5aiter37dynamic_per_token_scaled_quant_kernelIDF16_DB8_Li16EEEvPT0_PfPT_PKfiPKii
	.p2align	8
	.type	_ZN5aiter37dynamic_per_token_scaled_quant_kernelIDF16_DB8_Li16EEEvPT0_PfPT_PKfiPKii,@function
_ZN5aiter37dynamic_per_token_scaled_quant_kernelIDF16_DB8_Li16EEEvPT0_PfPT_PKfiPKii: ; @_ZN5aiter37dynamic_per_token_scaled_quant_kernelIDF16_DB8_Li16EEEvPT0_PfPT_PKfiPKii
; %bb.0:
	s_load_dwordx2 s[2:3], s[4:5], 0x28
	s_waitcnt lgkmcnt(0)
	s_cmp_eq_u64 s[2:3], 0
	s_cselect_b64 s[0:1], -1, 0
	s_and_b64 vcc, exec, s[0:1]
	s_cbranch_vccnz .LBB36_2
; %bb.1:
	s_load_dword s0, s[4:5], 0x30
	s_load_dword s1, s[2:3], 0x0
	s_waitcnt lgkmcnt(0)
	s_mul_i32 s1, s1, s0
	s_cmp_lt_i32 s6, s1
	s_cselect_b64 s[0:1], -1, 0
.LBB36_2:
	s_andn2_b64 vcc, exec, s[0:1]
	s_cbranch_vccnz .LBB36_11
; %bb.3:
	s_load_dword s10, s[4:5], 0x20
	v_mov_b32_e32 v1, 0
                                        ; implicit-def: $vgpr6
                                        ; implicit-def: $vgpr2
	s_waitcnt lgkmcnt(0)
	s_add_i32 s0, s10, 15
	s_ashr_i32 s1, s0, 31
	s_lshr_b32 s1, s1, 28
	s_add_i32 s0, s0, s1
	s_ashr_i32 s0, s0, 4
	v_cmp_gt_u32_e32 vcc, s0, v0
	s_mul_i32 s2, s6, s10
	s_and_saveexec_b64 s[0:1], vcc
	s_cbranch_execz .LBB36_5
; %bb.4:
	s_load_dwordx2 s[8:9], s[4:5], 0x10
	s_mov_b32 s3, 0
	s_lshl_b64 s[12:13], s[2:3], 1
	s_mov_b32 s15, 0x20000
	v_lshlrev_b32_e32 v1, 5, v0
	s_waitcnt lgkmcnt(0)
	s_add_u32 s12, s8, s12
	s_addc_u32 s3, s9, s13
	s_add_i32 s7, s10, 1
	s_lshr_b32 s8, s7, 31
	s_add_i32 s7, s7, s8
	s_and_b32 s13, s3, 0xffff
	s_lshl_b32 s3, s7, 1
	s_and_b32 s14, s3, -4
	buffer_load_dwordx4 v[6:9], v1, s[12:15], 0 offen
	buffer_load_dwordx4 v[2:5], v1, s[12:15], 16 offen
	s_waitcnt vmcnt(1)
	v_cvt_f32_f16_e64 v1, |v6|
	v_cvt_f32_f16_sdwa v10, |v6| dst_sel:DWORD dst_unused:UNUSED_PAD src0_sel:WORD_1
	v_cvt_f32_f16_e64 v11, |v7|
	v_cvt_f32_f16_sdwa v12, |v7| dst_sel:DWORD dst_unused:UNUSED_PAD src0_sel:WORD_1
	;; [unrolled: 2-line block ×4, first 2 shown]
	s_waitcnt vmcnt(0)
	v_cvt_f32_f16_e64 v17, |v2|
	v_cvt_f32_f16_sdwa v18, |v2| dst_sel:DWORD dst_unused:UNUSED_PAD src0_sel:WORD_1
	v_max3_f32 v1, v1, 0, v10
	v_cvt_f32_f16_e64 v19, |v3|
	v_cvt_f32_f16_sdwa v20, |v3| dst_sel:DWORD dst_unused:UNUSED_PAD src0_sel:WORD_1
	v_max3_f32 v1, v1, v11, v12
	;; [unrolled: 3-line block ×3, first 2 shown]
	v_cvt_f32_f16_e64 v23, |v5|
	v_max3_f32 v1, v1, v15, v16
	v_cvt_f32_f16_sdwa v10, |v5| dst_sel:DWORD dst_unused:UNUSED_PAD src0_sel:WORD_1
	v_max3_f32 v1, v1, v17, v18
	v_max3_f32 v1, v1, v19, v20
	;; [unrolled: 1-line block ×4, first 2 shown]
.LBB36_5:
	s_or_b64 exec, exec, s[0:1]
	s_nop 0
	v_mov_b32_dpp v10, v1 quad_perm:[1,0,3,2] row_mask:0xf bank_mask:0xf
	v_cmp_gt_f32_e64 s[0:1], v1, v10
	v_cndmask_b32_e64 v1, v10, v1, s[0:1]
	v_and_b32_e32 v11, 63, v0
	s_nop 0
	v_mov_b32_dpp v10, v1 quad_perm:[2,3,0,1] row_mask:0xf bank_mask:0xf
	v_cmp_gt_f32_e64 s[0:1], v1, v10
	v_cndmask_b32_e64 v1, v10, v1, s[0:1]
	s_nop 1
	v_mov_b32_dpp v10, v1 row_half_mirror row_mask:0xf bank_mask:0xf
	v_cmp_gt_f32_e64 s[0:1], v1, v10
	v_cndmask_b32_e64 v1, v10, v1, s[0:1]
	s_nop 1
	v_mov_b32_dpp v10, v1 row_mirror row_mask:0xf bank_mask:0xf
	v_cmp_gt_f32_e64 s[0:1], v1, v10
	v_cndmask_b32_e64 v1, v10, v1, s[0:1]
	s_nop 1
	v_mov_b32_dpp v10, v1 row_bcast:15 row_mask:0xf bank_mask:0xf
	v_cmp_gt_f32_e64 s[0:1], v1, v10
	v_cndmask_b32_e64 v1, v10, v1, s[0:1]
	v_cmp_eq_u32_e64 s[0:1], 63, v11
	s_nop 0
	v_mov_b32_dpp v10, v1 row_bcast:31 row_mask:0xf bank_mask:0xf
	s_and_saveexec_b64 s[8:9], s[0:1]
	s_cbranch_execz .LBB36_7
; %bb.6:
	v_lshrrev_b32_e32 v11, 4, v0
	v_cmp_gt_f32_e64 s[0:1], v1, v10
	v_and_b32_e32 v11, 60, v11
	v_cndmask_b32_e64 v1, v10, v1, s[0:1]
	ds_write_b32 v11, v1
.LBB36_7:
	s_or_b64 exec, exec, s[8:9]
	v_and_b32_e32 v1, 3, v0
	v_lshlrev_b32_e32 v1, 2, v1
	s_waitcnt lgkmcnt(0)
	s_barrier
	ds_read_b32 v1, v1
	s_waitcnt lgkmcnt(0)
	s_nop 0
	v_mov_b32_dpp v10, v1 quad_perm:[1,0,3,2] row_mask:0xf bank_mask:0xf
	v_cmp_gt_f32_e64 s[0:1], v1, v10
	v_cndmask_b32_e64 v1, v10, v1, s[0:1]
	s_nop 1
	v_mov_b32_dpp v10, v1 quad_perm:[2,3,0,1] row_mask:0xf bank_mask:0xf
	v_cmp_gt_f32_e64 s[0:1], v1, v10
	v_cndmask_b32_e64 v1, v10, v1, s[0:1]
	v_mul_f32_e32 v1, 0x3b124925, v1
	v_cmp_eq_u32_e64 s[0:1], 0, v0
	s_and_saveexec_b64 s[8:9], s[0:1]
	s_cbranch_execz .LBB36_9
; %bb.8:
	s_load_dwordx2 s[0:1], s[4:5], 0x8
	s_ashr_i32 s7, s6, 31
	s_lshl_b64 s[6:7], s[6:7], 2
	v_mov_b32_e32 v10, 0
	s_waitcnt lgkmcnt(0)
	s_add_u32 s0, s0, s6
	s_addc_u32 s1, s1, s7
	global_store_dword v10, v1, s[0:1]
.LBB36_9:
	s_or_b64 exec, exec, s[8:9]
	s_and_saveexec_b64 s[0:1], vcc
	s_cbranch_execz .LBB36_11
; %bb.10:
	s_load_dwordx2 s[0:1], s[4:5], 0x0
	v_rcp_f32_e32 v10, v1
	v_lshlrev_b32_e32 v22, 4, v0
	v_cvt_f32_f16_sdwa v1, v6 dst_sel:DWORD dst_unused:UNUSED_PAD src0_sel:WORD_1
	v_cvt_f32_f16_e32 v0, v6
	s_waitcnt lgkmcnt(0)
	s_add_u32 s0, s0, s2
	s_addc_u32 s1, s1, 0
	s_add_i32 s2, s10, 3
	v_mov_b32_e32 v11, v10
	;;#ASMSTART
	v_pk_mul_f32 v[0:1], v[0:1], v[10:11]
	;;#ASMEND
	s_ashr_i32 s4, s2, 31
	v_cvt_f32_f16_sdwa v13, v7 dst_sel:DWORD dst_unused:UNUSED_PAD src0_sel:WORD_1
	v_cvt_f32_f16_e32 v12, v7
	v_cvt_f32_f16_sdwa v7, v8 dst_sel:DWORD dst_unused:UNUSED_PAD src0_sel:WORD_1
	v_cvt_f32_f16_e32 v6, v8
	;; [unrolled: 2-line block ×4, first 2 shown]
	v_mov_b32_e32 v23, 0xc3e00000
	v_mov_b32_e32 v24, 0x43e00000
	;;#ASMSTART
	v_med3_f32 v0, v0, v23, v24
v_med3_f32 v1, v1, v23, v24
v_cvt_pk_fp8_f32 v2, v0, v1
	;;#ASMEND
	s_lshr_b32 s4, s4, 30
	;;#ASMSTART
	v_pk_mul_f32 v[0:1], v[12:13], v[10:11]
	;;#ASMEND
	s_add_i32 s2, s2, s4
	v_cvt_f32_f16_sdwa v17, v3 dst_sel:DWORD dst_unused:UNUSED_PAD src0_sel:WORD_1
	v_cvt_f32_f16_e32 v16, v3
	;;#ASMSTART
	v_med3_f32 v0, v0, v23, v24
v_med3_f32 v1, v1, v23, v24
v_cvt_pk_fp8_f32 v3, v0, v1
	;;#ASMEND
	s_mov_b32 s4, 0x5040100
	v_perm_b32 v0, v3, v2, s4
	s_mov_b32 s4, 0x1060504
	v_perm_b32 v0, v0, v3, s4
	;;#ASMSTART
	v_pk_mul_f32 v[2:3], v[6:7], v[10:11]
	;;#ASMEND
	v_mov_b32_e32 v1, v2
	v_cvt_f32_f16_sdwa v19, v4 dst_sel:DWORD dst_unused:UNUSED_PAD src0_sel:WORD_1
	v_cvt_f32_f16_e32 v18, v4
	;;#ASMSTART
	v_med3_f32 v1, v1, v23, v24
v_med3_f32 v3, v3, v23, v24
v_cvt_pk_fp8_f32 v4, v1, v3
	;;#ASMEND
	;;#ASMSTART
	v_pk_mul_f32 v[2:3], v[14:15], v[10:11]
	;;#ASMEND
	v_mov_b32_e32 v1, v3
	;;#ASMSTART
	v_med3_f32 v2, v2, v23, v24
v_med3_f32 v1, v1, v23, v24
v_cvt_pk_fp8_f32 v3, v2, v1
	;;#ASMEND
	s_mov_b32 s4, 0x1000504
	v_perm_b32 v1, v4, v3, s4
	;;#ASMSTART
	v_pk_mul_f32 v[2:3], v[8:9], v[10:11]
	;;#ASMEND
	;;#ASMSTART
	v_med3_f32 v2, v2, v23, v24
v_med3_f32 v3, v3, v23, v24
v_cvt_pk_fp8_f32 v4, v2, v3
	;;#ASMEND
	;;#ASMSTART
	v_pk_mul_f32 v[2:3], v[16:17], v[10:11]
	;;#ASMEND
	v_cvt_f32_f16_sdwa v21, v5 dst_sel:DWORD dst_unused:UNUSED_PAD src0_sel:WORD_1
	v_cvt_f32_f16_e32 v20, v5
	;;#ASMSTART
	v_med3_f32 v2, v2, v23, v24
v_med3_f32 v3, v3, v23, v24
v_cvt_pk_fp8_f32 v5, v2, v3
	;;#ASMEND
	v_perm_b32 v2, v4, v5, s4
	;;#ASMSTART
	v_pk_mul_f32 v[4:5], v[18:19], v[10:11]
	;;#ASMEND
	v_mov_b32_e32 v3, v4
	;;#ASMSTART
	v_med3_f32 v3, v3, v23, v24
v_med3_f32 v5, v5, v23, v24
v_cvt_pk_fp8_f32 v6, v3, v5
	;;#ASMEND
	;;#ASMSTART
	v_pk_mul_f32 v[4:5], v[20:21], v[10:11]
	;;#ASMEND
	v_mov_b32_e32 v3, v5
	;;#ASMSTART
	v_med3_f32 v4, v4, v23, v24
v_med3_f32 v3, v3, v23, v24
v_cvt_pk_fp8_f32 v5, v4, v3
	;;#ASMEND
	s_mov_b32 s3, 0x20000
	s_and_b32 s1, s1, 0xffff
	s_and_b32 s2, s2, -4
	v_perm_b32 v3, v6, v5, s4
	buffer_store_dwordx4 v[0:3], v22, s[0:3], 0 offen
	;;#ASMSTART
	s_nop 0
	;;#ASMEND
.LBB36_11:
	s_endpgm
	.section	.rodata,"a",@progbits
	.p2align	6, 0x0
	.amdhsa_kernel _ZN5aiter37dynamic_per_token_scaled_quant_kernelIDF16_DB8_Li16EEEvPT0_PfPT_PKfiPKii
		.amdhsa_group_segment_fixed_size 16
		.amdhsa_private_segment_fixed_size 0
		.amdhsa_kernarg_size 52
		.amdhsa_user_sgpr_count 6
		.amdhsa_user_sgpr_private_segment_buffer 1
		.amdhsa_user_sgpr_dispatch_ptr 0
		.amdhsa_user_sgpr_queue_ptr 0
		.amdhsa_user_sgpr_kernarg_segment_ptr 1
		.amdhsa_user_sgpr_dispatch_id 0
		.amdhsa_user_sgpr_flat_scratch_init 0
		.amdhsa_user_sgpr_kernarg_preload_length 0
		.amdhsa_user_sgpr_kernarg_preload_offset 0
		.amdhsa_user_sgpr_private_segment_size 0
		.amdhsa_uses_dynamic_stack 0
		.amdhsa_system_sgpr_private_segment_wavefront_offset 0
		.amdhsa_system_sgpr_workgroup_id_x 1
		.amdhsa_system_sgpr_workgroup_id_y 0
		.amdhsa_system_sgpr_workgroup_id_z 0
		.amdhsa_system_sgpr_workgroup_info 0
		.amdhsa_system_vgpr_workitem_id 0
		.amdhsa_next_free_vgpr 25
		.amdhsa_next_free_sgpr 16
		.amdhsa_accum_offset 28
		.amdhsa_reserve_vcc 1
		.amdhsa_reserve_flat_scratch 0
		.amdhsa_float_round_mode_32 0
		.amdhsa_float_round_mode_16_64 0
		.amdhsa_float_denorm_mode_32 3
		.amdhsa_float_denorm_mode_16_64 3
		.amdhsa_dx10_clamp 1
		.amdhsa_ieee_mode 1
		.amdhsa_fp16_overflow 0
		.amdhsa_tg_split 0
		.amdhsa_exception_fp_ieee_invalid_op 0
		.amdhsa_exception_fp_denorm_src 0
		.amdhsa_exception_fp_ieee_div_zero 0
		.amdhsa_exception_fp_ieee_overflow 0
		.amdhsa_exception_fp_ieee_underflow 0
		.amdhsa_exception_fp_ieee_inexact 0
		.amdhsa_exception_int_div_zero 0
	.end_amdhsa_kernel
	.section	.text._ZN5aiter37dynamic_per_token_scaled_quant_kernelIDF16_DB8_Li16EEEvPT0_PfPT_PKfiPKii,"axG",@progbits,_ZN5aiter37dynamic_per_token_scaled_quant_kernelIDF16_DB8_Li16EEEvPT0_PfPT_PKfiPKii,comdat
.Lfunc_end36:
	.size	_ZN5aiter37dynamic_per_token_scaled_quant_kernelIDF16_DB8_Li16EEEvPT0_PfPT_PKfiPKii, .Lfunc_end36-_ZN5aiter37dynamic_per_token_scaled_quant_kernelIDF16_DB8_Li16EEEvPT0_PfPT_PKfiPKii
                                        ; -- End function
	.section	.AMDGPU.csdata,"",@progbits
; Kernel info:
; codeLenInByte = 1312
; NumSgprs: 20
; NumVgprs: 25
; NumAgprs: 0
; TotalNumVgprs: 25
; ScratchSize: 0
; MemoryBound: 0
; FloatMode: 240
; IeeeMode: 1
; LDSByteSize: 16 bytes/workgroup (compile time only)
; SGPRBlocks: 2
; VGPRBlocks: 3
; NumSGPRsForWavesPerEU: 20
; NumVGPRsForWavesPerEU: 25
; AccumOffset: 28
; Occupancy: 8
; WaveLimiterHint : 0
; COMPUTE_PGM_RSRC2:SCRATCH_EN: 0
; COMPUTE_PGM_RSRC2:USER_SGPR: 6
; COMPUTE_PGM_RSRC2:TRAP_HANDLER: 0
; COMPUTE_PGM_RSRC2:TGID_X_EN: 1
; COMPUTE_PGM_RSRC2:TGID_Y_EN: 0
; COMPUTE_PGM_RSRC2:TGID_Z_EN: 0
; COMPUTE_PGM_RSRC2:TIDIG_COMP_CNT: 0
; COMPUTE_PGM_RSRC3_GFX90A:ACCUM_OFFSET: 6
; COMPUTE_PGM_RSRC3_GFX90A:TG_SPLIT: 0
	.section	.text._ZN5aiter37dynamic_per_token_scaled_quant_kernelItDB8_Li16EEEvPT0_PfPT_PKfiPKii,"axG",@progbits,_ZN5aiter37dynamic_per_token_scaled_quant_kernelItDB8_Li16EEEvPT0_PfPT_PKfiPKii,comdat
	.protected	_ZN5aiter37dynamic_per_token_scaled_quant_kernelItDB8_Li16EEEvPT0_PfPT_PKfiPKii ; -- Begin function _ZN5aiter37dynamic_per_token_scaled_quant_kernelItDB8_Li16EEEvPT0_PfPT_PKfiPKii
	.globl	_ZN5aiter37dynamic_per_token_scaled_quant_kernelItDB8_Li16EEEvPT0_PfPT_PKfiPKii
	.p2align	8
	.type	_ZN5aiter37dynamic_per_token_scaled_quant_kernelItDB8_Li16EEEvPT0_PfPT_PKfiPKii,@function
_ZN5aiter37dynamic_per_token_scaled_quant_kernelItDB8_Li16EEEvPT0_PfPT_PKfiPKii: ; @_ZN5aiter37dynamic_per_token_scaled_quant_kernelItDB8_Li16EEEvPT0_PfPT_PKfiPKii
; %bb.0:
	s_load_dwordx2 s[2:3], s[4:5], 0x28
	s_waitcnt lgkmcnt(0)
	s_cmp_eq_u64 s[2:3], 0
	s_cselect_b64 s[0:1], -1, 0
	s_and_b64 vcc, exec, s[0:1]
	s_cbranch_vccnz .LBB37_2
; %bb.1:
	s_load_dword s0, s[4:5], 0x30
	s_load_dword s1, s[2:3], 0x0
	s_waitcnt lgkmcnt(0)
	s_mul_i32 s1, s1, s0
	s_cmp_lt_i32 s6, s1
	s_cselect_b64 s[0:1], -1, 0
.LBB37_2:
	s_andn2_b64 vcc, exec, s[0:1]
	s_cbranch_vccnz .LBB37_11
; %bb.3:
	s_load_dword s10, s[4:5], 0x20
	v_mov_b32_e32 v1, 0
                                        ; implicit-def: $vgpr6
                                        ; implicit-def: $vgpr2
	s_waitcnt lgkmcnt(0)
	s_add_i32 s0, s10, 15
	s_ashr_i32 s1, s0, 31
	s_lshr_b32 s1, s1, 28
	s_add_i32 s0, s0, s1
	s_ashr_i32 s0, s0, 4
	v_cmp_gt_u32_e32 vcc, s0, v0
	s_mul_i32 s2, s6, s10
	s_and_saveexec_b64 s[0:1], vcc
	s_cbranch_execz .LBB37_5
; %bb.4:
	s_load_dwordx2 s[8:9], s[4:5], 0x10
	s_mov_b32 s3, 0
	s_lshl_b64 s[12:13], s[2:3], 1
	s_mov_b32 s15, 0x20000
	v_lshlrev_b32_e32 v1, 5, v0
	s_waitcnt lgkmcnt(0)
	s_add_u32 s12, s8, s12
	s_addc_u32 s3, s9, s13
	s_add_i32 s7, s10, 1
	s_lshr_b32 s8, s7, 31
	s_add_i32 s7, s7, s8
	s_and_b32 s13, s3, 0xffff
	s_lshl_b32 s3, s7, 1
	s_and_b32 s14, s3, -4
	buffer_load_dwordx4 v[6:9], v1, s[12:15], 0 offen
	buffer_load_dwordx4 v[2:5], v1, s[12:15], 16 offen
	s_waitcnt vmcnt(1)
	v_cvt_f32_u32_sdwa v1, v6 dst_sel:DWORD dst_unused:UNUSED_PAD src0_sel:WORD_0
	v_cvt_f32_u32_sdwa v10, v6 dst_sel:DWORD dst_unused:UNUSED_PAD src0_sel:WORD_1
	v_cvt_f32_u32_sdwa v11, v7 dst_sel:DWORD dst_unused:UNUSED_PAD src0_sel:WORD_0
	v_cvt_f32_u32_sdwa v12, v7 dst_sel:DWORD dst_unused:UNUSED_PAD src0_sel:WORD_1
	;; [unrolled: 2-line block ×4, first 2 shown]
	s_waitcnt vmcnt(0)
	v_cvt_f32_u32_sdwa v17, v2 dst_sel:DWORD dst_unused:UNUSED_PAD src0_sel:WORD_0
	v_cvt_f32_u32_sdwa v18, v2 dst_sel:DWORD dst_unused:UNUSED_PAD src0_sel:WORD_1
	v_max3_f32 v1, v1, 0, v10
	v_cvt_f32_u32_sdwa v19, v3 dst_sel:DWORD dst_unused:UNUSED_PAD src0_sel:WORD_0
	v_cvt_f32_u32_sdwa v20, v3 dst_sel:DWORD dst_unused:UNUSED_PAD src0_sel:WORD_1
	v_max3_f32 v1, v1, v11, v12
	;; [unrolled: 3-line block ×3, first 2 shown]
	v_cvt_f32_u32_sdwa v23, v5 dst_sel:DWORD dst_unused:UNUSED_PAD src0_sel:WORD_0
	v_max3_f32 v1, v1, v15, v16
	v_cvt_f32_u32_sdwa v10, v5 dst_sel:DWORD dst_unused:UNUSED_PAD src0_sel:WORD_1
	v_max3_f32 v1, v1, v17, v18
	v_max3_f32 v1, v1, v19, v20
	;; [unrolled: 1-line block ×4, first 2 shown]
.LBB37_5:
	s_or_b64 exec, exec, s[0:1]
	s_nop 0
	v_mov_b32_dpp v10, v1 quad_perm:[1,0,3,2] row_mask:0xf bank_mask:0xf
	v_cmp_gt_f32_e64 s[0:1], v1, v10
	v_cndmask_b32_e64 v1, v10, v1, s[0:1]
	v_and_b32_e32 v11, 63, v0
	s_nop 0
	v_mov_b32_dpp v10, v1 quad_perm:[2,3,0,1] row_mask:0xf bank_mask:0xf
	v_cmp_gt_f32_e64 s[0:1], v1, v10
	v_cndmask_b32_e64 v1, v10, v1, s[0:1]
	s_nop 1
	v_mov_b32_dpp v10, v1 row_half_mirror row_mask:0xf bank_mask:0xf
	v_cmp_gt_f32_e64 s[0:1], v1, v10
	v_cndmask_b32_e64 v1, v10, v1, s[0:1]
	s_nop 1
	v_mov_b32_dpp v10, v1 row_mirror row_mask:0xf bank_mask:0xf
	v_cmp_gt_f32_e64 s[0:1], v1, v10
	v_cndmask_b32_e64 v1, v10, v1, s[0:1]
	s_nop 1
	v_mov_b32_dpp v10, v1 row_bcast:15 row_mask:0xf bank_mask:0xf
	v_cmp_gt_f32_e64 s[0:1], v1, v10
	v_cndmask_b32_e64 v1, v10, v1, s[0:1]
	v_cmp_eq_u32_e64 s[0:1], 63, v11
	s_nop 0
	v_mov_b32_dpp v10, v1 row_bcast:31 row_mask:0xf bank_mask:0xf
	s_and_saveexec_b64 s[8:9], s[0:1]
	s_cbranch_execz .LBB37_7
; %bb.6:
	v_lshrrev_b32_e32 v11, 4, v0
	v_cmp_gt_f32_e64 s[0:1], v1, v10
	v_and_b32_e32 v11, 60, v11
	v_cndmask_b32_e64 v1, v10, v1, s[0:1]
	ds_write_b32 v11, v1
.LBB37_7:
	s_or_b64 exec, exec, s[8:9]
	v_and_b32_e32 v1, 3, v0
	v_lshlrev_b32_e32 v1, 2, v1
	s_waitcnt lgkmcnt(0)
	s_barrier
	ds_read_b32 v1, v1
	s_waitcnt lgkmcnt(0)
	s_nop 0
	v_mov_b32_dpp v10, v1 quad_perm:[1,0,3,2] row_mask:0xf bank_mask:0xf
	v_cmp_gt_f32_e64 s[0:1], v1, v10
	v_cndmask_b32_e64 v1, v10, v1, s[0:1]
	s_nop 1
	v_mov_b32_dpp v10, v1 quad_perm:[2,3,0,1] row_mask:0xf bank_mask:0xf
	v_cmp_gt_f32_e64 s[0:1], v1, v10
	v_cndmask_b32_e64 v1, v10, v1, s[0:1]
	v_mul_f32_e32 v1, 0x3b124925, v1
	v_cmp_eq_u32_e64 s[0:1], 0, v0
	s_and_saveexec_b64 s[8:9], s[0:1]
	s_cbranch_execz .LBB37_9
; %bb.8:
	s_load_dwordx2 s[0:1], s[4:5], 0x8
	s_ashr_i32 s7, s6, 31
	s_lshl_b64 s[6:7], s[6:7], 2
	v_mov_b32_e32 v10, 0
	s_waitcnt lgkmcnt(0)
	s_add_u32 s0, s0, s6
	s_addc_u32 s1, s1, s7
	global_store_dword v10, v1, s[0:1]
.LBB37_9:
	s_or_b64 exec, exec, s[8:9]
	s_and_saveexec_b64 s[0:1], vcc
	s_cbranch_execz .LBB37_11
; %bb.10:
	s_load_dwordx2 s[0:1], s[4:5], 0x0
	v_rcp_f32_e32 v10, v1
	v_lshlrev_b32_e32 v22, 4, v0
	v_cvt_f32_u32_sdwa v1, v6 dst_sel:DWORD dst_unused:UNUSED_PAD src0_sel:WORD_1
	v_cvt_f32_u32_sdwa v0, v6 dst_sel:DWORD dst_unused:UNUSED_PAD src0_sel:WORD_0
	s_waitcnt lgkmcnt(0)
	s_add_u32 s0, s0, s2
	s_addc_u32 s1, s1, 0
	s_add_i32 s2, s10, 3
	v_mov_b32_e32 v11, v10
	;;#ASMSTART
	v_pk_mul_f32 v[0:1], v[0:1], v[10:11]
	;;#ASMEND
	s_ashr_i32 s4, s2, 31
	v_cvt_f32_u32_sdwa v13, v7 dst_sel:DWORD dst_unused:UNUSED_PAD src0_sel:WORD_1
	v_cvt_f32_u32_sdwa v12, v7 dst_sel:DWORD dst_unused:UNUSED_PAD src0_sel:WORD_0
	v_cvt_f32_u32_sdwa v7, v8 dst_sel:DWORD dst_unused:UNUSED_PAD src0_sel:WORD_1
	v_cvt_f32_u32_sdwa v6, v8 dst_sel:DWORD dst_unused:UNUSED_PAD src0_sel:WORD_0
	v_cvt_f32_u32_sdwa v15, v9 dst_sel:DWORD dst_unused:UNUSED_PAD src0_sel:WORD_1
	v_cvt_f32_u32_sdwa v14, v9 dst_sel:DWORD dst_unused:UNUSED_PAD src0_sel:WORD_0
	v_cvt_f32_u32_sdwa v9, v2 dst_sel:DWORD dst_unused:UNUSED_PAD src0_sel:WORD_1
	v_cvt_f32_u32_sdwa v8, v2 dst_sel:DWORD dst_unused:UNUSED_PAD src0_sel:WORD_0
	v_mov_b32_e32 v23, 0xc3e00000
	v_mov_b32_e32 v24, 0x43e00000
	;;#ASMSTART
	v_med3_f32 v0, v0, v23, v24
v_med3_f32 v1, v1, v23, v24
v_cvt_pk_fp8_f32 v2, v0, v1
	;;#ASMEND
	s_lshr_b32 s4, s4, 30
	;;#ASMSTART
	v_pk_mul_f32 v[0:1], v[12:13], v[10:11]
	;;#ASMEND
	s_add_i32 s2, s2, s4
	v_cvt_f32_u32_sdwa v17, v3 dst_sel:DWORD dst_unused:UNUSED_PAD src0_sel:WORD_1
	v_cvt_f32_u32_sdwa v16, v3 dst_sel:DWORD dst_unused:UNUSED_PAD src0_sel:WORD_0
	;;#ASMSTART
	v_med3_f32 v0, v0, v23, v24
v_med3_f32 v1, v1, v23, v24
v_cvt_pk_fp8_f32 v3, v0, v1
	;;#ASMEND
	s_mov_b32 s4, 0x5040100
	v_perm_b32 v0, v3, v2, s4
	s_mov_b32 s4, 0x1060504
	v_perm_b32 v0, v0, v3, s4
	;;#ASMSTART
	v_pk_mul_f32 v[2:3], v[6:7], v[10:11]
	;;#ASMEND
	v_mov_b32_e32 v1, v2
	v_cvt_f32_u32_sdwa v19, v4 dst_sel:DWORD dst_unused:UNUSED_PAD src0_sel:WORD_1
	v_cvt_f32_u32_sdwa v18, v4 dst_sel:DWORD dst_unused:UNUSED_PAD src0_sel:WORD_0
	;;#ASMSTART
	v_med3_f32 v1, v1, v23, v24
v_med3_f32 v3, v3, v23, v24
v_cvt_pk_fp8_f32 v4, v1, v3
	;;#ASMEND
	;;#ASMSTART
	v_pk_mul_f32 v[2:3], v[14:15], v[10:11]
	;;#ASMEND
	v_mov_b32_e32 v1, v3
	;;#ASMSTART
	v_med3_f32 v2, v2, v23, v24
v_med3_f32 v1, v1, v23, v24
v_cvt_pk_fp8_f32 v3, v2, v1
	;;#ASMEND
	s_mov_b32 s4, 0x1000504
	v_perm_b32 v1, v4, v3, s4
	;;#ASMSTART
	v_pk_mul_f32 v[2:3], v[8:9], v[10:11]
	;;#ASMEND
	;;#ASMSTART
	v_med3_f32 v2, v2, v23, v24
v_med3_f32 v3, v3, v23, v24
v_cvt_pk_fp8_f32 v4, v2, v3
	;;#ASMEND
	;;#ASMSTART
	v_pk_mul_f32 v[2:3], v[16:17], v[10:11]
	;;#ASMEND
	v_cvt_f32_u32_sdwa v21, v5 dst_sel:DWORD dst_unused:UNUSED_PAD src0_sel:WORD_1
	v_cvt_f32_u32_sdwa v20, v5 dst_sel:DWORD dst_unused:UNUSED_PAD src0_sel:WORD_0
	;;#ASMSTART
	v_med3_f32 v2, v2, v23, v24
v_med3_f32 v3, v3, v23, v24
v_cvt_pk_fp8_f32 v5, v2, v3
	;;#ASMEND
	v_perm_b32 v2, v4, v5, s4
	;;#ASMSTART
	v_pk_mul_f32 v[4:5], v[18:19], v[10:11]
	;;#ASMEND
	v_mov_b32_e32 v3, v4
	;;#ASMSTART
	v_med3_f32 v3, v3, v23, v24
v_med3_f32 v5, v5, v23, v24
v_cvt_pk_fp8_f32 v6, v3, v5
	;;#ASMEND
	;;#ASMSTART
	v_pk_mul_f32 v[4:5], v[20:21], v[10:11]
	;;#ASMEND
	v_mov_b32_e32 v3, v5
	;;#ASMSTART
	v_med3_f32 v4, v4, v23, v24
v_med3_f32 v3, v3, v23, v24
v_cvt_pk_fp8_f32 v5, v4, v3
	;;#ASMEND
	s_mov_b32 s3, 0x20000
	s_and_b32 s1, s1, 0xffff
	s_and_b32 s2, s2, -4
	v_perm_b32 v3, v6, v5, s4
	buffer_store_dwordx4 v[0:3], v22, s[0:3], 0 offen
	;;#ASMSTART
	s_nop 0
	;;#ASMEND
.LBB37_11:
	s_endpgm
	.section	.rodata,"a",@progbits
	.p2align	6, 0x0
	.amdhsa_kernel _ZN5aiter37dynamic_per_token_scaled_quant_kernelItDB8_Li16EEEvPT0_PfPT_PKfiPKii
		.amdhsa_group_segment_fixed_size 16
		.amdhsa_private_segment_fixed_size 0
		.amdhsa_kernarg_size 52
		.amdhsa_user_sgpr_count 6
		.amdhsa_user_sgpr_private_segment_buffer 1
		.amdhsa_user_sgpr_dispatch_ptr 0
		.amdhsa_user_sgpr_queue_ptr 0
		.amdhsa_user_sgpr_kernarg_segment_ptr 1
		.amdhsa_user_sgpr_dispatch_id 0
		.amdhsa_user_sgpr_flat_scratch_init 0
		.amdhsa_user_sgpr_kernarg_preload_length 0
		.amdhsa_user_sgpr_kernarg_preload_offset 0
		.amdhsa_user_sgpr_private_segment_size 0
		.amdhsa_uses_dynamic_stack 0
		.amdhsa_system_sgpr_private_segment_wavefront_offset 0
		.amdhsa_system_sgpr_workgroup_id_x 1
		.amdhsa_system_sgpr_workgroup_id_y 0
		.amdhsa_system_sgpr_workgroup_id_z 0
		.amdhsa_system_sgpr_workgroup_info 0
		.amdhsa_system_vgpr_workitem_id 0
		.amdhsa_next_free_vgpr 25
		.amdhsa_next_free_sgpr 16
		.amdhsa_accum_offset 28
		.amdhsa_reserve_vcc 1
		.amdhsa_reserve_flat_scratch 0
		.amdhsa_float_round_mode_32 0
		.amdhsa_float_round_mode_16_64 0
		.amdhsa_float_denorm_mode_32 3
		.amdhsa_float_denorm_mode_16_64 3
		.amdhsa_dx10_clamp 1
		.amdhsa_ieee_mode 1
		.amdhsa_fp16_overflow 0
		.amdhsa_tg_split 0
		.amdhsa_exception_fp_ieee_invalid_op 0
		.amdhsa_exception_fp_denorm_src 0
		.amdhsa_exception_fp_ieee_div_zero 0
		.amdhsa_exception_fp_ieee_overflow 0
		.amdhsa_exception_fp_ieee_underflow 0
		.amdhsa_exception_fp_ieee_inexact 0
		.amdhsa_exception_int_div_zero 0
	.end_amdhsa_kernel
	.section	.text._ZN5aiter37dynamic_per_token_scaled_quant_kernelItDB8_Li16EEEvPT0_PfPT_PKfiPKii,"axG",@progbits,_ZN5aiter37dynamic_per_token_scaled_quant_kernelItDB8_Li16EEEvPT0_PfPT_PKfiPKii,comdat
.Lfunc_end37:
	.size	_ZN5aiter37dynamic_per_token_scaled_quant_kernelItDB8_Li16EEEvPT0_PfPT_PKfiPKii, .Lfunc_end37-_ZN5aiter37dynamic_per_token_scaled_quant_kernelItDB8_Li16EEEvPT0_PfPT_PKfiPKii
                                        ; -- End function
	.section	.AMDGPU.csdata,"",@progbits
; Kernel info:
; codeLenInByte = 1344
; NumSgprs: 20
; NumVgprs: 25
; NumAgprs: 0
; TotalNumVgprs: 25
; ScratchSize: 0
; MemoryBound: 0
; FloatMode: 240
; IeeeMode: 1
; LDSByteSize: 16 bytes/workgroup (compile time only)
; SGPRBlocks: 2
; VGPRBlocks: 3
; NumSGPRsForWavesPerEU: 20
; NumVGPRsForWavesPerEU: 25
; AccumOffset: 28
; Occupancy: 8
; WaveLimiterHint : 0
; COMPUTE_PGM_RSRC2:SCRATCH_EN: 0
; COMPUTE_PGM_RSRC2:USER_SGPR: 6
; COMPUTE_PGM_RSRC2:TRAP_HANDLER: 0
; COMPUTE_PGM_RSRC2:TGID_X_EN: 1
; COMPUTE_PGM_RSRC2:TGID_Y_EN: 0
; COMPUTE_PGM_RSRC2:TGID_Z_EN: 0
; COMPUTE_PGM_RSRC2:TIDIG_COMP_CNT: 0
; COMPUTE_PGM_RSRC3_GFX90A:ACCUM_OFFSET: 6
; COMPUTE_PGM_RSRC3_GFX90A:TG_SPLIT: 0
	.section	.text._ZN5aiter37dynamic_per_token_scaled_quant_kernelIDF16_DB8_Li32EEEvPT0_PfPT_PKfiPKii,"axG",@progbits,_ZN5aiter37dynamic_per_token_scaled_quant_kernelIDF16_DB8_Li32EEEvPT0_PfPT_PKfiPKii,comdat
	.protected	_ZN5aiter37dynamic_per_token_scaled_quant_kernelIDF16_DB8_Li32EEEvPT0_PfPT_PKfiPKii ; -- Begin function _ZN5aiter37dynamic_per_token_scaled_quant_kernelIDF16_DB8_Li32EEEvPT0_PfPT_PKfiPKii
	.globl	_ZN5aiter37dynamic_per_token_scaled_quant_kernelIDF16_DB8_Li32EEEvPT0_PfPT_PKfiPKii
	.p2align	8
	.type	_ZN5aiter37dynamic_per_token_scaled_quant_kernelIDF16_DB8_Li32EEEvPT0_PfPT_PKfiPKii,@function
_ZN5aiter37dynamic_per_token_scaled_quant_kernelIDF16_DB8_Li32EEEvPT0_PfPT_PKfiPKii: ; @_ZN5aiter37dynamic_per_token_scaled_quant_kernelIDF16_DB8_Li32EEEvPT0_PfPT_PKfiPKii
; %bb.0:
	s_load_dwordx2 s[2:3], s[4:5], 0x28
	s_waitcnt lgkmcnt(0)
	s_cmp_eq_u64 s[2:3], 0
	s_cselect_b64 s[0:1], -1, 0
	s_and_b64 vcc, exec, s[0:1]
	s_cbranch_vccnz .LBB38_2
; %bb.1:
	s_load_dword s0, s[4:5], 0x30
	s_load_dword s1, s[2:3], 0x0
	s_waitcnt lgkmcnt(0)
	s_mul_i32 s1, s1, s0
	s_cmp_lt_i32 s6, s1
	s_cselect_b64 s[0:1], -1, 0
.LBB38_2:
	s_andn2_b64 vcc, exec, s[0:1]
	s_cbranch_vccnz .LBB38_11
; %bb.3:
	s_load_dword s10, s[4:5], 0x20
	v_mov_b32_e32 v1, 0
                                        ; implicit-def: $vgpr14
                                        ; implicit-def: $vgpr10
                                        ; implicit-def: $vgpr6
                                        ; implicit-def: $vgpr2
	s_waitcnt lgkmcnt(0)
	s_add_i32 s0, s10, 31
	s_ashr_i32 s1, s0, 31
	s_lshr_b32 s1, s1, 27
	s_add_i32 s0, s0, s1
	s_ashr_i32 s0, s0, 5
	v_cmp_gt_u32_e32 vcc, s0, v0
	s_mul_i32 s2, s6, s10
	s_and_saveexec_b64 s[0:1], vcc
	s_cbranch_execz .LBB38_5
; %bb.4:
	s_load_dwordx2 s[8:9], s[4:5], 0x10
	s_mov_b32 s3, 0
	s_lshl_b64 s[12:13], s[2:3], 1
	s_mov_b32 s15, 0x20000
	v_lshlrev_b32_e32 v1, 6, v0
	s_waitcnt lgkmcnt(0)
	s_add_u32 s12, s8, s12
	s_addc_u32 s3, s9, s13
	s_add_i32 s7, s10, 1
	s_lshr_b32 s8, s7, 31
	s_add_i32 s7, s7, s8
	s_and_b32 s13, s3, 0xffff
	s_lshl_b32 s3, s7, 1
	s_and_b32 s14, s3, -4
	buffer_load_dwordx4 v[14:17], v1, s[12:15], 0 offen
	buffer_load_dwordx4 v[10:13], v1, s[12:15], 16 offen
	;; [unrolled: 1-line block ×4, first 2 shown]
	s_waitcnt vmcnt(3)
	v_cvt_f32_f16_e64 v1, |v14|
	v_cvt_f32_f16_sdwa v18, |v14| dst_sel:DWORD dst_unused:UNUSED_PAD src0_sel:WORD_1
	v_cvt_f32_f16_e64 v19, |v15|
	v_cvt_f32_f16_sdwa v20, |v15| dst_sel:DWORD dst_unused:UNUSED_PAD src0_sel:WORD_1
	;; [unrolled: 2-line block ×4, first 2 shown]
	s_waitcnt vmcnt(2)
	v_cvt_f32_f16_e64 v25, |v10|
	v_cvt_f32_f16_sdwa v26, |v10| dst_sel:DWORD dst_unused:UNUSED_PAD src0_sel:WORD_1
	v_max3_f32 v1, v1, 0, v18
	v_cvt_f32_f16_e64 v27, |v11|
	v_cvt_f32_f16_sdwa v28, |v11| dst_sel:DWORD dst_unused:UNUSED_PAD src0_sel:WORD_1
	v_max3_f32 v1, v1, v19, v20
	;; [unrolled: 3-line block ×4, first 2 shown]
	s_waitcnt vmcnt(1)
	v_cvt_f32_f16_e64 v33, |v6|
	v_cvt_f32_f16_sdwa v34, |v6| dst_sel:DWORD dst_unused:UNUSED_PAD src0_sel:WORD_1
	v_max3_f32 v1, v1, v25, v26
	v_cvt_f32_f16_e64 v35, |v7|
	v_cvt_f32_f16_sdwa v36, |v7| dst_sel:DWORD dst_unused:UNUSED_PAD src0_sel:WORD_1
	v_max3_f32 v1, v1, v27, v28
	;; [unrolled: 3-line block ×4, first 2 shown]
	s_waitcnt vmcnt(0)
	v_cvt_f32_f16_e64 v41, |v2|
	v_cvt_f32_f16_sdwa v42, |v2| dst_sel:DWORD dst_unused:UNUSED_PAD src0_sel:WORD_1
	v_max3_f32 v1, v1, v33, v34
	v_cvt_f32_f16_e64 v43, |v3|
	v_cvt_f32_f16_sdwa v44, |v3| dst_sel:DWORD dst_unused:UNUSED_PAD src0_sel:WORD_1
	v_max3_f32 v1, v1, v35, v36
	;; [unrolled: 3-line block ×3, first 2 shown]
	v_cvt_f32_f16_e64 v47, |v5|
	v_max3_f32 v1, v1, v39, v40
	v_cvt_f32_f16_sdwa v18, |v5| dst_sel:DWORD dst_unused:UNUSED_PAD src0_sel:WORD_1
	v_max3_f32 v1, v1, v41, v42
	v_max3_f32 v1, v1, v43, v44
	;; [unrolled: 1-line block ×4, first 2 shown]
.LBB38_5:
	s_or_b64 exec, exec, s[0:1]
	s_nop 0
	v_mov_b32_dpp v18, v1 quad_perm:[1,0,3,2] row_mask:0xf bank_mask:0xf
	v_cmp_gt_f32_e64 s[0:1], v1, v18
	v_cndmask_b32_e64 v1, v18, v1, s[0:1]
	v_and_b32_e32 v19, 63, v0
	s_nop 0
	v_mov_b32_dpp v18, v1 quad_perm:[2,3,0,1] row_mask:0xf bank_mask:0xf
	v_cmp_gt_f32_e64 s[0:1], v1, v18
	v_cndmask_b32_e64 v1, v18, v1, s[0:1]
	s_nop 1
	v_mov_b32_dpp v18, v1 row_half_mirror row_mask:0xf bank_mask:0xf
	v_cmp_gt_f32_e64 s[0:1], v1, v18
	v_cndmask_b32_e64 v1, v18, v1, s[0:1]
	s_nop 1
	v_mov_b32_dpp v18, v1 row_mirror row_mask:0xf bank_mask:0xf
	v_cmp_gt_f32_e64 s[0:1], v1, v18
	v_cndmask_b32_e64 v1, v18, v1, s[0:1]
	s_nop 1
	v_mov_b32_dpp v18, v1 row_bcast:15 row_mask:0xf bank_mask:0xf
	v_cmp_gt_f32_e64 s[0:1], v1, v18
	v_cndmask_b32_e64 v1, v18, v1, s[0:1]
	v_cmp_eq_u32_e64 s[0:1], 63, v19
	s_nop 0
	v_mov_b32_dpp v18, v1 row_bcast:31 row_mask:0xf bank_mask:0xf
	s_and_saveexec_b64 s[8:9], s[0:1]
	s_cbranch_execz .LBB38_7
; %bb.6:
	v_lshrrev_b32_e32 v19, 4, v0
	v_cmp_gt_f32_e64 s[0:1], v1, v18
	v_and_b32_e32 v19, 60, v19
	v_cndmask_b32_e64 v1, v18, v1, s[0:1]
	ds_write_b32 v19, v1
.LBB38_7:
	s_or_b64 exec, exec, s[8:9]
	v_and_b32_e32 v1, 3, v0
	v_lshlrev_b32_e32 v1, 2, v1
	s_waitcnt lgkmcnt(0)
	s_barrier
	ds_read_b32 v1, v1
	s_waitcnt lgkmcnt(0)
	s_nop 0
	v_mov_b32_dpp v18, v1 quad_perm:[1,0,3,2] row_mask:0xf bank_mask:0xf
	v_cmp_gt_f32_e64 s[0:1], v1, v18
	v_cndmask_b32_e64 v1, v18, v1, s[0:1]
	s_nop 1
	v_mov_b32_dpp v18, v1 quad_perm:[2,3,0,1] row_mask:0xf bank_mask:0xf
	v_cmp_gt_f32_e64 s[0:1], v1, v18
	v_cndmask_b32_e64 v1, v18, v1, s[0:1]
	v_mul_f32_e32 v1, 0x3b124925, v1
	v_cmp_eq_u32_e64 s[0:1], 0, v0
	s_and_saveexec_b64 s[8:9], s[0:1]
	s_cbranch_execz .LBB38_9
; %bb.8:
	s_load_dwordx2 s[0:1], s[4:5], 0x8
	s_ashr_i32 s7, s6, 31
	s_lshl_b64 s[6:7], s[6:7], 2
	v_mov_b32_e32 v18, 0
	s_waitcnt lgkmcnt(0)
	s_add_u32 s0, s0, s6
	s_addc_u32 s1, s1, s7
	global_store_dword v18, v1, s[0:1]
.LBB38_9:
	s_or_b64 exec, exec, s[8:9]
	s_and_saveexec_b64 s[0:1], vcc
	s_cbranch_execz .LBB38_11
; %bb.10:
	s_load_dwordx2 s[0:1], s[4:5], 0x0
	v_rcp_f32_e32 v18, v1
	v_lshlrev_b32_e32 v30, 5, v0
	v_cvt_f32_f16_sdwa v1, v14 dst_sel:DWORD dst_unused:UNUSED_PAD src0_sel:WORD_1
	v_cvt_f32_f16_e32 v0, v14
	s_waitcnt lgkmcnt(0)
	s_add_u32 s0, s0, s2
	s_addc_u32 s1, s1, 0
	s_add_i32 s2, s10, 3
	v_mov_b32_e32 v19, v18
	;;#ASMSTART
	v_pk_mul_f32 v[0:1], v[0:1], v[18:19]
	;;#ASMEND
	s_ashr_i32 s4, s2, 31
	v_cvt_f32_f16_sdwa v21, v15 dst_sel:DWORD dst_unused:UNUSED_PAD src0_sel:WORD_1
	v_cvt_f32_f16_e32 v20, v15
	v_cvt_f32_f16_sdwa v15, v16 dst_sel:DWORD dst_unused:UNUSED_PAD src0_sel:WORD_1
	v_cvt_f32_f16_e32 v14, v16
	;; [unrolled: 2-line block ×4, first 2 shown]
	v_mov_b32_e32 v31, 0xc3e00000
	v_mov_b32_e32 v32, 0x43e00000
	;;#ASMSTART
	v_med3_f32 v0, v0, v31, v32
v_med3_f32 v1, v1, v31, v32
v_cvt_pk_fp8_f32 v10, v0, v1
	;;#ASMEND
	s_lshr_b32 s4, s4, 30
	;;#ASMSTART
	v_pk_mul_f32 v[0:1], v[20:21], v[18:19]
	;;#ASMEND
	s_add_i32 s2, s2, s4
	v_cvt_f32_f16_sdwa v25, v11 dst_sel:DWORD dst_unused:UNUSED_PAD src0_sel:WORD_1
	v_cvt_f32_f16_e32 v24, v11
	;;#ASMSTART
	v_med3_f32 v0, v0, v31, v32
v_med3_f32 v1, v1, v31, v32
v_cvt_pk_fp8_f32 v11, v0, v1
	;;#ASMEND
	s_mov_b32 s4, 0x5040100
	v_perm_b32 v0, v11, v10, s4
	s_mov_b32 s5, 0x1060504
	v_perm_b32 v10, v0, v11, s5
	;;#ASMSTART
	v_pk_mul_f32 v[0:1], v[14:15], v[18:19]
	;;#ASMEND
	;;#ASMSTART
	v_med3_f32 v0, v0, v31, v32
v_med3_f32 v1, v1, v31, v32
v_cvt_pk_fp8_f32 v11, v0, v1
	;;#ASMEND
	;;#ASMSTART
	v_pk_mul_f32 v[0:1], v[22:23], v[18:19]
	;;#ASMEND
	v_cvt_f32_f16_sdwa v27, v12 dst_sel:DWORD dst_unused:UNUSED_PAD src0_sel:WORD_1
	v_cvt_f32_f16_e32 v26, v12
	;;#ASMSTART
	v_med3_f32 v0, v0, v31, v32
v_med3_f32 v1, v1, v31, v32
v_cvt_pk_fp8_f32 v12, v0, v1
	;;#ASMEND
	s_mov_b32 s6, 0x1000504
	;;#ASMSTART
	v_pk_mul_f32 v[0:1], v[16:17], v[18:19]
	;;#ASMEND
	v_perm_b32 v11, v11, v12, s6
	;;#ASMSTART
	v_med3_f32 v0, v0, v31, v32
v_med3_f32 v1, v1, v31, v32
v_cvt_pk_fp8_f32 v12, v0, v1
	;;#ASMEND
	;;#ASMSTART
	v_pk_mul_f32 v[0:1], v[24:25], v[18:19]
	;;#ASMEND
	v_cvt_f32_f16_sdwa v29, v13 dst_sel:DWORD dst_unused:UNUSED_PAD src0_sel:WORD_1
	v_cvt_f32_f16_e32 v28, v13
	;;#ASMSTART
	v_med3_f32 v0, v0, v31, v32
v_med3_f32 v1, v1, v31, v32
v_cvt_pk_fp8_f32 v13, v0, v1
	;;#ASMEND
	;;#ASMSTART
	v_pk_mul_f32 v[0:1], v[26:27], v[18:19]
	;;#ASMEND
	v_perm_b32 v12, v12, v13, s6
	;;#ASMSTART
	v_med3_f32 v0, v0, v31, v32
v_med3_f32 v1, v1, v31, v32
v_cvt_pk_fp8_f32 v13, v0, v1
	;;#ASMEND
	;;#ASMSTART
	v_pk_mul_f32 v[0:1], v[28:29], v[18:19]
	;;#ASMEND
	;;#ASMSTART
	v_med3_f32 v0, v0, v31, v32
v_med3_f32 v1, v1, v31, v32
v_cvt_pk_fp8_f32 v14, v0, v1
	;;#ASMEND
	s_mov_b32 s3, 0x20000
	s_and_b32 s1, s1, 0xffff
	s_and_b32 s2, s2, -4
	v_perm_b32 v13, v13, v14, s6
	v_cvt_f32_f16_sdwa v1, v6 dst_sel:DWORD dst_unused:UNUSED_PAD src0_sel:WORD_1
	v_cvt_f32_f16_e32 v0, v6
	buffer_store_dwordx4 v[10:13], v30, s[0:3], 0 offen
	;;#ASMSTART
	s_nop 0
	;;#ASMEND
	;;#ASMSTART
	v_pk_mul_f32 v[0:1], v[0:1], v[18:19]
	;;#ASMEND
	v_cvt_f32_f16_e32 v6, v8
	v_cvt_f32_f16_sdwa v11, v7 dst_sel:DWORD dst_unused:UNUSED_PAD src0_sel:WORD_1
	v_cvt_f32_f16_e32 v10, v7
	v_cvt_f32_f16_sdwa v7, v8 dst_sel:DWORD dst_unused:UNUSED_PAD src0_sel:WORD_1
	v_cvt_f32_f16_sdwa v13, v9 dst_sel:DWORD dst_unused:UNUSED_PAD src0_sel:WORD_1
	v_cvt_f32_f16_e32 v12, v9
	v_cvt_f32_f16_sdwa v9, v2 dst_sel:DWORD dst_unused:UNUSED_PAD src0_sel:WORD_1
	v_cvt_f32_f16_e32 v8, v2
	;;#ASMSTART
	v_med3_f32 v0, v0, v31, v32
v_med3_f32 v1, v1, v31, v32
v_cvt_pk_fp8_f32 v2, v0, v1
	;;#ASMEND
	;;#ASMSTART
	v_pk_mul_f32 v[0:1], v[10:11], v[18:19]
	;;#ASMEND
	v_cvt_f32_f16_sdwa v15, v3 dst_sel:DWORD dst_unused:UNUSED_PAD src0_sel:WORD_1
	v_cvt_f32_f16_e32 v14, v3
	;;#ASMSTART
	v_med3_f32 v0, v0, v31, v32
v_med3_f32 v1, v1, v31, v32
v_cvt_pk_fp8_f32 v3, v0, v1
	;;#ASMEND
	v_perm_b32 v0, v3, v2, s4
	v_perm_b32 v0, v0, v3, s5
	;;#ASMSTART
	v_pk_mul_f32 v[2:3], v[6:7], v[18:19]
	;;#ASMEND
	v_mov_b32_e32 v1, v3
	v_cvt_f32_f16_sdwa v17, v4 dst_sel:DWORD dst_unused:UNUSED_PAD src0_sel:WORD_1
	v_cvt_f32_f16_e32 v16, v4
	;;#ASMSTART
	v_med3_f32 v2, v2, v31, v32
v_med3_f32 v1, v1, v31, v32
v_cvt_pk_fp8_f32 v4, v2, v1
	;;#ASMEND
	;;#ASMSTART
	v_pk_mul_f32 v[2:3], v[12:13], v[18:19]
	;;#ASMEND
	v_mov_b32_e32 v1, v3
	;;#ASMSTART
	v_med3_f32 v2, v2, v31, v32
v_med3_f32 v1, v1, v31, v32
v_cvt_pk_fp8_f32 v3, v2, v1
	;;#ASMEND
	v_perm_b32 v1, v4, v3, s6
	;;#ASMSTART
	v_pk_mul_f32 v[2:3], v[8:9], v[18:19]
	;;#ASMEND
	;;#ASMSTART
	v_med3_f32 v2, v2, v31, v32
v_med3_f32 v3, v3, v31, v32
v_cvt_pk_fp8_f32 v4, v2, v3
	;;#ASMEND
	;;#ASMSTART
	v_pk_mul_f32 v[2:3], v[14:15], v[18:19]
	;;#ASMEND
	v_cvt_f32_f16_sdwa v21, v5 dst_sel:DWORD dst_unused:UNUSED_PAD src0_sel:WORD_1
	v_cvt_f32_f16_e32 v20, v5
	;;#ASMSTART
	v_med3_f32 v2, v2, v31, v32
v_med3_f32 v3, v3, v31, v32
v_cvt_pk_fp8_f32 v5, v2, v3
	;;#ASMEND
	v_perm_b32 v2, v4, v5, s6
	;;#ASMSTART
	v_pk_mul_f32 v[4:5], v[16:17], v[18:19]
	;;#ASMEND
	v_mov_b32_e32 v3, v5
	;;#ASMSTART
	v_med3_f32 v4, v4, v31, v32
v_med3_f32 v3, v3, v31, v32
v_cvt_pk_fp8_f32 v6, v4, v3
	;;#ASMEND
	;;#ASMSTART
	v_pk_mul_f32 v[4:5], v[20:21], v[18:19]
	;;#ASMEND
	v_mov_b32_e32 v3, v5
	;;#ASMSTART
	v_med3_f32 v4, v4, v31, v32
v_med3_f32 v3, v3, v31, v32
v_cvt_pk_fp8_f32 v5, v4, v3
	;;#ASMEND
	v_perm_b32 v3, v6, v5, s6
	buffer_store_dwordx4 v[0:3], v30, s[0:3], 16 offen
	;;#ASMSTART
	s_nop 0
	;;#ASMEND
.LBB38_11:
	s_endpgm
	.section	.rodata,"a",@progbits
	.p2align	6, 0x0
	.amdhsa_kernel _ZN5aiter37dynamic_per_token_scaled_quant_kernelIDF16_DB8_Li32EEEvPT0_PfPT_PKfiPKii
		.amdhsa_group_segment_fixed_size 16
		.amdhsa_private_segment_fixed_size 0
		.amdhsa_kernarg_size 52
		.amdhsa_user_sgpr_count 6
		.amdhsa_user_sgpr_private_segment_buffer 1
		.amdhsa_user_sgpr_dispatch_ptr 0
		.amdhsa_user_sgpr_queue_ptr 0
		.amdhsa_user_sgpr_kernarg_segment_ptr 1
		.amdhsa_user_sgpr_dispatch_id 0
		.amdhsa_user_sgpr_flat_scratch_init 0
		.amdhsa_user_sgpr_kernarg_preload_length 0
		.amdhsa_user_sgpr_kernarg_preload_offset 0
		.amdhsa_user_sgpr_private_segment_size 0
		.amdhsa_uses_dynamic_stack 0
		.amdhsa_system_sgpr_private_segment_wavefront_offset 0
		.amdhsa_system_sgpr_workgroup_id_x 1
		.amdhsa_system_sgpr_workgroup_id_y 0
		.amdhsa_system_sgpr_workgroup_id_z 0
		.amdhsa_system_sgpr_workgroup_info 0
		.amdhsa_system_vgpr_workitem_id 0
		.amdhsa_next_free_vgpr 48
		.amdhsa_next_free_sgpr 16
		.amdhsa_accum_offset 48
		.amdhsa_reserve_vcc 1
		.amdhsa_reserve_flat_scratch 0
		.amdhsa_float_round_mode_32 0
		.amdhsa_float_round_mode_16_64 0
		.amdhsa_float_denorm_mode_32 3
		.amdhsa_float_denorm_mode_16_64 3
		.amdhsa_dx10_clamp 1
		.amdhsa_ieee_mode 1
		.amdhsa_fp16_overflow 0
		.amdhsa_tg_split 0
		.amdhsa_exception_fp_ieee_invalid_op 0
		.amdhsa_exception_fp_denorm_src 0
		.amdhsa_exception_fp_ieee_div_zero 0
		.amdhsa_exception_fp_ieee_overflow 0
		.amdhsa_exception_fp_ieee_underflow 0
		.amdhsa_exception_fp_ieee_inexact 0
		.amdhsa_exception_int_div_zero 0
	.end_amdhsa_kernel
	.section	.text._ZN5aiter37dynamic_per_token_scaled_quant_kernelIDF16_DB8_Li32EEEvPT0_PfPT_PKfiPKii,"axG",@progbits,_ZN5aiter37dynamic_per_token_scaled_quant_kernelIDF16_DB8_Li32EEEvPT0_PfPT_PKfiPKii,comdat
.Lfunc_end38:
	.size	_ZN5aiter37dynamic_per_token_scaled_quant_kernelIDF16_DB8_Li32EEEvPT0_PfPT_PKfiPKii, .Lfunc_end38-_ZN5aiter37dynamic_per_token_scaled_quant_kernelIDF16_DB8_Li32EEEvPT0_PfPT_PKfiPKii
                                        ; -- End function
	.section	.AMDGPU.csdata,"",@progbits
; Kernel info:
; codeLenInByte = 1936
; NumSgprs: 20
; NumVgprs: 48
; NumAgprs: 0
; TotalNumVgprs: 48
; ScratchSize: 0
; MemoryBound: 0
; FloatMode: 240
; IeeeMode: 1
; LDSByteSize: 16 bytes/workgroup (compile time only)
; SGPRBlocks: 2
; VGPRBlocks: 5
; NumSGPRsForWavesPerEU: 20
; NumVGPRsForWavesPerEU: 48
; AccumOffset: 48
; Occupancy: 8
; WaveLimiterHint : 0
; COMPUTE_PGM_RSRC2:SCRATCH_EN: 0
; COMPUTE_PGM_RSRC2:USER_SGPR: 6
; COMPUTE_PGM_RSRC2:TRAP_HANDLER: 0
; COMPUTE_PGM_RSRC2:TGID_X_EN: 1
; COMPUTE_PGM_RSRC2:TGID_Y_EN: 0
; COMPUTE_PGM_RSRC2:TGID_Z_EN: 0
; COMPUTE_PGM_RSRC2:TIDIG_COMP_CNT: 0
; COMPUTE_PGM_RSRC3_GFX90A:ACCUM_OFFSET: 11
; COMPUTE_PGM_RSRC3_GFX90A:TG_SPLIT: 0
	.section	.text._ZN5aiter37dynamic_per_token_scaled_quant_kernelItDB8_Li32EEEvPT0_PfPT_PKfiPKii,"axG",@progbits,_ZN5aiter37dynamic_per_token_scaled_quant_kernelItDB8_Li32EEEvPT0_PfPT_PKfiPKii,comdat
	.protected	_ZN5aiter37dynamic_per_token_scaled_quant_kernelItDB8_Li32EEEvPT0_PfPT_PKfiPKii ; -- Begin function _ZN5aiter37dynamic_per_token_scaled_quant_kernelItDB8_Li32EEEvPT0_PfPT_PKfiPKii
	.globl	_ZN5aiter37dynamic_per_token_scaled_quant_kernelItDB8_Li32EEEvPT0_PfPT_PKfiPKii
	.p2align	8
	.type	_ZN5aiter37dynamic_per_token_scaled_quant_kernelItDB8_Li32EEEvPT0_PfPT_PKfiPKii,@function
_ZN5aiter37dynamic_per_token_scaled_quant_kernelItDB8_Li32EEEvPT0_PfPT_PKfiPKii: ; @_ZN5aiter37dynamic_per_token_scaled_quant_kernelItDB8_Li32EEEvPT0_PfPT_PKfiPKii
; %bb.0:
	s_load_dwordx2 s[2:3], s[4:5], 0x28
	s_waitcnt lgkmcnt(0)
	s_cmp_eq_u64 s[2:3], 0
	s_cselect_b64 s[0:1], -1, 0
	s_and_b64 vcc, exec, s[0:1]
	s_cbranch_vccnz .LBB39_2
; %bb.1:
	s_load_dword s0, s[4:5], 0x30
	s_load_dword s1, s[2:3], 0x0
	s_waitcnt lgkmcnt(0)
	s_mul_i32 s1, s1, s0
	s_cmp_lt_i32 s6, s1
	s_cselect_b64 s[0:1], -1, 0
.LBB39_2:
	s_andn2_b64 vcc, exec, s[0:1]
	s_cbranch_vccnz .LBB39_11
; %bb.3:
	s_load_dword s10, s[4:5], 0x20
	v_mov_b32_e32 v1, 0
                                        ; implicit-def: $vgpr14
                                        ; implicit-def: $vgpr10
                                        ; implicit-def: $vgpr6
                                        ; implicit-def: $vgpr2
	s_waitcnt lgkmcnt(0)
	s_add_i32 s0, s10, 31
	s_ashr_i32 s1, s0, 31
	s_lshr_b32 s1, s1, 27
	s_add_i32 s0, s0, s1
	s_ashr_i32 s0, s0, 5
	v_cmp_gt_u32_e32 vcc, s0, v0
	s_mul_i32 s2, s6, s10
	s_and_saveexec_b64 s[0:1], vcc
	s_cbranch_execz .LBB39_5
; %bb.4:
	s_load_dwordx2 s[8:9], s[4:5], 0x10
	s_mov_b32 s3, 0
	s_lshl_b64 s[12:13], s[2:3], 1
	s_mov_b32 s15, 0x20000
	v_lshlrev_b32_e32 v1, 6, v0
	s_waitcnt lgkmcnt(0)
	s_add_u32 s12, s8, s12
	s_addc_u32 s3, s9, s13
	s_add_i32 s7, s10, 1
	s_lshr_b32 s8, s7, 31
	s_add_i32 s7, s7, s8
	s_and_b32 s13, s3, 0xffff
	s_lshl_b32 s3, s7, 1
	s_and_b32 s14, s3, -4
	buffer_load_dwordx4 v[14:17], v1, s[12:15], 0 offen
	buffer_load_dwordx4 v[10:13], v1, s[12:15], 16 offen
	;; [unrolled: 1-line block ×4, first 2 shown]
	s_waitcnt vmcnt(3)
	v_cvt_f32_u32_sdwa v1, v14 dst_sel:DWORD dst_unused:UNUSED_PAD src0_sel:WORD_0
	v_cvt_f32_u32_sdwa v18, v14 dst_sel:DWORD dst_unused:UNUSED_PAD src0_sel:WORD_1
	v_cvt_f32_u32_sdwa v19, v15 dst_sel:DWORD dst_unused:UNUSED_PAD src0_sel:WORD_0
	v_cvt_f32_u32_sdwa v20, v15 dst_sel:DWORD dst_unused:UNUSED_PAD src0_sel:WORD_1
	;; [unrolled: 2-line block ×4, first 2 shown]
	s_waitcnt vmcnt(2)
	v_cvt_f32_u32_sdwa v25, v10 dst_sel:DWORD dst_unused:UNUSED_PAD src0_sel:WORD_0
	v_cvt_f32_u32_sdwa v26, v10 dst_sel:DWORD dst_unused:UNUSED_PAD src0_sel:WORD_1
	v_max3_f32 v1, v1, 0, v18
	v_cvt_f32_u32_sdwa v27, v11 dst_sel:DWORD dst_unused:UNUSED_PAD src0_sel:WORD_0
	v_cvt_f32_u32_sdwa v28, v11 dst_sel:DWORD dst_unused:UNUSED_PAD src0_sel:WORD_1
	v_max3_f32 v1, v1, v19, v20
	;; [unrolled: 3-line block ×4, first 2 shown]
	s_waitcnt vmcnt(1)
	v_cvt_f32_u32_sdwa v33, v6 dst_sel:DWORD dst_unused:UNUSED_PAD src0_sel:WORD_0
	v_cvt_f32_u32_sdwa v34, v6 dst_sel:DWORD dst_unused:UNUSED_PAD src0_sel:WORD_1
	v_max3_f32 v1, v1, v25, v26
	v_cvt_f32_u32_sdwa v35, v7 dst_sel:DWORD dst_unused:UNUSED_PAD src0_sel:WORD_0
	v_cvt_f32_u32_sdwa v36, v7 dst_sel:DWORD dst_unused:UNUSED_PAD src0_sel:WORD_1
	v_max3_f32 v1, v1, v27, v28
	;; [unrolled: 3-line block ×4, first 2 shown]
	s_waitcnt vmcnt(0)
	v_cvt_f32_u32_sdwa v41, v2 dst_sel:DWORD dst_unused:UNUSED_PAD src0_sel:WORD_0
	v_cvt_f32_u32_sdwa v42, v2 dst_sel:DWORD dst_unused:UNUSED_PAD src0_sel:WORD_1
	v_max3_f32 v1, v1, v33, v34
	v_cvt_f32_u32_sdwa v43, v3 dst_sel:DWORD dst_unused:UNUSED_PAD src0_sel:WORD_0
	v_cvt_f32_u32_sdwa v44, v3 dst_sel:DWORD dst_unused:UNUSED_PAD src0_sel:WORD_1
	v_max3_f32 v1, v1, v35, v36
	;; [unrolled: 3-line block ×3, first 2 shown]
	v_cvt_f32_u32_sdwa v47, v5 dst_sel:DWORD dst_unused:UNUSED_PAD src0_sel:WORD_0
	v_max3_f32 v1, v1, v39, v40
	v_cvt_f32_u32_sdwa v18, v5 dst_sel:DWORD dst_unused:UNUSED_PAD src0_sel:WORD_1
	v_max3_f32 v1, v1, v41, v42
	v_max3_f32 v1, v1, v43, v44
	;; [unrolled: 1-line block ×4, first 2 shown]
.LBB39_5:
	s_or_b64 exec, exec, s[0:1]
	s_nop 0
	v_mov_b32_dpp v18, v1 quad_perm:[1,0,3,2] row_mask:0xf bank_mask:0xf
	v_cmp_gt_f32_e64 s[0:1], v1, v18
	v_cndmask_b32_e64 v1, v18, v1, s[0:1]
	v_and_b32_e32 v19, 63, v0
	s_nop 0
	v_mov_b32_dpp v18, v1 quad_perm:[2,3,0,1] row_mask:0xf bank_mask:0xf
	v_cmp_gt_f32_e64 s[0:1], v1, v18
	v_cndmask_b32_e64 v1, v18, v1, s[0:1]
	s_nop 1
	v_mov_b32_dpp v18, v1 row_half_mirror row_mask:0xf bank_mask:0xf
	v_cmp_gt_f32_e64 s[0:1], v1, v18
	v_cndmask_b32_e64 v1, v18, v1, s[0:1]
	s_nop 1
	v_mov_b32_dpp v18, v1 row_mirror row_mask:0xf bank_mask:0xf
	v_cmp_gt_f32_e64 s[0:1], v1, v18
	v_cndmask_b32_e64 v1, v18, v1, s[0:1]
	s_nop 1
	v_mov_b32_dpp v18, v1 row_bcast:15 row_mask:0xf bank_mask:0xf
	v_cmp_gt_f32_e64 s[0:1], v1, v18
	v_cndmask_b32_e64 v1, v18, v1, s[0:1]
	v_cmp_eq_u32_e64 s[0:1], 63, v19
	s_nop 0
	v_mov_b32_dpp v18, v1 row_bcast:31 row_mask:0xf bank_mask:0xf
	s_and_saveexec_b64 s[8:9], s[0:1]
	s_cbranch_execz .LBB39_7
; %bb.6:
	v_lshrrev_b32_e32 v19, 4, v0
	v_cmp_gt_f32_e64 s[0:1], v1, v18
	v_and_b32_e32 v19, 60, v19
	v_cndmask_b32_e64 v1, v18, v1, s[0:1]
	ds_write_b32 v19, v1
.LBB39_7:
	s_or_b64 exec, exec, s[8:9]
	v_and_b32_e32 v1, 3, v0
	v_lshlrev_b32_e32 v1, 2, v1
	s_waitcnt lgkmcnt(0)
	s_barrier
	ds_read_b32 v1, v1
	s_waitcnt lgkmcnt(0)
	s_nop 0
	v_mov_b32_dpp v18, v1 quad_perm:[1,0,3,2] row_mask:0xf bank_mask:0xf
	v_cmp_gt_f32_e64 s[0:1], v1, v18
	v_cndmask_b32_e64 v1, v18, v1, s[0:1]
	s_nop 1
	v_mov_b32_dpp v18, v1 quad_perm:[2,3,0,1] row_mask:0xf bank_mask:0xf
	v_cmp_gt_f32_e64 s[0:1], v1, v18
	v_cndmask_b32_e64 v1, v18, v1, s[0:1]
	v_mul_f32_e32 v1, 0x3b124925, v1
	v_cmp_eq_u32_e64 s[0:1], 0, v0
	s_and_saveexec_b64 s[8:9], s[0:1]
	s_cbranch_execz .LBB39_9
; %bb.8:
	s_load_dwordx2 s[0:1], s[4:5], 0x8
	s_ashr_i32 s7, s6, 31
	s_lshl_b64 s[6:7], s[6:7], 2
	v_mov_b32_e32 v18, 0
	s_waitcnt lgkmcnt(0)
	s_add_u32 s0, s0, s6
	s_addc_u32 s1, s1, s7
	global_store_dword v18, v1, s[0:1]
.LBB39_9:
	s_or_b64 exec, exec, s[8:9]
	s_and_saveexec_b64 s[0:1], vcc
	s_cbranch_execz .LBB39_11
; %bb.10:
	s_load_dwordx2 s[0:1], s[4:5], 0x0
	v_rcp_f32_e32 v18, v1
	v_lshlrev_b32_e32 v30, 5, v0
	v_cvt_f32_u32_sdwa v1, v14 dst_sel:DWORD dst_unused:UNUSED_PAD src0_sel:WORD_1
	v_cvt_f32_u32_sdwa v0, v14 dst_sel:DWORD dst_unused:UNUSED_PAD src0_sel:WORD_0
	s_waitcnt lgkmcnt(0)
	s_add_u32 s0, s0, s2
	s_addc_u32 s1, s1, 0
	s_add_i32 s2, s10, 3
	v_mov_b32_e32 v19, v18
	;;#ASMSTART
	v_pk_mul_f32 v[0:1], v[0:1], v[18:19]
	;;#ASMEND
	s_ashr_i32 s4, s2, 31
	v_cvt_f32_u32_sdwa v21, v15 dst_sel:DWORD dst_unused:UNUSED_PAD src0_sel:WORD_1
	v_cvt_f32_u32_sdwa v20, v15 dst_sel:DWORD dst_unused:UNUSED_PAD src0_sel:WORD_0
	v_cvt_f32_u32_sdwa v15, v16 dst_sel:DWORD dst_unused:UNUSED_PAD src0_sel:WORD_1
	v_cvt_f32_u32_sdwa v14, v16 dst_sel:DWORD dst_unused:UNUSED_PAD src0_sel:WORD_0
	;; [unrolled: 2-line block ×4, first 2 shown]
	v_mov_b32_e32 v31, 0xc3e00000
	v_mov_b32_e32 v32, 0x43e00000
	;;#ASMSTART
	v_med3_f32 v0, v0, v31, v32
v_med3_f32 v1, v1, v31, v32
v_cvt_pk_fp8_f32 v10, v0, v1
	;;#ASMEND
	s_lshr_b32 s4, s4, 30
	;;#ASMSTART
	v_pk_mul_f32 v[0:1], v[20:21], v[18:19]
	;;#ASMEND
	s_add_i32 s2, s2, s4
	v_cvt_f32_u32_sdwa v25, v11 dst_sel:DWORD dst_unused:UNUSED_PAD src0_sel:WORD_1
	v_cvt_f32_u32_sdwa v24, v11 dst_sel:DWORD dst_unused:UNUSED_PAD src0_sel:WORD_0
	;;#ASMSTART
	v_med3_f32 v0, v0, v31, v32
v_med3_f32 v1, v1, v31, v32
v_cvt_pk_fp8_f32 v11, v0, v1
	;;#ASMEND
	s_mov_b32 s4, 0x5040100
	v_perm_b32 v0, v11, v10, s4
	s_mov_b32 s5, 0x1060504
	v_perm_b32 v10, v0, v11, s5
	;;#ASMSTART
	v_pk_mul_f32 v[0:1], v[14:15], v[18:19]
	;;#ASMEND
	;;#ASMSTART
	v_med3_f32 v0, v0, v31, v32
v_med3_f32 v1, v1, v31, v32
v_cvt_pk_fp8_f32 v11, v0, v1
	;;#ASMEND
	;;#ASMSTART
	v_pk_mul_f32 v[0:1], v[22:23], v[18:19]
	;;#ASMEND
	v_cvt_f32_u32_sdwa v27, v12 dst_sel:DWORD dst_unused:UNUSED_PAD src0_sel:WORD_1
	v_cvt_f32_u32_sdwa v26, v12 dst_sel:DWORD dst_unused:UNUSED_PAD src0_sel:WORD_0
	;;#ASMSTART
	v_med3_f32 v0, v0, v31, v32
v_med3_f32 v1, v1, v31, v32
v_cvt_pk_fp8_f32 v12, v0, v1
	;;#ASMEND
	s_mov_b32 s6, 0x1000504
	;;#ASMSTART
	v_pk_mul_f32 v[0:1], v[16:17], v[18:19]
	;;#ASMEND
	v_perm_b32 v11, v11, v12, s6
	;;#ASMSTART
	v_med3_f32 v0, v0, v31, v32
v_med3_f32 v1, v1, v31, v32
v_cvt_pk_fp8_f32 v12, v0, v1
	;;#ASMEND
	;;#ASMSTART
	v_pk_mul_f32 v[0:1], v[24:25], v[18:19]
	;;#ASMEND
	v_cvt_f32_u32_sdwa v29, v13 dst_sel:DWORD dst_unused:UNUSED_PAD src0_sel:WORD_1
	v_cvt_f32_u32_sdwa v28, v13 dst_sel:DWORD dst_unused:UNUSED_PAD src0_sel:WORD_0
	;;#ASMSTART
	v_med3_f32 v0, v0, v31, v32
v_med3_f32 v1, v1, v31, v32
v_cvt_pk_fp8_f32 v13, v0, v1
	;;#ASMEND
	;;#ASMSTART
	v_pk_mul_f32 v[0:1], v[26:27], v[18:19]
	;;#ASMEND
	v_perm_b32 v12, v12, v13, s6
	;;#ASMSTART
	v_med3_f32 v0, v0, v31, v32
v_med3_f32 v1, v1, v31, v32
v_cvt_pk_fp8_f32 v13, v0, v1
	;;#ASMEND
	;;#ASMSTART
	v_pk_mul_f32 v[0:1], v[28:29], v[18:19]
	;;#ASMEND
	;;#ASMSTART
	v_med3_f32 v0, v0, v31, v32
v_med3_f32 v1, v1, v31, v32
v_cvt_pk_fp8_f32 v14, v0, v1
	;;#ASMEND
	s_mov_b32 s3, 0x20000
	s_and_b32 s1, s1, 0xffff
	s_and_b32 s2, s2, -4
	v_perm_b32 v13, v13, v14, s6
	v_cvt_f32_u32_sdwa v1, v6 dst_sel:DWORD dst_unused:UNUSED_PAD src0_sel:WORD_1
	v_cvt_f32_u32_sdwa v0, v6 dst_sel:DWORD dst_unused:UNUSED_PAD src0_sel:WORD_0
	buffer_store_dwordx4 v[10:13], v30, s[0:3], 0 offen
	;;#ASMSTART
	s_nop 0
	;;#ASMEND
	;;#ASMSTART
	v_pk_mul_f32 v[0:1], v[0:1], v[18:19]
	;;#ASMEND
	v_cvt_f32_u32_sdwa v6, v8 dst_sel:DWORD dst_unused:UNUSED_PAD src0_sel:WORD_0
	v_cvt_f32_u32_sdwa v11, v7 dst_sel:DWORD dst_unused:UNUSED_PAD src0_sel:WORD_1
	v_cvt_f32_u32_sdwa v10, v7 dst_sel:DWORD dst_unused:UNUSED_PAD src0_sel:WORD_0
	v_cvt_f32_u32_sdwa v7, v8 dst_sel:DWORD dst_unused:UNUSED_PAD src0_sel:WORD_1
	v_cvt_f32_u32_sdwa v13, v9 dst_sel:DWORD dst_unused:UNUSED_PAD src0_sel:WORD_1
	v_cvt_f32_u32_sdwa v12, v9 dst_sel:DWORD dst_unused:UNUSED_PAD src0_sel:WORD_0
	v_cvt_f32_u32_sdwa v9, v2 dst_sel:DWORD dst_unused:UNUSED_PAD src0_sel:WORD_1
	v_cvt_f32_u32_sdwa v8, v2 dst_sel:DWORD dst_unused:UNUSED_PAD src0_sel:WORD_0
	;;#ASMSTART
	v_med3_f32 v0, v0, v31, v32
v_med3_f32 v1, v1, v31, v32
v_cvt_pk_fp8_f32 v2, v0, v1
	;;#ASMEND
	;;#ASMSTART
	v_pk_mul_f32 v[0:1], v[10:11], v[18:19]
	;;#ASMEND
	v_cvt_f32_u32_sdwa v15, v3 dst_sel:DWORD dst_unused:UNUSED_PAD src0_sel:WORD_1
	v_cvt_f32_u32_sdwa v14, v3 dst_sel:DWORD dst_unused:UNUSED_PAD src0_sel:WORD_0
	;;#ASMSTART
	v_med3_f32 v0, v0, v31, v32
v_med3_f32 v1, v1, v31, v32
v_cvt_pk_fp8_f32 v3, v0, v1
	;;#ASMEND
	v_perm_b32 v0, v3, v2, s4
	v_perm_b32 v0, v0, v3, s5
	;;#ASMSTART
	v_pk_mul_f32 v[2:3], v[6:7], v[18:19]
	;;#ASMEND
	v_mov_b32_e32 v1, v3
	v_cvt_f32_u32_sdwa v17, v4 dst_sel:DWORD dst_unused:UNUSED_PAD src0_sel:WORD_1
	v_cvt_f32_u32_sdwa v16, v4 dst_sel:DWORD dst_unused:UNUSED_PAD src0_sel:WORD_0
	;;#ASMSTART
	v_med3_f32 v2, v2, v31, v32
v_med3_f32 v1, v1, v31, v32
v_cvt_pk_fp8_f32 v4, v2, v1
	;;#ASMEND
	;;#ASMSTART
	v_pk_mul_f32 v[2:3], v[12:13], v[18:19]
	;;#ASMEND
	v_mov_b32_e32 v1, v3
	;;#ASMSTART
	v_med3_f32 v2, v2, v31, v32
v_med3_f32 v1, v1, v31, v32
v_cvt_pk_fp8_f32 v3, v2, v1
	;;#ASMEND
	v_perm_b32 v1, v4, v3, s6
	;;#ASMSTART
	v_pk_mul_f32 v[2:3], v[8:9], v[18:19]
	;;#ASMEND
	;;#ASMSTART
	v_med3_f32 v2, v2, v31, v32
v_med3_f32 v3, v3, v31, v32
v_cvt_pk_fp8_f32 v4, v2, v3
	;;#ASMEND
	;;#ASMSTART
	v_pk_mul_f32 v[2:3], v[14:15], v[18:19]
	;;#ASMEND
	v_cvt_f32_u32_sdwa v21, v5 dst_sel:DWORD dst_unused:UNUSED_PAD src0_sel:WORD_1
	v_cvt_f32_u32_sdwa v20, v5 dst_sel:DWORD dst_unused:UNUSED_PAD src0_sel:WORD_0
	;;#ASMSTART
	v_med3_f32 v2, v2, v31, v32
v_med3_f32 v3, v3, v31, v32
v_cvt_pk_fp8_f32 v5, v2, v3
	;;#ASMEND
	v_perm_b32 v2, v4, v5, s6
	;;#ASMSTART
	v_pk_mul_f32 v[4:5], v[16:17], v[18:19]
	;;#ASMEND
	v_mov_b32_e32 v3, v5
	;;#ASMSTART
	v_med3_f32 v4, v4, v31, v32
v_med3_f32 v3, v3, v31, v32
v_cvt_pk_fp8_f32 v6, v4, v3
	;;#ASMEND
	;;#ASMSTART
	v_pk_mul_f32 v[4:5], v[20:21], v[18:19]
	;;#ASMEND
	v_mov_b32_e32 v3, v5
	;;#ASMSTART
	v_med3_f32 v4, v4, v31, v32
v_med3_f32 v3, v3, v31, v32
v_cvt_pk_fp8_f32 v5, v4, v3
	;;#ASMEND
	v_perm_b32 v3, v6, v5, s6
	buffer_store_dwordx4 v[0:3], v30, s[0:3], 16 offen
	;;#ASMSTART
	s_nop 0
	;;#ASMEND
.LBB39_11:
	s_endpgm
	.section	.rodata,"a",@progbits
	.p2align	6, 0x0
	.amdhsa_kernel _ZN5aiter37dynamic_per_token_scaled_quant_kernelItDB8_Li32EEEvPT0_PfPT_PKfiPKii
		.amdhsa_group_segment_fixed_size 16
		.amdhsa_private_segment_fixed_size 0
		.amdhsa_kernarg_size 52
		.amdhsa_user_sgpr_count 6
		.amdhsa_user_sgpr_private_segment_buffer 1
		.amdhsa_user_sgpr_dispatch_ptr 0
		.amdhsa_user_sgpr_queue_ptr 0
		.amdhsa_user_sgpr_kernarg_segment_ptr 1
		.amdhsa_user_sgpr_dispatch_id 0
		.amdhsa_user_sgpr_flat_scratch_init 0
		.amdhsa_user_sgpr_kernarg_preload_length 0
		.amdhsa_user_sgpr_kernarg_preload_offset 0
		.amdhsa_user_sgpr_private_segment_size 0
		.amdhsa_uses_dynamic_stack 0
		.amdhsa_system_sgpr_private_segment_wavefront_offset 0
		.amdhsa_system_sgpr_workgroup_id_x 1
		.amdhsa_system_sgpr_workgroup_id_y 0
		.amdhsa_system_sgpr_workgroup_id_z 0
		.amdhsa_system_sgpr_workgroup_info 0
		.amdhsa_system_vgpr_workitem_id 0
		.amdhsa_next_free_vgpr 48
		.amdhsa_next_free_sgpr 16
		.amdhsa_accum_offset 48
		.amdhsa_reserve_vcc 1
		.amdhsa_reserve_flat_scratch 0
		.amdhsa_float_round_mode_32 0
		.amdhsa_float_round_mode_16_64 0
		.amdhsa_float_denorm_mode_32 3
		.amdhsa_float_denorm_mode_16_64 3
		.amdhsa_dx10_clamp 1
		.amdhsa_ieee_mode 1
		.amdhsa_fp16_overflow 0
		.amdhsa_tg_split 0
		.amdhsa_exception_fp_ieee_invalid_op 0
		.amdhsa_exception_fp_denorm_src 0
		.amdhsa_exception_fp_ieee_div_zero 0
		.amdhsa_exception_fp_ieee_overflow 0
		.amdhsa_exception_fp_ieee_underflow 0
		.amdhsa_exception_fp_ieee_inexact 0
		.amdhsa_exception_int_div_zero 0
	.end_amdhsa_kernel
	.section	.text._ZN5aiter37dynamic_per_token_scaled_quant_kernelItDB8_Li32EEEvPT0_PfPT_PKfiPKii,"axG",@progbits,_ZN5aiter37dynamic_per_token_scaled_quant_kernelItDB8_Li32EEEvPT0_PfPT_PKfiPKii,comdat
.Lfunc_end39:
	.size	_ZN5aiter37dynamic_per_token_scaled_quant_kernelItDB8_Li32EEEvPT0_PfPT_PKfiPKii, .Lfunc_end39-_ZN5aiter37dynamic_per_token_scaled_quant_kernelItDB8_Li32EEEvPT0_PfPT_PKfiPKii
                                        ; -- End function
	.section	.AMDGPU.csdata,"",@progbits
; Kernel info:
; codeLenInByte = 2000
; NumSgprs: 20
; NumVgprs: 48
; NumAgprs: 0
; TotalNumVgprs: 48
; ScratchSize: 0
; MemoryBound: 0
; FloatMode: 240
; IeeeMode: 1
; LDSByteSize: 16 bytes/workgroup (compile time only)
; SGPRBlocks: 2
; VGPRBlocks: 5
; NumSGPRsForWavesPerEU: 20
; NumVGPRsForWavesPerEU: 48
; AccumOffset: 48
; Occupancy: 8
; WaveLimiterHint : 0
; COMPUTE_PGM_RSRC2:SCRATCH_EN: 0
; COMPUTE_PGM_RSRC2:USER_SGPR: 6
; COMPUTE_PGM_RSRC2:TRAP_HANDLER: 0
; COMPUTE_PGM_RSRC2:TGID_X_EN: 1
; COMPUTE_PGM_RSRC2:TGID_Y_EN: 0
; COMPUTE_PGM_RSRC2:TGID_Z_EN: 0
; COMPUTE_PGM_RSRC2:TIDIG_COMP_CNT: 0
; COMPUTE_PGM_RSRC3_GFX90A:ACCUM_OFFSET: 11
; COMPUTE_PGM_RSRC3_GFX90A:TG_SPLIT: 0
	.section	.text._ZN5aiter37dynamic_per_token_scaled_quant_kernelIDF16_DB8_Li0EEEvPT0_PfPT_PKfiPKii,"axG",@progbits,_ZN5aiter37dynamic_per_token_scaled_quant_kernelIDF16_DB8_Li0EEEvPT0_PfPT_PKfiPKii,comdat
	.protected	_ZN5aiter37dynamic_per_token_scaled_quant_kernelIDF16_DB8_Li0EEEvPT0_PfPT_PKfiPKii ; -- Begin function _ZN5aiter37dynamic_per_token_scaled_quant_kernelIDF16_DB8_Li0EEEvPT0_PfPT_PKfiPKii
	.globl	_ZN5aiter37dynamic_per_token_scaled_quant_kernelIDF16_DB8_Li0EEEvPT0_PfPT_PKfiPKii
	.p2align	8
	.type	_ZN5aiter37dynamic_per_token_scaled_quant_kernelIDF16_DB8_Li0EEEvPT0_PfPT_PKfiPKii,@function
_ZN5aiter37dynamic_per_token_scaled_quant_kernelIDF16_DB8_Li0EEEvPT0_PfPT_PKfiPKii: ; @_ZN5aiter37dynamic_per_token_scaled_quant_kernelIDF16_DB8_Li0EEEvPT0_PfPT_PKfiPKii
; %bb.0:
	s_load_dwordx2 s[2:3], s[4:5], 0x28
	s_waitcnt lgkmcnt(0)
	s_cmp_eq_u64 s[2:3], 0
	s_cselect_b64 s[0:1], -1, 0
	s_and_b64 vcc, exec, s[0:1]
	s_cbranch_vccnz .LBB40_2
; %bb.1:
	s_load_dword s0, s[4:5], 0x30
	s_load_dword s1, s[2:3], 0x0
	s_waitcnt lgkmcnt(0)
	s_mul_i32 s1, s1, s0
	s_cmp_lt_i32 s6, s1
	s_cselect_b64 s[0:1], -1, 0
.LBB40_2:
	s_andn2_b64 vcc, exec, s[0:1]
	s_cbranch_vccnz .LBB40_23
; %bb.3:
	s_load_dword s22, s[4:5], 0x20
	s_load_dwordx2 s[0:1], s[4:5], 0x10
	s_mov_b32 s19, 0
	v_lshlrev_b32_e32 v1, 5, v0
                                        ; implicit-def: $vgpr2_vgpr3_vgpr4_vgpr5_vgpr6_vgpr7_vgpr8_vgpr9
	s_waitcnt lgkmcnt(0)
	s_mul_i32 s18, s6, s22
	s_lshl_b64 s[2:3], s[18:19], 1
	s_add_u32 s8, s0, s2
	s_addc_u32 s0, s1, s3
	s_add_i32 s1, s22, 1
	s_lshr_b32 s2, s1, 31
	s_add_i32 s1, s1, s2
	s_and_b32 s9, s0, 0xffff
	s_lshl_b32 s0, s1, 1
	s_and_b32 s10, s0, -4
	s_add_i32 s0, s22, 15
	s_ashr_i32 s1, s0, 31
	s_lshr_b32 s1, s1, 28
	s_add_i32 s0, s0, s1
	s_ashr_i32 s16, s0, 4
	v_cmp_gt_u32_e64 s[0:1], s16, v0
	s_and_saveexec_b64 s[2:3], s[0:1]
	s_cbranch_execz .LBB40_5
; %bb.4:
	s_mov_b32 s11, 0x20000
	buffer_load_dwordx4 v[2:5], v1, s[8:11], 0 offen
	buffer_load_dwordx4 v[6:9], v1, s[8:11], 16 offen
.LBB40_5:
	s_or_b64 exec, exec, s[2:3]
	s_load_dwordx4 s[12:15], s[4:5], 0x0
	v_add_u32_e32 v18, 0x100, v0
	v_mov_b32_e32 v19, 0
	s_ashr_i32 s17, s16, 31
	v_cmp_gt_u32_e64 s[2:3], s16, v18
	v_pk_mov_b32 v[20:21], v[18:19], v[18:19] op_sel:[0,1]
	v_mov_b32_e32 v22, v19
	s_and_saveexec_b64 s[4:5], s[2:3]
	s_cbranch_execz .LBB40_9
; %bb.6:
	v_mov_b32_e32 v10, 0x2000
	v_lshl_add_u32 v23, v0, 5, v10
	s_mov_b64 s[20:21], 0
	v_mov_b32_e32 v22, 0
	s_mov_b32 s11, 0x20000
	v_pk_mov_b32 v[20:21], v[18:19], v[18:19] op_sel:[0,1]
.LBB40_7:                               ; =>This Inner Loop Header: Depth=1
	buffer_load_dwordx4 v[10:13], v23, s[8:11], 0 offen
	buffer_load_dwordx4 v[14:17], v23, s[8:11], 16 offen
	s_waitcnt vmcnt(3)
	v_cvt_f32_f16_e64 v24, |v2|
	v_cvt_f32_f16_sdwa v2, |v2| dst_sel:DWORD dst_unused:UNUSED_PAD src0_sel:WORD_1
	v_cvt_f32_f16_e64 v25, |v3|
	v_cvt_f32_f16_sdwa v3, |v3| dst_sel:DWORD dst_unused:UNUSED_PAD src0_sel:WORD_1
	;; [unrolled: 2-line block ×4, first 2 shown]
	s_waitcnt vmcnt(2)
	v_cvt_f32_f16_e64 v28, |v6|
	v_cvt_f32_f16_sdwa v6, |v6| dst_sel:DWORD dst_unused:UNUSED_PAD src0_sel:WORD_1
	v_max3_f32 v2, v22, v24, v2
	v_cvt_f32_f16_e64 v29, |v7|
	v_cvt_f32_f16_sdwa v7, |v7| dst_sel:DWORD dst_unused:UNUSED_PAD src0_sel:WORD_1
	v_max3_f32 v2, v2, v25, v3
	;; [unrolled: 3-line block ×4, first 2 shown]
	v_max3_f32 v2, v2, v28, v6
	v_add_co_u32_e32 v20, vcc, 0x100, v20
	v_max3_f32 v2, v2, v29, v7
	v_addc_co_u32_e32 v21, vcc, 0, v21, vcc
	v_max3_f32 v2, v2, v30, v8
	v_cmp_le_u64_e32 vcc, s[16:17], v[20:21]
	v_max3_f32 v22, v2, v31, v9
	v_add_u32_e32 v23, 0x2000, v23
	s_or_b64 s[20:21], vcc, s[20:21]
	s_waitcnt vmcnt(0)
	v_pk_mov_b32 v[2:3], v[10:11], v[10:11] op_sel:[0,1]
	v_pk_mov_b32 v[4:5], v[12:13], v[12:13] op_sel:[0,1]
	;; [unrolled: 1-line block ×4, first 2 shown]
	s_andn2_b64 exec, exec, s[20:21]
	s_cbranch_execnz .LBB40_7
; %bb.8:
	s_or_b64 exec, exec, s[20:21]
	v_pk_mov_b32 v[2:3], v[10:11], v[10:11] op_sel:[0,1]
	v_pk_mov_b32 v[4:5], v[12:13], v[12:13] op_sel:[0,1]
	;; [unrolled: 1-line block ×4, first 2 shown]
.LBB40_9:
	s_or_b64 exec, exec, s[4:5]
	v_add_co_u32_e32 v10, vcc, 0xffffff00, v20
	v_addc_co_u32_e32 v11, vcc, -1, v21, vcc
	v_cmp_gt_u64_e32 vcc, s[16:17], v[10:11]
	s_and_saveexec_b64 s[4:5], vcc
	s_cbranch_execz .LBB40_11
; %bb.10:
	s_waitcnt vmcnt(1)
	v_cvt_f32_f16_e64 v10, |v2|
	v_cvt_f32_f16_sdwa v2, |v2| dst_sel:DWORD dst_unused:UNUSED_PAD src0_sel:WORD_1
	v_cvt_f32_f16_e64 v11, |v3|
	v_cvt_f32_f16_sdwa v3, |v3| dst_sel:DWORD dst_unused:UNUSED_PAD src0_sel:WORD_1
	v_cvt_f32_f16_e64 v12, |v4|
	v_cvt_f32_f16_sdwa v4, |v4| dst_sel:DWORD dst_unused:UNUSED_PAD src0_sel:WORD_1
	v_cvt_f32_f16_e64 v13, |v5|
	v_cvt_f32_f16_sdwa v5, |v5| dst_sel:DWORD dst_unused:UNUSED_PAD src0_sel:WORD_1
	v_max3_f32 v2, v22, v10, v2
	v_max3_f32 v2, v2, v11, v3
	;; [unrolled: 1-line block ×3, first 2 shown]
	s_waitcnt vmcnt(0)
	v_cvt_f32_f16_e64 v3, |v6|
	v_cvt_f32_f16_sdwa v4, |v6| dst_sel:DWORD dst_unused:UNUSED_PAD src0_sel:WORD_1
	v_max3_f32 v2, v2, v13, v5
	v_cvt_f32_f16_e64 v5, |v7|
	v_cvt_f32_f16_sdwa v6, |v7| dst_sel:DWORD dst_unused:UNUSED_PAD src0_sel:WORD_1
	v_cvt_f32_f16_e64 v7, |v8|
	v_cvt_f32_f16_sdwa v8, |v8| dst_sel:DWORD dst_unused:UNUSED_PAD src0_sel:WORD_1
	;; [unrolled: 2-line block ×3, first 2 shown]
	v_max3_f32 v2, v2, v3, v4
	v_max3_f32 v2, v2, v5, v6
	;; [unrolled: 1-line block ×4, first 2 shown]
.LBB40_11:
	s_or_b64 exec, exec, s[4:5]
	s_waitcnt vmcnt(1)
	v_mov_b32_dpp v2, v22 quad_perm:[1,0,3,2] row_mask:0xf bank_mask:0xf
	v_cmp_gt_f32_e32 vcc, v22, v2
	v_cndmask_b32_e32 v2, v2, v22, vcc
	v_and_b32_e32 v4, 63, v0
	s_nop 0
	v_mov_b32_dpp v3, v2 quad_perm:[2,3,0,1] row_mask:0xf bank_mask:0xf
	v_cmp_gt_f32_e32 vcc, v2, v3
	v_cndmask_b32_e32 v2, v3, v2, vcc
	s_nop 1
	v_mov_b32_dpp v3, v2 row_half_mirror row_mask:0xf bank_mask:0xf
	v_cmp_gt_f32_e32 vcc, v2, v3
	v_cndmask_b32_e32 v2, v3, v2, vcc
	s_nop 1
	v_mov_b32_dpp v3, v2 row_mirror row_mask:0xf bank_mask:0xf
	v_cmp_gt_f32_e32 vcc, v2, v3
	v_cndmask_b32_e32 v2, v3, v2, vcc
	s_nop 1
	v_mov_b32_dpp v3, v2 row_bcast:15 row_mask:0xf bank_mask:0xf
	v_cmp_gt_f32_e32 vcc, v2, v3
	v_cndmask_b32_e32 v2, v3, v2, vcc
	v_cmp_eq_u32_e32 vcc, 63, v4
	s_nop 0
	v_mov_b32_dpp v3, v2 row_bcast:31 row_mask:0xf bank_mask:0xf
	s_and_saveexec_b64 s[4:5], vcc
	s_cbranch_execz .LBB40_13
; %bb.12:
	v_lshrrev_b32_e32 v4, 4, v0
	v_cmp_gt_f32_e32 vcc, v2, v3
	v_and_b32_e32 v4, 60, v4
	v_cndmask_b32_e32 v2, v3, v2, vcc
	ds_write_b32 v4, v2
.LBB40_13:
	s_or_b64 exec, exec, s[4:5]
	v_and_b32_e32 v2, 3, v0
	v_lshlrev_b32_e32 v2, 2, v2
	s_waitcnt lgkmcnt(0)
	s_barrier
	ds_read_b32 v2, v2
	s_waitcnt lgkmcnt(0)
	s_nop 0
	v_mov_b32_dpp v3, v2 quad_perm:[1,0,3,2] row_mask:0xf bank_mask:0xf
	v_cmp_gt_f32_e32 vcc, v2, v3
	v_cndmask_b32_e32 v2, v3, v2, vcc
	s_nop 1
	v_mov_b32_dpp v3, v2 quad_perm:[2,3,0,1] row_mask:0xf bank_mask:0xf
	v_cmp_gt_f32_e32 vcc, v2, v3
	v_cndmask_b32_e32 v2, v3, v2, vcc
	v_mul_f32_e32 v10, 0x3b124925, v2
	v_cmp_eq_u32_e32 vcc, 0, v0
	s_and_saveexec_b64 s[4:5], vcc
	s_cbranch_execz .LBB40_15
; %bb.14:
	s_ashr_i32 s7, s6, 31
	s_lshl_b64 s[6:7], s[6:7], 2
	s_add_u32 s6, s14, s6
	s_addc_u32 s7, s15, s7
	v_mov_b32_e32 v2, 0
	global_store_dword v2, v10, s[6:7]
.LBB40_15:
	s_or_b64 exec, exec, s[4:5]
                                        ; implicit-def: $vgpr2_vgpr3_vgpr4_vgpr5_vgpr6_vgpr7_vgpr8_vgpr9
	s_and_saveexec_b64 s[4:5], s[0:1]
	s_cbranch_execz .LBB40_17
; %bb.16:
	s_mov_b32 s11, 0x20000
	buffer_load_dwordx4 v[2:5], v1, s[8:11], 0 offen
	buffer_load_dwordx4 v[6:9], v1, s[8:11], 16 offen
.LBB40_17:
	s_or_b64 exec, exec, s[4:5]
	s_add_u32 s4, s12, s18
	s_addc_u32 s0, s13, 0
	s_add_i32 s1, s22, 3
	v_rcp_f32_e32 v20, v10
	s_ashr_i32 s5, s1, 31
	s_lshr_b32 s5, s5, 30
	s_add_i32 s1, s1, s5
	s_and_b32 s6, s1, -4
	s_and_b32 s5, s0, 0xffff
	s_and_saveexec_b64 s[0:1], s[2:3]
	s_cbranch_execz .LBB40_21
; %bb.18:
	v_mov_b32_e32 v10, 0x2000
	s_mov_b32 s11, 0x20000
	v_mov_b32_e32 v21, v20
	v_lshlrev_b32_e32 v1, 4, v0
	v_lshl_add_u32 v0, v0, 5, v10
	s_mov_b64 s[2:3], 0
	v_mov_b32_e32 v22, 0xc3e00000
	v_mov_b32_e32 v23, 0x43e00000
	s_mov_b32 s12, 0x5040100
	s_mov_b32 s13, 0x1060504
	;; [unrolled: 1-line block ×4, first 2 shown]
.LBB40_19:                              ; =>This Inner Loop Header: Depth=1
	buffer_load_dwordx4 v[10:13], v0, s[8:11], 0 offen
	buffer_load_dwordx4 v[14:17], v0, s[8:11], 16 offen
	s_waitcnt vmcnt(3)
	v_cvt_f32_f16_sdwa v25, v2 dst_sel:DWORD dst_unused:UNUSED_PAD src0_sel:WORD_1
	v_cvt_f32_f16_e32 v24, v2
	v_cvt_f32_f16_sdwa v27, v3 dst_sel:DWORD dst_unused:UNUSED_PAD src0_sel:WORD_1
	v_cvt_f32_f16_e32 v26, v3
	;; [unrolled: 2-line block ×4, first 2 shown]
	s_waitcnt vmcnt(2)
	v_cvt_f32_f16_sdwa v5, v6 dst_sel:DWORD dst_unused:UNUSED_PAD src0_sel:WORD_1
	v_cvt_f32_f16_e32 v4, v6
	v_cvt_f32_f16_sdwa v31, v7 dst_sel:DWORD dst_unused:UNUSED_PAD src0_sel:WORD_1
	v_cvt_f32_f16_e32 v30, v7
	v_cvt_f32_f16_sdwa v7, v8 dst_sel:DWORD dst_unused:UNUSED_PAD src0_sel:WORD_1
	v_cvt_f32_f16_e32 v6, v8
	v_cvt_f32_f16_sdwa v33, v9 dst_sel:DWORD dst_unused:UNUSED_PAD src0_sel:WORD_1
	v_cvt_f32_f16_e32 v32, v9
	;;#ASMSTART
	v_pk_mul_f32 v[8:9], v[24:25], v[20:21]
	;;#ASMEND
	;;#ASMSTART
	v_med3_f32 v8, v8, v22, v23
v_med3_f32 v9, v9, v22, v23
v_cvt_pk_fp8_f32 v24, v8, v9
	;;#ASMEND
	;;#ASMSTART
	v_pk_mul_f32 v[8:9], v[26:27], v[20:21]
	;;#ASMEND
	;;#ASMSTART
	v_med3_f32 v8, v8, v22, v23
v_med3_f32 v9, v9, v22, v23
v_cvt_pk_fp8_f32 v25, v8, v9
	;;#ASMEND
	;;#ASMSTART
	v_pk_mul_f32 v[8:9], v[2:3], v[20:21]
	;;#ASMEND
	v_mov_b32_e32 v3, v9
	v_perm_b32 v2, v25, v24, s12
	;;#ASMSTART
	v_med3_f32 v8, v8, v22, v23
v_med3_f32 v3, v3, v22, v23
v_cvt_pk_fp8_f32 v24, v8, v3
	;;#ASMEND
	;;#ASMSTART
	v_pk_mul_f32 v[8:9], v[28:29], v[20:21]
	;;#ASMEND
	v_mov_b32_e32 v3, v9
	;;#ASMSTART
	v_med3_f32 v8, v8, v22, v23
v_med3_f32 v3, v3, v22, v23
v_cvt_pk_fp8_f32 v9, v8, v3
	;;#ASMEND
	;;#ASMSTART
	v_pk_mul_f32 v[4:5], v[4:5], v[20:21]
	;;#ASMEND
	;;#ASMSTART
	v_med3_f32 v4, v4, v22, v23
v_med3_f32 v5, v5, v22, v23
v_cvt_pk_fp8_f32 v8, v4, v5
	;;#ASMEND
	;;#ASMSTART
	v_pk_mul_f32 v[4:5], v[30:31], v[20:21]
	;;#ASMEND
	v_perm_b32 v3, v24, v9, s14
	;;#ASMSTART
	v_med3_f32 v4, v4, v22, v23
v_med3_f32 v5, v5, v22, v23
v_cvt_pk_fp8_f32 v9, v4, v5
	;;#ASMEND
	;;#ASMSTART
	v_pk_mul_f32 v[6:7], v[6:7], v[20:21]
	;;#ASMEND
	v_mov_b32_e32 v5, v7
	v_perm_b32 v4, v8, v9, s14
	;;#ASMSTART
	v_med3_f32 v6, v6, v22, v23
v_med3_f32 v5, v5, v22, v23
v_cvt_pk_fp8_f32 v8, v6, v5
	;;#ASMEND
	;;#ASMSTART
	v_pk_mul_f32 v[6:7], v[32:33], v[20:21]
	;;#ASMEND
	v_mov_b32_e32 v5, v7
	v_add_co_u32_e32 v18, vcc, 0x100, v18
	;;#ASMSTART
	v_med3_f32 v6, v6, v22, v23
v_med3_f32 v5, v5, v22, v23
v_cvt_pk_fp8_f32 v7, v6, v5
	;;#ASMEND
	v_addc_co_u32_e32 v19, vcc, 0, v19, vcc
	v_perm_b32 v2, v2, v25, s13
	v_perm_b32 v5, v8, v7, s14
	v_cmp_le_u64_e32 vcc, s[16:17], v[18:19]
	buffer_store_dwordx4 v[2:5], v1, s[4:7], 0 offen
	v_add_u32_e32 v0, 0x2000, v0
	s_or_b64 s[2:3], vcc, s[2:3]
	v_add_u32_e32 v1, 0x1000, v1
	;;#ASMSTART
	s_nop 0
	;;#ASMEND
	s_waitcnt vmcnt(1)
	v_pk_mov_b32 v[2:3], v[10:11], v[10:11] op_sel:[0,1]
	v_pk_mov_b32 v[4:5], v[12:13], v[12:13] op_sel:[0,1]
	v_pk_mov_b32 v[6:7], v[14:15], v[14:15] op_sel:[0,1]
	v_pk_mov_b32 v[8:9], v[16:17], v[16:17] op_sel:[0,1]
	s_andn2_b64 exec, exec, s[2:3]
	s_cbranch_execnz .LBB40_19
; %bb.20:
	s_or_b64 exec, exec, s[2:3]
	v_pk_mov_b32 v[2:3], v[10:11], v[10:11] op_sel:[0,1]
	v_pk_mov_b32 v[4:5], v[12:13], v[12:13] op_sel:[0,1]
	;; [unrolled: 1-line block ×4, first 2 shown]
.LBB40_21:
	s_or_b64 exec, exec, s[0:1]
	v_add_co_u32_e32 v0, vcc, 0xffffff00, v18
	v_addc_co_u32_e32 v1, vcc, -1, v19, vcc
	v_cmp_gt_u64_e32 vcc, s[16:17], v[0:1]
	s_and_saveexec_b64 s[0:1], vcc
	s_cbranch_execz .LBB40_23
; %bb.22:
	v_lshlrev_b32_e32 v18, 4, v0
	s_waitcnt vmcnt(1)
	v_cvt_f32_f16_sdwa v1, v2 dst_sel:DWORD dst_unused:UNUSED_PAD src0_sel:WORD_1
	v_cvt_f32_f16_e32 v0, v2
	v_mov_b32_e32 v21, v20
	;;#ASMSTART
	v_pk_mul_f32 v[0:1], v[0:1], v[20:21]
	;;#ASMEND
	v_cvt_f32_f16_sdwa v11, v3 dst_sel:DWORD dst_unused:UNUSED_PAD src0_sel:WORD_1
	v_cvt_f32_f16_e32 v10, v3
	v_cvt_f32_f16_sdwa v3, v4 dst_sel:DWORD dst_unused:UNUSED_PAD src0_sel:WORD_1
	v_cvt_f32_f16_e32 v2, v4
	;; [unrolled: 2-line block ×3, first 2 shown]
	s_waitcnt vmcnt(0)
	v_cvt_f32_f16_sdwa v5, v6 dst_sel:DWORD dst_unused:UNUSED_PAD src0_sel:WORD_1
	v_cvt_f32_f16_e32 v4, v6
	v_cvt_f32_f16_sdwa v15, v7 dst_sel:DWORD dst_unused:UNUSED_PAD src0_sel:WORD_1
	v_cvt_f32_f16_e32 v14, v7
	v_cvt_f32_f16_sdwa v7, v8 dst_sel:DWORD dst_unused:UNUSED_PAD src0_sel:WORD_1
	v_cvt_f32_f16_e32 v6, v8
	v_cvt_f32_f16_sdwa v17, v9 dst_sel:DWORD dst_unused:UNUSED_PAD src0_sel:WORD_1
	v_cvt_f32_f16_e32 v16, v9
	v_mov_b32_e32 v8, 0xc3e00000
	v_mov_b32_e32 v9, 0x43e00000
	;;#ASMSTART
	v_med3_f32 v0, v0, v8, v9
v_med3_f32 v1, v1, v8, v9
v_cvt_pk_fp8_f32 v19, v0, v1
	;;#ASMEND
	;;#ASMSTART
	v_pk_mul_f32 v[0:1], v[10:11], v[20:21]
	;;#ASMEND
	;;#ASMSTART
	v_med3_f32 v0, v0, v8, v9
v_med3_f32 v1, v1, v8, v9
v_cvt_pk_fp8_f32 v10, v0, v1
	;;#ASMEND
	s_mov_b32 s0, 0x5040100
	v_perm_b32 v0, v10, v19, s0
	s_mov_b32 s0, 0x1060504
	;;#ASMSTART
	v_pk_mul_f32 v[2:3], v[2:3], v[20:21]
	;;#ASMEND
	v_mov_b32_e32 v1, v3
	v_perm_b32 v0, v0, v10, s0
	;;#ASMSTART
	v_med3_f32 v2, v2, v8, v9
v_med3_f32 v1, v1, v8, v9
v_cvt_pk_fp8_f32 v10, v2, v1
	;;#ASMEND
	;;#ASMSTART
	v_pk_mul_f32 v[2:3], v[12:13], v[20:21]
	;;#ASMEND
	v_mov_b32_e32 v1, v2
	;;#ASMSTART
	v_med3_f32 v1, v1, v8, v9
v_med3_f32 v3, v3, v8, v9
v_cvt_pk_fp8_f32 v2, v1, v3
	;;#ASMEND
	s_mov_b32 s0, 0x1000504
	v_perm_b32 v1, v10, v2, s0
	;;#ASMSTART
	v_pk_mul_f32 v[2:3], v[4:5], v[20:21]
	;;#ASMEND
	;;#ASMSTART
	v_med3_f32 v2, v2, v8, v9
v_med3_f32 v3, v3, v8, v9
v_cvt_pk_fp8_f32 v4, v2, v3
	;;#ASMEND
	;;#ASMSTART
	v_pk_mul_f32 v[2:3], v[14:15], v[20:21]
	;;#ASMEND
	;;#ASMSTART
	v_med3_f32 v2, v2, v8, v9
v_med3_f32 v3, v3, v8, v9
v_cvt_pk_fp8_f32 v5, v2, v3
	;;#ASMEND
	v_perm_b32 v2, v4, v5, s0
	;;#ASMSTART
	v_pk_mul_f32 v[4:5], v[6:7], v[20:21]
	;;#ASMEND
	v_mov_b32_e32 v3, v5
	;;#ASMSTART
	v_med3_f32 v4, v4, v8, v9
v_med3_f32 v3, v3, v8, v9
v_cvt_pk_fp8_f32 v6, v4, v3
	;;#ASMEND
	;;#ASMSTART
	v_pk_mul_f32 v[4:5], v[16:17], v[20:21]
	;;#ASMEND
	v_mov_b32_e32 v3, v4
	;;#ASMSTART
	v_med3_f32 v3, v3, v8, v9
v_med3_f32 v5, v5, v8, v9
v_cvt_pk_fp8_f32 v4, v3, v5
	;;#ASMEND
	v_perm_b32 v3, v6, v4, s0
	s_mov_b32 s7, 0x20000
	buffer_store_dwordx4 v[0:3], v18, s[4:7], 0 offen
	;;#ASMSTART
	s_nop 0
	;;#ASMEND
.LBB40_23:
	s_endpgm
	.section	.rodata,"a",@progbits
	.p2align	6, 0x0
	.amdhsa_kernel _ZN5aiter37dynamic_per_token_scaled_quant_kernelIDF16_DB8_Li0EEEvPT0_PfPT_PKfiPKii
		.amdhsa_group_segment_fixed_size 16
		.amdhsa_private_segment_fixed_size 0
		.amdhsa_kernarg_size 52
		.amdhsa_user_sgpr_count 6
		.amdhsa_user_sgpr_private_segment_buffer 1
		.amdhsa_user_sgpr_dispatch_ptr 0
		.amdhsa_user_sgpr_queue_ptr 0
		.amdhsa_user_sgpr_kernarg_segment_ptr 1
		.amdhsa_user_sgpr_dispatch_id 0
		.amdhsa_user_sgpr_flat_scratch_init 0
		.amdhsa_user_sgpr_kernarg_preload_length 0
		.amdhsa_user_sgpr_kernarg_preload_offset 0
		.amdhsa_user_sgpr_private_segment_size 0
		.amdhsa_uses_dynamic_stack 0
		.amdhsa_system_sgpr_private_segment_wavefront_offset 0
		.amdhsa_system_sgpr_workgroup_id_x 1
		.amdhsa_system_sgpr_workgroup_id_y 0
		.amdhsa_system_sgpr_workgroup_id_z 0
		.amdhsa_system_sgpr_workgroup_info 0
		.amdhsa_system_vgpr_workitem_id 0
		.amdhsa_next_free_vgpr 34
		.amdhsa_next_free_sgpr 23
		.amdhsa_accum_offset 36
		.amdhsa_reserve_vcc 1
		.amdhsa_reserve_flat_scratch 0
		.amdhsa_float_round_mode_32 0
		.amdhsa_float_round_mode_16_64 0
		.amdhsa_float_denorm_mode_32 3
		.amdhsa_float_denorm_mode_16_64 3
		.amdhsa_dx10_clamp 1
		.amdhsa_ieee_mode 1
		.amdhsa_fp16_overflow 0
		.amdhsa_tg_split 0
		.amdhsa_exception_fp_ieee_invalid_op 0
		.amdhsa_exception_fp_denorm_src 0
		.amdhsa_exception_fp_ieee_div_zero 0
		.amdhsa_exception_fp_ieee_overflow 0
		.amdhsa_exception_fp_ieee_underflow 0
		.amdhsa_exception_fp_ieee_inexact 0
		.amdhsa_exception_int_div_zero 0
	.end_amdhsa_kernel
	.section	.text._ZN5aiter37dynamic_per_token_scaled_quant_kernelIDF16_DB8_Li0EEEvPT0_PfPT_PKfiPKii,"axG",@progbits,_ZN5aiter37dynamic_per_token_scaled_quant_kernelIDF16_DB8_Li0EEEvPT0_PfPT_PKfiPKii,comdat
.Lfunc_end40:
	.size	_ZN5aiter37dynamic_per_token_scaled_quant_kernelIDF16_DB8_Li0EEEvPT0_PfPT_PKfiPKii, .Lfunc_end40-_ZN5aiter37dynamic_per_token_scaled_quant_kernelIDF16_DB8_Li0EEEvPT0_PfPT_PKfiPKii
                                        ; -- End function
	.section	.AMDGPU.csdata,"",@progbits
; Kernel info:
; codeLenInByte = 2376
; NumSgprs: 27
; NumVgprs: 34
; NumAgprs: 0
; TotalNumVgprs: 34
; ScratchSize: 0
; MemoryBound: 0
; FloatMode: 240
; IeeeMode: 1
; LDSByteSize: 16 bytes/workgroup (compile time only)
; SGPRBlocks: 3
; VGPRBlocks: 4
; NumSGPRsForWavesPerEU: 27
; NumVGPRsForWavesPerEU: 34
; AccumOffset: 36
; Occupancy: 8
; WaveLimiterHint : 0
; COMPUTE_PGM_RSRC2:SCRATCH_EN: 0
; COMPUTE_PGM_RSRC2:USER_SGPR: 6
; COMPUTE_PGM_RSRC2:TRAP_HANDLER: 0
; COMPUTE_PGM_RSRC2:TGID_X_EN: 1
; COMPUTE_PGM_RSRC2:TGID_Y_EN: 0
; COMPUTE_PGM_RSRC2:TGID_Z_EN: 0
; COMPUTE_PGM_RSRC2:TIDIG_COMP_CNT: 0
; COMPUTE_PGM_RSRC3_GFX90A:ACCUM_OFFSET: 8
; COMPUTE_PGM_RSRC3_GFX90A:TG_SPLIT: 0
	.section	.text._ZN5aiter37dynamic_per_token_scaled_quant_kernelItDB8_Li0EEEvPT0_PfPT_PKfiPKii,"axG",@progbits,_ZN5aiter37dynamic_per_token_scaled_quant_kernelItDB8_Li0EEEvPT0_PfPT_PKfiPKii,comdat
	.protected	_ZN5aiter37dynamic_per_token_scaled_quant_kernelItDB8_Li0EEEvPT0_PfPT_PKfiPKii ; -- Begin function _ZN5aiter37dynamic_per_token_scaled_quant_kernelItDB8_Li0EEEvPT0_PfPT_PKfiPKii
	.globl	_ZN5aiter37dynamic_per_token_scaled_quant_kernelItDB8_Li0EEEvPT0_PfPT_PKfiPKii
	.p2align	8
	.type	_ZN5aiter37dynamic_per_token_scaled_quant_kernelItDB8_Li0EEEvPT0_PfPT_PKfiPKii,@function
_ZN5aiter37dynamic_per_token_scaled_quant_kernelItDB8_Li0EEEvPT0_PfPT_PKfiPKii: ; @_ZN5aiter37dynamic_per_token_scaled_quant_kernelItDB8_Li0EEEvPT0_PfPT_PKfiPKii
; %bb.0:
	s_load_dwordx2 s[2:3], s[4:5], 0x28
	s_waitcnt lgkmcnt(0)
	s_cmp_eq_u64 s[2:3], 0
	s_cselect_b64 s[0:1], -1, 0
	s_and_b64 vcc, exec, s[0:1]
	s_cbranch_vccnz .LBB41_2
; %bb.1:
	s_load_dword s0, s[4:5], 0x30
	s_load_dword s1, s[2:3], 0x0
	s_waitcnt lgkmcnt(0)
	s_mul_i32 s1, s1, s0
	s_cmp_lt_i32 s6, s1
	s_cselect_b64 s[0:1], -1, 0
.LBB41_2:
	s_andn2_b64 vcc, exec, s[0:1]
	s_cbranch_vccnz .LBB41_23
; %bb.3:
	s_load_dword s22, s[4:5], 0x20
	s_load_dwordx2 s[0:1], s[4:5], 0x10
	s_mov_b32 s19, 0
	v_lshlrev_b32_e32 v1, 5, v0
                                        ; implicit-def: $vgpr2_vgpr3_vgpr4_vgpr5_vgpr6_vgpr7_vgpr8_vgpr9
	s_waitcnt lgkmcnt(0)
	s_mul_i32 s18, s6, s22
	s_lshl_b64 s[2:3], s[18:19], 1
	s_add_u32 s8, s0, s2
	s_addc_u32 s0, s1, s3
	s_add_i32 s1, s22, 1
	s_lshr_b32 s2, s1, 31
	s_add_i32 s1, s1, s2
	s_and_b32 s9, s0, 0xffff
	s_lshl_b32 s0, s1, 1
	s_and_b32 s10, s0, -4
	s_add_i32 s0, s22, 15
	s_ashr_i32 s1, s0, 31
	s_lshr_b32 s1, s1, 28
	s_add_i32 s0, s0, s1
	s_ashr_i32 s16, s0, 4
	v_cmp_gt_u32_e64 s[0:1], s16, v0
	s_and_saveexec_b64 s[2:3], s[0:1]
	s_cbranch_execz .LBB41_5
; %bb.4:
	s_mov_b32 s11, 0x20000
	buffer_load_dwordx4 v[2:5], v1, s[8:11], 0 offen
	buffer_load_dwordx4 v[6:9], v1, s[8:11], 16 offen
.LBB41_5:
	s_or_b64 exec, exec, s[2:3]
	s_load_dwordx4 s[12:15], s[4:5], 0x0
	v_add_u32_e32 v18, 0x100, v0
	v_mov_b32_e32 v19, 0
	s_ashr_i32 s17, s16, 31
	v_cmp_gt_u32_e64 s[2:3], s16, v18
	v_pk_mov_b32 v[20:21], v[18:19], v[18:19] op_sel:[0,1]
	v_mov_b32_e32 v22, v19
	s_and_saveexec_b64 s[4:5], s[2:3]
	s_cbranch_execz .LBB41_9
; %bb.6:
	v_mov_b32_e32 v10, 0x2000
	v_lshl_add_u32 v23, v0, 5, v10
	s_mov_b64 s[20:21], 0
	v_mov_b32_e32 v22, 0
	s_mov_b32 s11, 0x20000
	v_pk_mov_b32 v[20:21], v[18:19], v[18:19] op_sel:[0,1]
.LBB41_7:                               ; =>This Inner Loop Header: Depth=1
	buffer_load_dwordx4 v[10:13], v23, s[8:11], 0 offen
	buffer_load_dwordx4 v[14:17], v23, s[8:11], 16 offen
	s_waitcnt vmcnt(3)
	v_cvt_f32_u32_sdwa v24, v2 dst_sel:DWORD dst_unused:UNUSED_PAD src0_sel:WORD_0
	v_cvt_f32_u32_sdwa v2, v2 dst_sel:DWORD dst_unused:UNUSED_PAD src0_sel:WORD_1
	v_cvt_f32_u32_sdwa v25, v3 dst_sel:DWORD dst_unused:UNUSED_PAD src0_sel:WORD_0
	v_cvt_f32_u32_sdwa v3, v3 dst_sel:DWORD dst_unused:UNUSED_PAD src0_sel:WORD_1
	;; [unrolled: 2-line block ×4, first 2 shown]
	s_waitcnt vmcnt(2)
	v_cvt_f32_u32_sdwa v28, v6 dst_sel:DWORD dst_unused:UNUSED_PAD src0_sel:WORD_0
	v_cvt_f32_u32_sdwa v6, v6 dst_sel:DWORD dst_unused:UNUSED_PAD src0_sel:WORD_1
	v_max3_f32 v2, v22, v24, v2
	v_cvt_f32_u32_sdwa v29, v7 dst_sel:DWORD dst_unused:UNUSED_PAD src0_sel:WORD_0
	v_cvt_f32_u32_sdwa v7, v7 dst_sel:DWORD dst_unused:UNUSED_PAD src0_sel:WORD_1
	v_max3_f32 v2, v2, v25, v3
	v_cvt_f32_u32_sdwa v30, v8 dst_sel:DWORD dst_unused:UNUSED_PAD src0_sel:WORD_0
	v_cvt_f32_u32_sdwa v8, v8 dst_sel:DWORD dst_unused:UNUSED_PAD src0_sel:WORD_1
	v_max3_f32 v2, v2, v26, v4
	v_cvt_f32_u32_sdwa v31, v9 dst_sel:DWORD dst_unused:UNUSED_PAD src0_sel:WORD_0
	v_cvt_f32_u32_sdwa v9, v9 dst_sel:DWORD dst_unused:UNUSED_PAD src0_sel:WORD_1
	v_max3_f32 v2, v2, v27, v5
	v_max3_f32 v2, v2, v28, v6
	v_add_co_u32_e32 v20, vcc, 0x100, v20
	v_max3_f32 v2, v2, v29, v7
	v_addc_co_u32_e32 v21, vcc, 0, v21, vcc
	v_max3_f32 v2, v2, v30, v8
	v_cmp_le_u64_e32 vcc, s[16:17], v[20:21]
	v_max3_f32 v22, v2, v31, v9
	v_add_u32_e32 v23, 0x2000, v23
	s_or_b64 s[20:21], vcc, s[20:21]
	s_waitcnt vmcnt(0)
	v_pk_mov_b32 v[2:3], v[10:11], v[10:11] op_sel:[0,1]
	v_pk_mov_b32 v[4:5], v[12:13], v[12:13] op_sel:[0,1]
	;; [unrolled: 1-line block ×4, first 2 shown]
	s_andn2_b64 exec, exec, s[20:21]
	s_cbranch_execnz .LBB41_7
; %bb.8:
	s_or_b64 exec, exec, s[20:21]
	v_pk_mov_b32 v[2:3], v[10:11], v[10:11] op_sel:[0,1]
	v_pk_mov_b32 v[4:5], v[12:13], v[12:13] op_sel:[0,1]
	;; [unrolled: 1-line block ×4, first 2 shown]
.LBB41_9:
	s_or_b64 exec, exec, s[4:5]
	v_add_co_u32_e32 v10, vcc, 0xffffff00, v20
	v_addc_co_u32_e32 v11, vcc, -1, v21, vcc
	v_cmp_gt_u64_e32 vcc, s[16:17], v[10:11]
	s_and_saveexec_b64 s[4:5], vcc
	s_cbranch_execz .LBB41_11
; %bb.10:
	s_waitcnt vmcnt(1)
	v_cvt_f32_u32_sdwa v10, v2 dst_sel:DWORD dst_unused:UNUSED_PAD src0_sel:WORD_0
	v_cvt_f32_u32_sdwa v2, v2 dst_sel:DWORD dst_unused:UNUSED_PAD src0_sel:WORD_1
	v_cvt_f32_u32_sdwa v11, v3 dst_sel:DWORD dst_unused:UNUSED_PAD src0_sel:WORD_0
	v_cvt_f32_u32_sdwa v3, v3 dst_sel:DWORD dst_unused:UNUSED_PAD src0_sel:WORD_1
	;; [unrolled: 2-line block ×4, first 2 shown]
	v_max3_f32 v2, v22, v10, v2
	v_max3_f32 v2, v2, v11, v3
	;; [unrolled: 1-line block ×3, first 2 shown]
	s_waitcnt vmcnt(0)
	v_cvt_f32_u32_sdwa v3, v6 dst_sel:DWORD dst_unused:UNUSED_PAD src0_sel:WORD_0
	v_cvt_f32_u32_sdwa v4, v6 dst_sel:DWORD dst_unused:UNUSED_PAD src0_sel:WORD_1
	v_max3_f32 v2, v2, v13, v5
	v_cvt_f32_u32_sdwa v5, v7 dst_sel:DWORD dst_unused:UNUSED_PAD src0_sel:WORD_0
	v_cvt_f32_u32_sdwa v6, v7 dst_sel:DWORD dst_unused:UNUSED_PAD src0_sel:WORD_1
	v_cvt_f32_u32_sdwa v7, v8 dst_sel:DWORD dst_unused:UNUSED_PAD src0_sel:WORD_0
	v_cvt_f32_u32_sdwa v8, v8 dst_sel:DWORD dst_unused:UNUSED_PAD src0_sel:WORD_1
	;; [unrolled: 2-line block ×3, first 2 shown]
	v_max3_f32 v2, v2, v3, v4
	v_max3_f32 v2, v2, v5, v6
	v_max3_f32 v2, v2, v7, v8
	v_max3_f32 v22, v2, v10, v9
.LBB41_11:
	s_or_b64 exec, exec, s[4:5]
	s_waitcnt vmcnt(1)
	v_mov_b32_dpp v2, v22 quad_perm:[1,0,3,2] row_mask:0xf bank_mask:0xf
	v_cmp_gt_f32_e32 vcc, v22, v2
	v_cndmask_b32_e32 v2, v2, v22, vcc
	v_and_b32_e32 v4, 63, v0
	s_nop 0
	v_mov_b32_dpp v3, v2 quad_perm:[2,3,0,1] row_mask:0xf bank_mask:0xf
	v_cmp_gt_f32_e32 vcc, v2, v3
	v_cndmask_b32_e32 v2, v3, v2, vcc
	s_nop 1
	v_mov_b32_dpp v3, v2 row_half_mirror row_mask:0xf bank_mask:0xf
	v_cmp_gt_f32_e32 vcc, v2, v3
	v_cndmask_b32_e32 v2, v3, v2, vcc
	s_nop 1
	v_mov_b32_dpp v3, v2 row_mirror row_mask:0xf bank_mask:0xf
	v_cmp_gt_f32_e32 vcc, v2, v3
	v_cndmask_b32_e32 v2, v3, v2, vcc
	s_nop 1
	v_mov_b32_dpp v3, v2 row_bcast:15 row_mask:0xf bank_mask:0xf
	v_cmp_gt_f32_e32 vcc, v2, v3
	v_cndmask_b32_e32 v2, v3, v2, vcc
	v_cmp_eq_u32_e32 vcc, 63, v4
	s_nop 0
	v_mov_b32_dpp v3, v2 row_bcast:31 row_mask:0xf bank_mask:0xf
	s_and_saveexec_b64 s[4:5], vcc
	s_cbranch_execz .LBB41_13
; %bb.12:
	v_lshrrev_b32_e32 v4, 4, v0
	v_cmp_gt_f32_e32 vcc, v2, v3
	v_and_b32_e32 v4, 60, v4
	v_cndmask_b32_e32 v2, v3, v2, vcc
	ds_write_b32 v4, v2
.LBB41_13:
	s_or_b64 exec, exec, s[4:5]
	v_and_b32_e32 v2, 3, v0
	v_lshlrev_b32_e32 v2, 2, v2
	s_waitcnt lgkmcnt(0)
	s_barrier
	ds_read_b32 v2, v2
	s_waitcnt lgkmcnt(0)
	s_nop 0
	v_mov_b32_dpp v3, v2 quad_perm:[1,0,3,2] row_mask:0xf bank_mask:0xf
	v_cmp_gt_f32_e32 vcc, v2, v3
	v_cndmask_b32_e32 v2, v3, v2, vcc
	s_nop 1
	v_mov_b32_dpp v3, v2 quad_perm:[2,3,0,1] row_mask:0xf bank_mask:0xf
	v_cmp_gt_f32_e32 vcc, v2, v3
	v_cndmask_b32_e32 v2, v3, v2, vcc
	v_mul_f32_e32 v10, 0x3b124925, v2
	v_cmp_eq_u32_e32 vcc, 0, v0
	s_and_saveexec_b64 s[4:5], vcc
	s_cbranch_execz .LBB41_15
; %bb.14:
	s_ashr_i32 s7, s6, 31
	s_lshl_b64 s[6:7], s[6:7], 2
	s_add_u32 s6, s14, s6
	s_addc_u32 s7, s15, s7
	v_mov_b32_e32 v2, 0
	global_store_dword v2, v10, s[6:7]
.LBB41_15:
	s_or_b64 exec, exec, s[4:5]
                                        ; implicit-def: $vgpr2_vgpr3_vgpr4_vgpr5_vgpr6_vgpr7_vgpr8_vgpr9
	s_and_saveexec_b64 s[4:5], s[0:1]
	s_cbranch_execz .LBB41_17
; %bb.16:
	s_mov_b32 s11, 0x20000
	buffer_load_dwordx4 v[2:5], v1, s[8:11], 0 offen
	buffer_load_dwordx4 v[6:9], v1, s[8:11], 16 offen
.LBB41_17:
	s_or_b64 exec, exec, s[4:5]
	s_add_u32 s4, s12, s18
	s_addc_u32 s0, s13, 0
	s_add_i32 s1, s22, 3
	v_rcp_f32_e32 v20, v10
	s_ashr_i32 s5, s1, 31
	s_lshr_b32 s5, s5, 30
	s_add_i32 s1, s1, s5
	s_and_b32 s6, s1, -4
	s_and_b32 s5, s0, 0xffff
	s_and_saveexec_b64 s[0:1], s[2:3]
	s_cbranch_execz .LBB41_21
; %bb.18:
	v_mov_b32_e32 v10, 0x2000
	s_mov_b32 s11, 0x20000
	v_mov_b32_e32 v21, v20
	v_lshlrev_b32_e32 v1, 4, v0
	v_lshl_add_u32 v0, v0, 5, v10
	s_mov_b64 s[2:3], 0
	v_mov_b32_e32 v22, 0xc3e00000
	v_mov_b32_e32 v23, 0x43e00000
	s_mov_b32 s12, 0x5040100
	s_mov_b32 s13, 0x1060504
	;; [unrolled: 1-line block ×4, first 2 shown]
.LBB41_19:                              ; =>This Inner Loop Header: Depth=1
	buffer_load_dwordx4 v[10:13], v0, s[8:11], 0 offen
	buffer_load_dwordx4 v[14:17], v0, s[8:11], 16 offen
	s_waitcnt vmcnt(3)
	v_cvt_f32_u32_sdwa v25, v2 dst_sel:DWORD dst_unused:UNUSED_PAD src0_sel:WORD_1
	v_cvt_f32_u32_sdwa v24, v2 dst_sel:DWORD dst_unused:UNUSED_PAD src0_sel:WORD_0
	v_cvt_f32_u32_sdwa v27, v3 dst_sel:DWORD dst_unused:UNUSED_PAD src0_sel:WORD_1
	v_cvt_f32_u32_sdwa v26, v3 dst_sel:DWORD dst_unused:UNUSED_PAD src0_sel:WORD_0
	;; [unrolled: 2-line block ×4, first 2 shown]
	s_waitcnt vmcnt(2)
	v_cvt_f32_u32_sdwa v5, v6 dst_sel:DWORD dst_unused:UNUSED_PAD src0_sel:WORD_1
	v_cvt_f32_u32_sdwa v4, v6 dst_sel:DWORD dst_unused:UNUSED_PAD src0_sel:WORD_0
	v_cvt_f32_u32_sdwa v31, v7 dst_sel:DWORD dst_unused:UNUSED_PAD src0_sel:WORD_1
	v_cvt_f32_u32_sdwa v30, v7 dst_sel:DWORD dst_unused:UNUSED_PAD src0_sel:WORD_0
	;; [unrolled: 2-line block ×4, first 2 shown]
	;;#ASMSTART
	v_pk_mul_f32 v[8:9], v[24:25], v[20:21]
	;;#ASMEND
	;;#ASMSTART
	v_med3_f32 v8, v8, v22, v23
v_med3_f32 v9, v9, v22, v23
v_cvt_pk_fp8_f32 v24, v8, v9
	;;#ASMEND
	;;#ASMSTART
	v_pk_mul_f32 v[8:9], v[26:27], v[20:21]
	;;#ASMEND
	;;#ASMSTART
	v_med3_f32 v8, v8, v22, v23
v_med3_f32 v9, v9, v22, v23
v_cvt_pk_fp8_f32 v25, v8, v9
	;;#ASMEND
	;;#ASMSTART
	v_pk_mul_f32 v[8:9], v[2:3], v[20:21]
	;;#ASMEND
	v_mov_b32_e32 v3, v9
	v_perm_b32 v2, v25, v24, s12
	;;#ASMSTART
	v_med3_f32 v8, v8, v22, v23
v_med3_f32 v3, v3, v22, v23
v_cvt_pk_fp8_f32 v24, v8, v3
	;;#ASMEND
	;;#ASMSTART
	v_pk_mul_f32 v[8:9], v[28:29], v[20:21]
	;;#ASMEND
	v_mov_b32_e32 v3, v9
	;;#ASMSTART
	v_med3_f32 v8, v8, v22, v23
v_med3_f32 v3, v3, v22, v23
v_cvt_pk_fp8_f32 v9, v8, v3
	;;#ASMEND
	;;#ASMSTART
	v_pk_mul_f32 v[4:5], v[4:5], v[20:21]
	;;#ASMEND
	;;#ASMSTART
	v_med3_f32 v4, v4, v22, v23
v_med3_f32 v5, v5, v22, v23
v_cvt_pk_fp8_f32 v8, v4, v5
	;;#ASMEND
	;;#ASMSTART
	v_pk_mul_f32 v[4:5], v[30:31], v[20:21]
	;;#ASMEND
	v_perm_b32 v3, v24, v9, s14
	;;#ASMSTART
	v_med3_f32 v4, v4, v22, v23
v_med3_f32 v5, v5, v22, v23
v_cvt_pk_fp8_f32 v9, v4, v5
	;;#ASMEND
	;;#ASMSTART
	v_pk_mul_f32 v[6:7], v[6:7], v[20:21]
	;;#ASMEND
	v_mov_b32_e32 v5, v7
	v_perm_b32 v4, v8, v9, s14
	;;#ASMSTART
	v_med3_f32 v6, v6, v22, v23
v_med3_f32 v5, v5, v22, v23
v_cvt_pk_fp8_f32 v8, v6, v5
	;;#ASMEND
	;;#ASMSTART
	v_pk_mul_f32 v[6:7], v[32:33], v[20:21]
	;;#ASMEND
	v_mov_b32_e32 v5, v7
	v_add_co_u32_e32 v18, vcc, 0x100, v18
	;;#ASMSTART
	v_med3_f32 v6, v6, v22, v23
v_med3_f32 v5, v5, v22, v23
v_cvt_pk_fp8_f32 v7, v6, v5
	;;#ASMEND
	v_addc_co_u32_e32 v19, vcc, 0, v19, vcc
	v_perm_b32 v2, v2, v25, s13
	v_perm_b32 v5, v8, v7, s14
	v_cmp_le_u64_e32 vcc, s[16:17], v[18:19]
	buffer_store_dwordx4 v[2:5], v1, s[4:7], 0 offen
	v_add_u32_e32 v0, 0x2000, v0
	s_or_b64 s[2:3], vcc, s[2:3]
	v_add_u32_e32 v1, 0x1000, v1
	;;#ASMSTART
	s_nop 0
	;;#ASMEND
	s_waitcnt vmcnt(1)
	v_pk_mov_b32 v[2:3], v[10:11], v[10:11] op_sel:[0,1]
	v_pk_mov_b32 v[4:5], v[12:13], v[12:13] op_sel:[0,1]
	;; [unrolled: 1-line block ×4, first 2 shown]
	s_andn2_b64 exec, exec, s[2:3]
	s_cbranch_execnz .LBB41_19
; %bb.20:
	s_or_b64 exec, exec, s[2:3]
	v_pk_mov_b32 v[2:3], v[10:11], v[10:11] op_sel:[0,1]
	v_pk_mov_b32 v[4:5], v[12:13], v[12:13] op_sel:[0,1]
	;; [unrolled: 1-line block ×4, first 2 shown]
.LBB41_21:
	s_or_b64 exec, exec, s[0:1]
	v_add_co_u32_e32 v0, vcc, 0xffffff00, v18
	v_addc_co_u32_e32 v1, vcc, -1, v19, vcc
	v_cmp_gt_u64_e32 vcc, s[16:17], v[0:1]
	s_and_saveexec_b64 s[0:1], vcc
	s_cbranch_execz .LBB41_23
; %bb.22:
	v_lshlrev_b32_e32 v18, 4, v0
	s_waitcnt vmcnt(1)
	v_cvt_f32_u32_sdwa v1, v2 dst_sel:DWORD dst_unused:UNUSED_PAD src0_sel:WORD_1
	v_cvt_f32_u32_sdwa v0, v2 dst_sel:DWORD dst_unused:UNUSED_PAD src0_sel:WORD_0
	v_mov_b32_e32 v21, v20
	;;#ASMSTART
	v_pk_mul_f32 v[0:1], v[0:1], v[20:21]
	;;#ASMEND
	v_cvt_f32_u32_sdwa v11, v3 dst_sel:DWORD dst_unused:UNUSED_PAD src0_sel:WORD_1
	v_cvt_f32_u32_sdwa v10, v3 dst_sel:DWORD dst_unused:UNUSED_PAD src0_sel:WORD_0
	v_cvt_f32_u32_sdwa v3, v4 dst_sel:DWORD dst_unused:UNUSED_PAD src0_sel:WORD_1
	v_cvt_f32_u32_sdwa v2, v4 dst_sel:DWORD dst_unused:UNUSED_PAD src0_sel:WORD_0
	;; [unrolled: 2-line block ×3, first 2 shown]
	s_waitcnt vmcnt(0)
	v_cvt_f32_u32_sdwa v5, v6 dst_sel:DWORD dst_unused:UNUSED_PAD src0_sel:WORD_1
	v_cvt_f32_u32_sdwa v4, v6 dst_sel:DWORD dst_unused:UNUSED_PAD src0_sel:WORD_0
	v_cvt_f32_u32_sdwa v15, v7 dst_sel:DWORD dst_unused:UNUSED_PAD src0_sel:WORD_1
	v_cvt_f32_u32_sdwa v14, v7 dst_sel:DWORD dst_unused:UNUSED_PAD src0_sel:WORD_0
	;; [unrolled: 2-line block ×4, first 2 shown]
	v_mov_b32_e32 v8, 0xc3e00000
	v_mov_b32_e32 v9, 0x43e00000
	;;#ASMSTART
	v_med3_f32 v0, v0, v8, v9
v_med3_f32 v1, v1, v8, v9
v_cvt_pk_fp8_f32 v19, v0, v1
	;;#ASMEND
	;;#ASMSTART
	v_pk_mul_f32 v[0:1], v[10:11], v[20:21]
	;;#ASMEND
	;;#ASMSTART
	v_med3_f32 v0, v0, v8, v9
v_med3_f32 v1, v1, v8, v9
v_cvt_pk_fp8_f32 v10, v0, v1
	;;#ASMEND
	s_mov_b32 s0, 0x5040100
	v_perm_b32 v0, v10, v19, s0
	s_mov_b32 s0, 0x1060504
	;;#ASMSTART
	v_pk_mul_f32 v[2:3], v[2:3], v[20:21]
	;;#ASMEND
	v_mov_b32_e32 v1, v3
	v_perm_b32 v0, v0, v10, s0
	;;#ASMSTART
	v_med3_f32 v2, v2, v8, v9
v_med3_f32 v1, v1, v8, v9
v_cvt_pk_fp8_f32 v10, v2, v1
	;;#ASMEND
	;;#ASMSTART
	v_pk_mul_f32 v[2:3], v[12:13], v[20:21]
	;;#ASMEND
	v_mov_b32_e32 v1, v3
	;;#ASMSTART
	v_med3_f32 v2, v2, v8, v9
v_med3_f32 v1, v1, v8, v9
v_cvt_pk_fp8_f32 v3, v2, v1
	;;#ASMEND
	s_mov_b32 s0, 0x1000504
	v_perm_b32 v1, v10, v3, s0
	;;#ASMSTART
	v_pk_mul_f32 v[2:3], v[4:5], v[20:21]
	;;#ASMEND
	;;#ASMSTART
	v_med3_f32 v2, v2, v8, v9
v_med3_f32 v3, v3, v8, v9
v_cvt_pk_fp8_f32 v4, v2, v3
	;;#ASMEND
	;;#ASMSTART
	v_pk_mul_f32 v[2:3], v[14:15], v[20:21]
	;;#ASMEND
	;;#ASMSTART
	v_med3_f32 v2, v2, v8, v9
v_med3_f32 v3, v3, v8, v9
v_cvt_pk_fp8_f32 v5, v2, v3
	;;#ASMEND
	v_perm_b32 v2, v4, v5, s0
	;;#ASMSTART
	v_pk_mul_f32 v[4:5], v[6:7], v[20:21]
	;;#ASMEND
	v_mov_b32_e32 v3, v5
	;;#ASMSTART
	v_med3_f32 v4, v4, v8, v9
v_med3_f32 v3, v3, v8, v9
v_cvt_pk_fp8_f32 v6, v4, v3
	;;#ASMEND
	;;#ASMSTART
	v_pk_mul_f32 v[4:5], v[16:17], v[20:21]
	;;#ASMEND
	v_mov_b32_e32 v3, v5
	;;#ASMSTART
	v_med3_f32 v4, v4, v8, v9
v_med3_f32 v3, v3, v8, v9
v_cvt_pk_fp8_f32 v5, v4, v3
	;;#ASMEND
	v_perm_b32 v3, v6, v5, s0
	s_mov_b32 s7, 0x20000
	buffer_store_dwordx4 v[0:3], v18, s[4:7], 0 offen
	;;#ASMSTART
	s_nop 0
	;;#ASMEND
.LBB41_23:
	s_endpgm
	.section	.rodata,"a",@progbits
	.p2align	6, 0x0
	.amdhsa_kernel _ZN5aiter37dynamic_per_token_scaled_quant_kernelItDB8_Li0EEEvPT0_PfPT_PKfiPKii
		.amdhsa_group_segment_fixed_size 16
		.amdhsa_private_segment_fixed_size 0
		.amdhsa_kernarg_size 52
		.amdhsa_user_sgpr_count 6
		.amdhsa_user_sgpr_private_segment_buffer 1
		.amdhsa_user_sgpr_dispatch_ptr 0
		.amdhsa_user_sgpr_queue_ptr 0
		.amdhsa_user_sgpr_kernarg_segment_ptr 1
		.amdhsa_user_sgpr_dispatch_id 0
		.amdhsa_user_sgpr_flat_scratch_init 0
		.amdhsa_user_sgpr_kernarg_preload_length 0
		.amdhsa_user_sgpr_kernarg_preload_offset 0
		.amdhsa_user_sgpr_private_segment_size 0
		.amdhsa_uses_dynamic_stack 0
		.amdhsa_system_sgpr_private_segment_wavefront_offset 0
		.amdhsa_system_sgpr_workgroup_id_x 1
		.amdhsa_system_sgpr_workgroup_id_y 0
		.amdhsa_system_sgpr_workgroup_id_z 0
		.amdhsa_system_sgpr_workgroup_info 0
		.amdhsa_system_vgpr_workitem_id 0
		.amdhsa_next_free_vgpr 34
		.amdhsa_next_free_sgpr 23
		.amdhsa_accum_offset 36
		.amdhsa_reserve_vcc 1
		.amdhsa_reserve_flat_scratch 0
		.amdhsa_float_round_mode_32 0
		.amdhsa_float_round_mode_16_64 0
		.amdhsa_float_denorm_mode_32 3
		.amdhsa_float_denorm_mode_16_64 3
		.amdhsa_dx10_clamp 1
		.amdhsa_ieee_mode 1
		.amdhsa_fp16_overflow 0
		.amdhsa_tg_split 0
		.amdhsa_exception_fp_ieee_invalid_op 0
		.amdhsa_exception_fp_denorm_src 0
		.amdhsa_exception_fp_ieee_div_zero 0
		.amdhsa_exception_fp_ieee_overflow 0
		.amdhsa_exception_fp_ieee_underflow 0
		.amdhsa_exception_fp_ieee_inexact 0
		.amdhsa_exception_int_div_zero 0
	.end_amdhsa_kernel
	.section	.text._ZN5aiter37dynamic_per_token_scaled_quant_kernelItDB8_Li0EEEvPT0_PfPT_PKfiPKii,"axG",@progbits,_ZN5aiter37dynamic_per_token_scaled_quant_kernelItDB8_Li0EEEvPT0_PfPT_PKfiPKii,comdat
.Lfunc_end41:
	.size	_ZN5aiter37dynamic_per_token_scaled_quant_kernelItDB8_Li0EEEvPT0_PfPT_PKfiPKii, .Lfunc_end41-_ZN5aiter37dynamic_per_token_scaled_quant_kernelItDB8_Li0EEEvPT0_PfPT_PKfiPKii
                                        ; -- End function
	.section	.AMDGPU.csdata,"",@progbits
; Kernel info:
; codeLenInByte = 2440
; NumSgprs: 27
; NumVgprs: 34
; NumAgprs: 0
; TotalNumVgprs: 34
; ScratchSize: 0
; MemoryBound: 0
; FloatMode: 240
; IeeeMode: 1
; LDSByteSize: 16 bytes/workgroup (compile time only)
; SGPRBlocks: 3
; VGPRBlocks: 4
; NumSGPRsForWavesPerEU: 27
; NumVGPRsForWavesPerEU: 34
; AccumOffset: 36
; Occupancy: 8
; WaveLimiterHint : 0
; COMPUTE_PGM_RSRC2:SCRATCH_EN: 0
; COMPUTE_PGM_RSRC2:USER_SGPR: 6
; COMPUTE_PGM_RSRC2:TRAP_HANDLER: 0
; COMPUTE_PGM_RSRC2:TGID_X_EN: 1
; COMPUTE_PGM_RSRC2:TGID_Y_EN: 0
; COMPUTE_PGM_RSRC2:TGID_Z_EN: 0
; COMPUTE_PGM_RSRC2:TIDIG_COMP_CNT: 0
; COMPUTE_PGM_RSRC3_GFX90A:ACCUM_OFFSET: 8
; COMPUTE_PGM_RSRC3_GFX90A:TG_SPLIT: 0
	.section	.text._ZN5aiter37dynamic_per_token_scaled_quant_kernelIDF16_aLi8EEEvPT0_PfPT_PKfiPKii,"axG",@progbits,_ZN5aiter37dynamic_per_token_scaled_quant_kernelIDF16_aLi8EEEvPT0_PfPT_PKfiPKii,comdat
	.protected	_ZN5aiter37dynamic_per_token_scaled_quant_kernelIDF16_aLi8EEEvPT0_PfPT_PKfiPKii ; -- Begin function _ZN5aiter37dynamic_per_token_scaled_quant_kernelIDF16_aLi8EEEvPT0_PfPT_PKfiPKii
	.globl	_ZN5aiter37dynamic_per_token_scaled_quant_kernelIDF16_aLi8EEEvPT0_PfPT_PKfiPKii
	.p2align	8
	.type	_ZN5aiter37dynamic_per_token_scaled_quant_kernelIDF16_aLi8EEEvPT0_PfPT_PKfiPKii,@function
_ZN5aiter37dynamic_per_token_scaled_quant_kernelIDF16_aLi8EEEvPT0_PfPT_PKfiPKii: ; @_ZN5aiter37dynamic_per_token_scaled_quant_kernelIDF16_aLi8EEEvPT0_PfPT_PKfiPKii
; %bb.0:
	s_load_dwordx2 s[2:3], s[4:5], 0x28
	s_waitcnt lgkmcnt(0)
	s_cmp_eq_u64 s[2:3], 0
	s_cselect_b64 s[0:1], -1, 0
	s_and_b64 vcc, exec, s[0:1]
	s_cbranch_vccnz .LBB42_2
; %bb.1:
	s_load_dword s0, s[4:5], 0x30
	s_load_dword s1, s[2:3], 0x0
	s_waitcnt lgkmcnt(0)
	s_mul_i32 s1, s1, s0
	s_cmp_lt_i32 s6, s1
	s_cselect_b64 s[0:1], -1, 0
.LBB42_2:
	s_andn2_b64 vcc, exec, s[0:1]
	s_cbranch_vccnz .LBB42_11
; %bb.3:
	s_load_dword s10, s[4:5], 0x20
	v_mov_b32_e32 v1, 0
                                        ; implicit-def: $vgpr2
	s_waitcnt lgkmcnt(0)
	s_add_i32 s0, s10, 7
	s_ashr_i32 s1, s0, 31
	s_lshr_b32 s1, s1, 29
	s_add_i32 s0, s0, s1
	s_ashr_i32 s0, s0, 3
	v_cmp_gt_u32_e32 vcc, s0, v0
	s_mul_i32 s2, s6, s10
	s_and_saveexec_b64 s[0:1], vcc
	s_cbranch_execz .LBB42_5
; %bb.4:
	s_load_dwordx2 s[8:9], s[4:5], 0x10
	s_mov_b32 s3, 0
	s_lshl_b64 s[12:13], s[2:3], 1
	s_mov_b32 s15, 0x20000
	v_lshlrev_b32_e32 v1, 4, v0
	s_waitcnt lgkmcnt(0)
	s_add_u32 s12, s8, s12
	s_addc_u32 s3, s9, s13
	s_add_i32 s7, s10, 1
	s_lshr_b32 s8, s7, 31
	s_add_i32 s7, s7, s8
	s_and_b32 s13, s3, 0xffff
	s_lshl_b32 s3, s7, 1
	s_and_b32 s14, s3, -4
	buffer_load_dwordx4 v[2:5], v1, s[12:15], 0 offen
	s_waitcnt vmcnt(0)
	v_cvt_f32_f16_e64 v1, |v2|
	v_cvt_f32_f16_sdwa v6, |v2| dst_sel:DWORD dst_unused:UNUSED_PAD src0_sel:WORD_1
	v_cvt_f32_f16_e64 v7, |v3|
	v_cvt_f32_f16_sdwa v8, |v3| dst_sel:DWORD dst_unused:UNUSED_PAD src0_sel:WORD_1
	v_cvt_f32_f16_e64 v9, |v4|
	v_cvt_f32_f16_sdwa v10, |v4| dst_sel:DWORD dst_unused:UNUSED_PAD src0_sel:WORD_1
	v_cvt_f32_f16_e64 v11, |v5|
	v_cvt_f32_f16_sdwa v12, |v5| dst_sel:DWORD dst_unused:UNUSED_PAD src0_sel:WORD_1
	v_max3_f32 v1, v1, 0, v6
	v_max3_f32 v1, v1, v7, v8
	;; [unrolled: 1-line block ×4, first 2 shown]
.LBB42_5:
	s_or_b64 exec, exec, s[0:1]
	s_nop 0
	v_mov_b32_dpp v6, v1 quad_perm:[1,0,3,2] row_mask:0xf bank_mask:0xf
	v_cmp_gt_f32_e64 s[0:1], v1, v6
	v_cndmask_b32_e64 v1, v6, v1, s[0:1]
	v_and_b32_e32 v7, 63, v0
	s_nop 0
	v_mov_b32_dpp v6, v1 quad_perm:[2,3,0,1] row_mask:0xf bank_mask:0xf
	v_cmp_gt_f32_e64 s[0:1], v1, v6
	v_cndmask_b32_e64 v1, v6, v1, s[0:1]
	s_nop 1
	v_mov_b32_dpp v6, v1 row_half_mirror row_mask:0xf bank_mask:0xf
	v_cmp_gt_f32_e64 s[0:1], v1, v6
	v_cndmask_b32_e64 v1, v6, v1, s[0:1]
	s_nop 1
	v_mov_b32_dpp v6, v1 row_mirror row_mask:0xf bank_mask:0xf
	v_cmp_gt_f32_e64 s[0:1], v1, v6
	v_cndmask_b32_e64 v1, v6, v1, s[0:1]
	s_nop 1
	v_mov_b32_dpp v6, v1 row_bcast:15 row_mask:0xf bank_mask:0xf
	v_cmp_gt_f32_e64 s[0:1], v1, v6
	v_cndmask_b32_e64 v1, v6, v1, s[0:1]
	v_cmp_eq_u32_e64 s[0:1], 63, v7
	s_nop 0
	v_mov_b32_dpp v6, v1 row_bcast:31 row_mask:0xf bank_mask:0xf
	s_and_saveexec_b64 s[8:9], s[0:1]
	s_cbranch_execz .LBB42_7
; %bb.6:
	v_lshrrev_b32_e32 v7, 4, v0
	v_cmp_gt_f32_e64 s[0:1], v1, v6
	v_and_b32_e32 v7, 60, v7
	v_cndmask_b32_e64 v1, v6, v1, s[0:1]
	ds_write_b32 v7, v1
.LBB42_7:
	s_or_b64 exec, exec, s[8:9]
	v_and_b32_e32 v1, 3, v0
	v_lshlrev_b32_e32 v1, 2, v1
	s_waitcnt lgkmcnt(0)
	s_barrier
	ds_read_b32 v1, v1
	s_waitcnt lgkmcnt(0)
	s_nop 0
	v_mov_b32_dpp v6, v1 quad_perm:[1,0,3,2] row_mask:0xf bank_mask:0xf
	v_cmp_gt_f32_e64 s[0:1], v1, v6
	v_cndmask_b32_e64 v1, v6, v1, s[0:1]
	s_nop 1
	v_mov_b32_dpp v6, v1 quad_perm:[2,3,0,1] row_mask:0xf bank_mask:0xf
	v_cmp_gt_f32_e64 s[0:1], v1, v6
	v_cndmask_b32_e64 v1, v6, v1, s[0:1]
	v_mul_f32_e32 v1, 0x3c010204, v1
	v_cmp_eq_u32_e64 s[0:1], 0, v0
	s_and_saveexec_b64 s[8:9], s[0:1]
	s_cbranch_execz .LBB42_9
; %bb.8:
	s_load_dwordx2 s[0:1], s[4:5], 0x8
	s_ashr_i32 s7, s6, 31
	s_lshl_b64 s[6:7], s[6:7], 2
	v_mov_b32_e32 v6, 0
	s_waitcnt lgkmcnt(0)
	s_add_u32 s0, s0, s6
	s_addc_u32 s1, s1, s7
	global_store_dword v6, v1, s[0:1]
.LBB42_9:
	s_or_b64 exec, exec, s[8:9]
	s_and_saveexec_b64 s[0:1], vcc
	s_cbranch_execz .LBB42_11
; %bb.10:
	v_rcp_f32_e32 v6, v1
	s_load_dwordx2 s[0:1], s[4:5], 0x0
	v_lshlrev_b32_e32 v12, 3, v0
	v_cvt_f32_f16_sdwa v1, v2 dst_sel:DWORD dst_unused:UNUSED_PAD src0_sel:WORD_1
	v_cvt_f32_f16_e32 v0, v2
	v_mov_b32_e32 v7, v6
	;;#ASMSTART
	v_pk_mul_f32 v[0:1], v[0:1], v[6:7]
	;;#ASMEND
	v_cvt_f32_f16_sdwa v9, v3 dst_sel:DWORD dst_unused:UNUSED_PAD src0_sel:WORD_1
	v_cvt_f32_f16_e32 v8, v3
	v_cvt_f32_f16_sdwa v3, v4 dst_sel:DWORD dst_unused:UNUSED_PAD src0_sel:WORD_1
	v_cvt_f32_f16_e32 v2, v4
	;; [unrolled: 2-line block ×3, first 2 shown]
	v_cvt_i32_f32_e32 v4, v0
	v_cvt_i32_f32_sdwa v5, v1 dst_sel:BYTE_1 dst_unused:UNUSED_PAD src0_sel:DWORD
	;;#ASMSTART
	v_pk_mul_f32 v[0:1], v[8:9], v[6:7]
	;;#ASMEND
	v_cvt_i32_f32_e32 v8, v0
	v_cvt_i32_f32_sdwa v9, v1 dst_sel:BYTE_1 dst_unused:UNUSED_PAD src0_sel:DWORD
	;;#ASMSTART
	v_pk_mul_f32 v[0:1], v[2:3], v[6:7]
	;;#ASMEND
	;; [unrolled: 5-line block ×3, first 2 shown]
	s_waitcnt lgkmcnt(0)
	s_add_u32 s0, s0, s2
	v_cvt_i32_f32_e32 v6, v0
	v_cvt_i32_f32_sdwa v1, v1 dst_sel:BYTE_1 dst_unused:UNUSED_PAD src0_sel:DWORD
	s_addc_u32 s1, s1, 0
	s_add_i32 s2, s10, 3
	s_ashr_i32 s4, s2, 31
	s_lshr_b32 s4, s4, 30
	s_add_i32 s2, s2, s4
	v_or_b32_sdwa v0, v4, v5 dst_sel:DWORD dst_unused:UNUSED_PAD src0_sel:BYTE_0 src1_sel:DWORD
	v_or_b32_sdwa v4, v8, v9 dst_sel:WORD_1 dst_unused:UNUSED_PAD src0_sel:BYTE_0 src1_sel:DWORD
	v_or_b32_sdwa v2, v2, v3 dst_sel:DWORD dst_unused:UNUSED_PAD src0_sel:BYTE_0 src1_sel:DWORD
	v_or_b32_sdwa v1, v6, v1 dst_sel:WORD_1 dst_unused:UNUSED_PAD src0_sel:BYTE_0 src1_sel:DWORD
	s_mov_b32 s3, 0x20000
	s_and_b32 s1, s1, 0xffff
	s_and_b32 s2, s2, -4
	v_or_b32_sdwa v0, v0, v4 dst_sel:DWORD dst_unused:UNUSED_PAD src0_sel:WORD_0 src1_sel:DWORD
	v_or_b32_sdwa v1, v2, v1 dst_sel:DWORD dst_unused:UNUSED_PAD src0_sel:WORD_0 src1_sel:DWORD
	buffer_store_dwordx2 v[0:1], v12, s[0:3], 0 offen
	;;#ASMSTART
	s_nop 0
	;;#ASMEND
.LBB42_11:
	s_endpgm
	.section	.rodata,"a",@progbits
	.p2align	6, 0x0
	.amdhsa_kernel _ZN5aiter37dynamic_per_token_scaled_quant_kernelIDF16_aLi8EEEvPT0_PfPT_PKfiPKii
		.amdhsa_group_segment_fixed_size 16
		.amdhsa_private_segment_fixed_size 0
		.amdhsa_kernarg_size 52
		.amdhsa_user_sgpr_count 6
		.amdhsa_user_sgpr_private_segment_buffer 1
		.amdhsa_user_sgpr_dispatch_ptr 0
		.amdhsa_user_sgpr_queue_ptr 0
		.amdhsa_user_sgpr_kernarg_segment_ptr 1
		.amdhsa_user_sgpr_dispatch_id 0
		.amdhsa_user_sgpr_flat_scratch_init 0
		.amdhsa_user_sgpr_kernarg_preload_length 0
		.amdhsa_user_sgpr_kernarg_preload_offset 0
		.amdhsa_user_sgpr_private_segment_size 0
		.amdhsa_uses_dynamic_stack 0
		.amdhsa_system_sgpr_private_segment_wavefront_offset 0
		.amdhsa_system_sgpr_workgroup_id_x 1
		.amdhsa_system_sgpr_workgroup_id_y 0
		.amdhsa_system_sgpr_workgroup_id_z 0
		.amdhsa_system_sgpr_workgroup_info 0
		.amdhsa_system_vgpr_workitem_id 0
		.amdhsa_next_free_vgpr 13
		.amdhsa_next_free_sgpr 16
		.amdhsa_accum_offset 16
		.amdhsa_reserve_vcc 1
		.amdhsa_reserve_flat_scratch 0
		.amdhsa_float_round_mode_32 0
		.amdhsa_float_round_mode_16_64 0
		.amdhsa_float_denorm_mode_32 3
		.amdhsa_float_denorm_mode_16_64 3
		.amdhsa_dx10_clamp 1
		.amdhsa_ieee_mode 1
		.amdhsa_fp16_overflow 0
		.amdhsa_tg_split 0
		.amdhsa_exception_fp_ieee_invalid_op 0
		.amdhsa_exception_fp_denorm_src 0
		.amdhsa_exception_fp_ieee_div_zero 0
		.amdhsa_exception_fp_ieee_overflow 0
		.amdhsa_exception_fp_ieee_underflow 0
		.amdhsa_exception_fp_ieee_inexact 0
		.amdhsa_exception_int_div_zero 0
	.end_amdhsa_kernel
	.section	.text._ZN5aiter37dynamic_per_token_scaled_quant_kernelIDF16_aLi8EEEvPT0_PfPT_PKfiPKii,"axG",@progbits,_ZN5aiter37dynamic_per_token_scaled_quant_kernelIDF16_aLi8EEEvPT0_PfPT_PKfiPKii,comdat
.Lfunc_end42:
	.size	_ZN5aiter37dynamic_per_token_scaled_quant_kernelIDF16_aLi8EEEvPT0_PfPT_PKfiPKii, .Lfunc_end42-_ZN5aiter37dynamic_per_token_scaled_quant_kernelIDF16_aLi8EEEvPT0_PfPT_PKfiPKii
                                        ; -- End function
	.section	.AMDGPU.csdata,"",@progbits
; Kernel info:
; codeLenInByte = 932
; NumSgprs: 20
; NumVgprs: 13
; NumAgprs: 0
; TotalNumVgprs: 13
; ScratchSize: 0
; MemoryBound: 0
; FloatMode: 240
; IeeeMode: 1
; LDSByteSize: 16 bytes/workgroup (compile time only)
; SGPRBlocks: 2
; VGPRBlocks: 1
; NumSGPRsForWavesPerEU: 20
; NumVGPRsForWavesPerEU: 13
; AccumOffset: 16
; Occupancy: 8
; WaveLimiterHint : 0
; COMPUTE_PGM_RSRC2:SCRATCH_EN: 0
; COMPUTE_PGM_RSRC2:USER_SGPR: 6
; COMPUTE_PGM_RSRC2:TRAP_HANDLER: 0
; COMPUTE_PGM_RSRC2:TGID_X_EN: 1
; COMPUTE_PGM_RSRC2:TGID_Y_EN: 0
; COMPUTE_PGM_RSRC2:TGID_Z_EN: 0
; COMPUTE_PGM_RSRC2:TIDIG_COMP_CNT: 0
; COMPUTE_PGM_RSRC3_GFX90A:ACCUM_OFFSET: 3
; COMPUTE_PGM_RSRC3_GFX90A:TG_SPLIT: 0
	.section	.text._ZN5aiter37dynamic_per_token_scaled_quant_kernelItaLi8EEEvPT0_PfPT_PKfiPKii,"axG",@progbits,_ZN5aiter37dynamic_per_token_scaled_quant_kernelItaLi8EEEvPT0_PfPT_PKfiPKii,comdat
	.protected	_ZN5aiter37dynamic_per_token_scaled_quant_kernelItaLi8EEEvPT0_PfPT_PKfiPKii ; -- Begin function _ZN5aiter37dynamic_per_token_scaled_quant_kernelItaLi8EEEvPT0_PfPT_PKfiPKii
	.globl	_ZN5aiter37dynamic_per_token_scaled_quant_kernelItaLi8EEEvPT0_PfPT_PKfiPKii
	.p2align	8
	.type	_ZN5aiter37dynamic_per_token_scaled_quant_kernelItaLi8EEEvPT0_PfPT_PKfiPKii,@function
_ZN5aiter37dynamic_per_token_scaled_quant_kernelItaLi8EEEvPT0_PfPT_PKfiPKii: ; @_ZN5aiter37dynamic_per_token_scaled_quant_kernelItaLi8EEEvPT0_PfPT_PKfiPKii
; %bb.0:
	s_load_dwordx2 s[2:3], s[4:5], 0x28
	s_waitcnt lgkmcnt(0)
	s_cmp_eq_u64 s[2:3], 0
	s_cselect_b64 s[0:1], -1, 0
	s_and_b64 vcc, exec, s[0:1]
	s_cbranch_vccnz .LBB43_2
; %bb.1:
	s_load_dword s0, s[4:5], 0x30
	s_load_dword s1, s[2:3], 0x0
	s_waitcnt lgkmcnt(0)
	s_mul_i32 s1, s1, s0
	s_cmp_lt_i32 s6, s1
	s_cselect_b64 s[0:1], -1, 0
.LBB43_2:
	s_andn2_b64 vcc, exec, s[0:1]
	s_cbranch_vccnz .LBB43_11
; %bb.3:
	s_load_dword s10, s[4:5], 0x20
	v_mov_b32_e32 v1, 0
                                        ; implicit-def: $vgpr2
	s_waitcnt lgkmcnt(0)
	s_add_i32 s0, s10, 7
	s_ashr_i32 s1, s0, 31
	s_lshr_b32 s1, s1, 29
	s_add_i32 s0, s0, s1
	s_ashr_i32 s0, s0, 3
	v_cmp_gt_u32_e32 vcc, s0, v0
	s_mul_i32 s2, s6, s10
	s_and_saveexec_b64 s[0:1], vcc
	s_cbranch_execz .LBB43_5
; %bb.4:
	s_load_dwordx2 s[8:9], s[4:5], 0x10
	s_mov_b32 s3, 0
	s_lshl_b64 s[12:13], s[2:3], 1
	s_mov_b32 s15, 0x20000
	v_lshlrev_b32_e32 v1, 4, v0
	s_waitcnt lgkmcnt(0)
	s_add_u32 s12, s8, s12
	s_addc_u32 s3, s9, s13
	s_add_i32 s7, s10, 1
	s_lshr_b32 s8, s7, 31
	s_add_i32 s7, s7, s8
	s_and_b32 s13, s3, 0xffff
	s_lshl_b32 s3, s7, 1
	s_and_b32 s14, s3, -4
	buffer_load_dwordx4 v[2:5], v1, s[12:15], 0 offen
	s_waitcnt vmcnt(0)
	v_cvt_f32_u32_sdwa v1, v2 dst_sel:DWORD dst_unused:UNUSED_PAD src0_sel:WORD_0
	v_cvt_f32_u32_sdwa v6, v2 dst_sel:DWORD dst_unused:UNUSED_PAD src0_sel:WORD_1
	v_cvt_f32_u32_sdwa v7, v3 dst_sel:DWORD dst_unused:UNUSED_PAD src0_sel:WORD_0
	v_cvt_f32_u32_sdwa v8, v3 dst_sel:DWORD dst_unused:UNUSED_PAD src0_sel:WORD_1
	;; [unrolled: 2-line block ×4, first 2 shown]
	v_max3_f32 v1, v1, 0, v6
	v_max3_f32 v1, v1, v7, v8
	;; [unrolled: 1-line block ×4, first 2 shown]
.LBB43_5:
	s_or_b64 exec, exec, s[0:1]
	s_nop 0
	v_mov_b32_dpp v6, v1 quad_perm:[1,0,3,2] row_mask:0xf bank_mask:0xf
	v_cmp_gt_f32_e64 s[0:1], v1, v6
	v_cndmask_b32_e64 v1, v6, v1, s[0:1]
	v_and_b32_e32 v7, 63, v0
	s_nop 0
	v_mov_b32_dpp v6, v1 quad_perm:[2,3,0,1] row_mask:0xf bank_mask:0xf
	v_cmp_gt_f32_e64 s[0:1], v1, v6
	v_cndmask_b32_e64 v1, v6, v1, s[0:1]
	s_nop 1
	v_mov_b32_dpp v6, v1 row_half_mirror row_mask:0xf bank_mask:0xf
	v_cmp_gt_f32_e64 s[0:1], v1, v6
	v_cndmask_b32_e64 v1, v6, v1, s[0:1]
	s_nop 1
	v_mov_b32_dpp v6, v1 row_mirror row_mask:0xf bank_mask:0xf
	v_cmp_gt_f32_e64 s[0:1], v1, v6
	v_cndmask_b32_e64 v1, v6, v1, s[0:1]
	s_nop 1
	v_mov_b32_dpp v6, v1 row_bcast:15 row_mask:0xf bank_mask:0xf
	v_cmp_gt_f32_e64 s[0:1], v1, v6
	v_cndmask_b32_e64 v1, v6, v1, s[0:1]
	v_cmp_eq_u32_e64 s[0:1], 63, v7
	s_nop 0
	v_mov_b32_dpp v6, v1 row_bcast:31 row_mask:0xf bank_mask:0xf
	s_and_saveexec_b64 s[8:9], s[0:1]
	s_cbranch_execz .LBB43_7
; %bb.6:
	v_lshrrev_b32_e32 v7, 4, v0
	v_cmp_gt_f32_e64 s[0:1], v1, v6
	v_and_b32_e32 v7, 60, v7
	v_cndmask_b32_e64 v1, v6, v1, s[0:1]
	ds_write_b32 v7, v1
.LBB43_7:
	s_or_b64 exec, exec, s[8:9]
	v_and_b32_e32 v1, 3, v0
	v_lshlrev_b32_e32 v1, 2, v1
	s_waitcnt lgkmcnt(0)
	s_barrier
	ds_read_b32 v1, v1
	s_waitcnt lgkmcnt(0)
	s_nop 0
	v_mov_b32_dpp v6, v1 quad_perm:[1,0,3,2] row_mask:0xf bank_mask:0xf
	v_cmp_gt_f32_e64 s[0:1], v1, v6
	v_cndmask_b32_e64 v1, v6, v1, s[0:1]
	s_nop 1
	v_mov_b32_dpp v6, v1 quad_perm:[2,3,0,1] row_mask:0xf bank_mask:0xf
	v_cmp_gt_f32_e64 s[0:1], v1, v6
	v_cndmask_b32_e64 v1, v6, v1, s[0:1]
	v_mul_f32_e32 v1, 0x3c010204, v1
	v_cmp_eq_u32_e64 s[0:1], 0, v0
	s_and_saveexec_b64 s[8:9], s[0:1]
	s_cbranch_execz .LBB43_9
; %bb.8:
	s_load_dwordx2 s[0:1], s[4:5], 0x8
	s_ashr_i32 s7, s6, 31
	s_lshl_b64 s[6:7], s[6:7], 2
	v_mov_b32_e32 v6, 0
	s_waitcnt lgkmcnt(0)
	s_add_u32 s0, s0, s6
	s_addc_u32 s1, s1, s7
	global_store_dword v6, v1, s[0:1]
.LBB43_9:
	s_or_b64 exec, exec, s[8:9]
	s_and_saveexec_b64 s[0:1], vcc
	s_cbranch_execz .LBB43_11
; %bb.10:
	v_rcp_f32_e32 v6, v1
	s_load_dwordx2 s[0:1], s[4:5], 0x0
	v_lshlrev_b32_e32 v12, 3, v0
	v_cvt_f32_u32_sdwa v1, v2 dst_sel:DWORD dst_unused:UNUSED_PAD src0_sel:WORD_1
	v_cvt_f32_u32_sdwa v0, v2 dst_sel:DWORD dst_unused:UNUSED_PAD src0_sel:WORD_0
	v_mov_b32_e32 v7, v6
	;;#ASMSTART
	v_pk_mul_f32 v[0:1], v[0:1], v[6:7]
	;;#ASMEND
	v_cvt_f32_u32_sdwa v9, v3 dst_sel:DWORD dst_unused:UNUSED_PAD src0_sel:WORD_1
	v_cvt_f32_u32_sdwa v8, v3 dst_sel:DWORD dst_unused:UNUSED_PAD src0_sel:WORD_0
	v_cvt_f32_u32_sdwa v3, v4 dst_sel:DWORD dst_unused:UNUSED_PAD src0_sel:WORD_1
	v_cvt_f32_u32_sdwa v2, v4 dst_sel:DWORD dst_unused:UNUSED_PAD src0_sel:WORD_0
	v_cvt_f32_u32_sdwa v11, v5 dst_sel:DWORD dst_unused:UNUSED_PAD src0_sel:WORD_1
	v_cvt_f32_u32_sdwa v10, v5 dst_sel:DWORD dst_unused:UNUSED_PAD src0_sel:WORD_0
	v_cvt_i32_f32_e32 v4, v0
	v_cvt_i32_f32_sdwa v5, v1 dst_sel:BYTE_1 dst_unused:UNUSED_PAD src0_sel:DWORD
	;;#ASMSTART
	v_pk_mul_f32 v[0:1], v[8:9], v[6:7]
	;;#ASMEND
	v_cvt_i32_f32_e32 v8, v0
	v_cvt_i32_f32_sdwa v9, v1 dst_sel:BYTE_1 dst_unused:UNUSED_PAD src0_sel:DWORD
	;;#ASMSTART
	v_pk_mul_f32 v[0:1], v[2:3], v[6:7]
	;;#ASMEND
	;; [unrolled: 5-line block ×3, first 2 shown]
	s_waitcnt lgkmcnt(0)
	s_add_u32 s0, s0, s2
	v_cvt_i32_f32_e32 v6, v0
	v_cvt_i32_f32_sdwa v1, v1 dst_sel:BYTE_1 dst_unused:UNUSED_PAD src0_sel:DWORD
	s_addc_u32 s1, s1, 0
	s_add_i32 s2, s10, 3
	s_ashr_i32 s4, s2, 31
	s_lshr_b32 s4, s4, 30
	s_add_i32 s2, s2, s4
	v_or_b32_sdwa v0, v4, v5 dst_sel:DWORD dst_unused:UNUSED_PAD src0_sel:BYTE_0 src1_sel:DWORD
	v_or_b32_sdwa v4, v8, v9 dst_sel:WORD_1 dst_unused:UNUSED_PAD src0_sel:BYTE_0 src1_sel:DWORD
	v_or_b32_sdwa v2, v2, v3 dst_sel:DWORD dst_unused:UNUSED_PAD src0_sel:BYTE_0 src1_sel:DWORD
	v_or_b32_sdwa v1, v6, v1 dst_sel:WORD_1 dst_unused:UNUSED_PAD src0_sel:BYTE_0 src1_sel:DWORD
	s_mov_b32 s3, 0x20000
	s_and_b32 s1, s1, 0xffff
	s_and_b32 s2, s2, -4
	v_or_b32_sdwa v0, v0, v4 dst_sel:DWORD dst_unused:UNUSED_PAD src0_sel:WORD_0 src1_sel:DWORD
	v_or_b32_sdwa v1, v2, v1 dst_sel:DWORD dst_unused:UNUSED_PAD src0_sel:WORD_0 src1_sel:DWORD
	buffer_store_dwordx2 v[0:1], v12, s[0:3], 0 offen
	;;#ASMSTART
	s_nop 0
	;;#ASMEND
.LBB43_11:
	s_endpgm
	.section	.rodata,"a",@progbits
	.p2align	6, 0x0
	.amdhsa_kernel _ZN5aiter37dynamic_per_token_scaled_quant_kernelItaLi8EEEvPT0_PfPT_PKfiPKii
		.amdhsa_group_segment_fixed_size 16
		.amdhsa_private_segment_fixed_size 0
		.amdhsa_kernarg_size 52
		.amdhsa_user_sgpr_count 6
		.amdhsa_user_sgpr_private_segment_buffer 1
		.amdhsa_user_sgpr_dispatch_ptr 0
		.amdhsa_user_sgpr_queue_ptr 0
		.amdhsa_user_sgpr_kernarg_segment_ptr 1
		.amdhsa_user_sgpr_dispatch_id 0
		.amdhsa_user_sgpr_flat_scratch_init 0
		.amdhsa_user_sgpr_kernarg_preload_length 0
		.amdhsa_user_sgpr_kernarg_preload_offset 0
		.amdhsa_user_sgpr_private_segment_size 0
		.amdhsa_uses_dynamic_stack 0
		.amdhsa_system_sgpr_private_segment_wavefront_offset 0
		.amdhsa_system_sgpr_workgroup_id_x 1
		.amdhsa_system_sgpr_workgroup_id_y 0
		.amdhsa_system_sgpr_workgroup_id_z 0
		.amdhsa_system_sgpr_workgroup_info 0
		.amdhsa_system_vgpr_workitem_id 0
		.amdhsa_next_free_vgpr 13
		.amdhsa_next_free_sgpr 16
		.amdhsa_accum_offset 16
		.amdhsa_reserve_vcc 1
		.amdhsa_reserve_flat_scratch 0
		.amdhsa_float_round_mode_32 0
		.amdhsa_float_round_mode_16_64 0
		.amdhsa_float_denorm_mode_32 3
		.amdhsa_float_denorm_mode_16_64 3
		.amdhsa_dx10_clamp 1
		.amdhsa_ieee_mode 1
		.amdhsa_fp16_overflow 0
		.amdhsa_tg_split 0
		.amdhsa_exception_fp_ieee_invalid_op 0
		.amdhsa_exception_fp_denorm_src 0
		.amdhsa_exception_fp_ieee_div_zero 0
		.amdhsa_exception_fp_ieee_overflow 0
		.amdhsa_exception_fp_ieee_underflow 0
		.amdhsa_exception_fp_ieee_inexact 0
		.amdhsa_exception_int_div_zero 0
	.end_amdhsa_kernel
	.section	.text._ZN5aiter37dynamic_per_token_scaled_quant_kernelItaLi8EEEvPT0_PfPT_PKfiPKii,"axG",@progbits,_ZN5aiter37dynamic_per_token_scaled_quant_kernelItaLi8EEEvPT0_PfPT_PKfiPKii,comdat
.Lfunc_end43:
	.size	_ZN5aiter37dynamic_per_token_scaled_quant_kernelItaLi8EEEvPT0_PfPT_PKfiPKii, .Lfunc_end43-_ZN5aiter37dynamic_per_token_scaled_quant_kernelItaLi8EEEvPT0_PfPT_PKfiPKii
                                        ; -- End function
	.section	.AMDGPU.csdata,"",@progbits
; Kernel info:
; codeLenInByte = 948
; NumSgprs: 20
; NumVgprs: 13
; NumAgprs: 0
; TotalNumVgprs: 13
; ScratchSize: 0
; MemoryBound: 0
; FloatMode: 240
; IeeeMode: 1
; LDSByteSize: 16 bytes/workgroup (compile time only)
; SGPRBlocks: 2
; VGPRBlocks: 1
; NumSGPRsForWavesPerEU: 20
; NumVGPRsForWavesPerEU: 13
; AccumOffset: 16
; Occupancy: 8
; WaveLimiterHint : 0
; COMPUTE_PGM_RSRC2:SCRATCH_EN: 0
; COMPUTE_PGM_RSRC2:USER_SGPR: 6
; COMPUTE_PGM_RSRC2:TRAP_HANDLER: 0
; COMPUTE_PGM_RSRC2:TGID_X_EN: 1
; COMPUTE_PGM_RSRC2:TGID_Y_EN: 0
; COMPUTE_PGM_RSRC2:TGID_Z_EN: 0
; COMPUTE_PGM_RSRC2:TIDIG_COMP_CNT: 0
; COMPUTE_PGM_RSRC3_GFX90A:ACCUM_OFFSET: 3
; COMPUTE_PGM_RSRC3_GFX90A:TG_SPLIT: 0
	.section	.text._ZN5aiter37dynamic_per_token_scaled_quant_kernelIDF16_aLi16EEEvPT0_PfPT_PKfiPKii,"axG",@progbits,_ZN5aiter37dynamic_per_token_scaled_quant_kernelIDF16_aLi16EEEvPT0_PfPT_PKfiPKii,comdat
	.protected	_ZN5aiter37dynamic_per_token_scaled_quant_kernelIDF16_aLi16EEEvPT0_PfPT_PKfiPKii ; -- Begin function _ZN5aiter37dynamic_per_token_scaled_quant_kernelIDF16_aLi16EEEvPT0_PfPT_PKfiPKii
	.globl	_ZN5aiter37dynamic_per_token_scaled_quant_kernelIDF16_aLi16EEEvPT0_PfPT_PKfiPKii
	.p2align	8
	.type	_ZN5aiter37dynamic_per_token_scaled_quant_kernelIDF16_aLi16EEEvPT0_PfPT_PKfiPKii,@function
_ZN5aiter37dynamic_per_token_scaled_quant_kernelIDF16_aLi16EEEvPT0_PfPT_PKfiPKii: ; @_ZN5aiter37dynamic_per_token_scaled_quant_kernelIDF16_aLi16EEEvPT0_PfPT_PKfiPKii
; %bb.0:
	s_load_dwordx2 s[2:3], s[4:5], 0x28
	s_waitcnt lgkmcnt(0)
	s_cmp_eq_u64 s[2:3], 0
	s_cselect_b64 s[0:1], -1, 0
	s_and_b64 vcc, exec, s[0:1]
	s_cbranch_vccnz .LBB44_2
; %bb.1:
	s_load_dword s0, s[4:5], 0x30
	s_load_dword s1, s[2:3], 0x0
	s_waitcnt lgkmcnt(0)
	s_mul_i32 s1, s1, s0
	s_cmp_lt_i32 s6, s1
	s_cselect_b64 s[0:1], -1, 0
.LBB44_2:
	s_andn2_b64 vcc, exec, s[0:1]
	s_cbranch_vccnz .LBB44_11
; %bb.3:
	s_load_dword s10, s[4:5], 0x20
	v_mov_b32_e32 v1, 0
                                        ; implicit-def: $vgpr6
                                        ; implicit-def: $vgpr2
	s_waitcnt lgkmcnt(0)
	s_add_i32 s0, s10, 15
	s_ashr_i32 s1, s0, 31
	s_lshr_b32 s1, s1, 28
	s_add_i32 s0, s0, s1
	s_ashr_i32 s0, s0, 4
	v_cmp_gt_u32_e32 vcc, s0, v0
	s_mul_i32 s2, s6, s10
	s_and_saveexec_b64 s[0:1], vcc
	s_cbranch_execz .LBB44_5
; %bb.4:
	s_load_dwordx2 s[8:9], s[4:5], 0x10
	s_mov_b32 s3, 0
	s_lshl_b64 s[12:13], s[2:3], 1
	s_mov_b32 s15, 0x20000
	v_lshlrev_b32_e32 v1, 5, v0
	s_waitcnt lgkmcnt(0)
	s_add_u32 s12, s8, s12
	s_addc_u32 s3, s9, s13
	s_add_i32 s7, s10, 1
	s_lshr_b32 s8, s7, 31
	s_add_i32 s7, s7, s8
	s_and_b32 s13, s3, 0xffff
	s_lshl_b32 s3, s7, 1
	s_and_b32 s14, s3, -4
	buffer_load_dwordx4 v[6:9], v1, s[12:15], 0 offen
	buffer_load_dwordx4 v[2:5], v1, s[12:15], 16 offen
	s_waitcnt vmcnt(1)
	v_cvt_f32_f16_e64 v1, |v6|
	v_cvt_f32_f16_sdwa v10, |v6| dst_sel:DWORD dst_unused:UNUSED_PAD src0_sel:WORD_1
	v_cvt_f32_f16_e64 v11, |v7|
	v_cvt_f32_f16_sdwa v12, |v7| dst_sel:DWORD dst_unused:UNUSED_PAD src0_sel:WORD_1
	;; [unrolled: 2-line block ×4, first 2 shown]
	s_waitcnt vmcnt(0)
	v_cvt_f32_f16_e64 v17, |v2|
	v_cvt_f32_f16_sdwa v18, |v2| dst_sel:DWORD dst_unused:UNUSED_PAD src0_sel:WORD_1
	v_max3_f32 v1, v1, 0, v10
	v_cvt_f32_f16_e64 v19, |v3|
	v_cvt_f32_f16_sdwa v20, |v3| dst_sel:DWORD dst_unused:UNUSED_PAD src0_sel:WORD_1
	v_max3_f32 v1, v1, v11, v12
	;; [unrolled: 3-line block ×3, first 2 shown]
	v_cvt_f32_f16_e64 v23, |v5|
	v_max3_f32 v1, v1, v15, v16
	v_cvt_f32_f16_sdwa v10, |v5| dst_sel:DWORD dst_unused:UNUSED_PAD src0_sel:WORD_1
	v_max3_f32 v1, v1, v17, v18
	v_max3_f32 v1, v1, v19, v20
	;; [unrolled: 1-line block ×4, first 2 shown]
.LBB44_5:
	s_or_b64 exec, exec, s[0:1]
	s_nop 0
	v_mov_b32_dpp v10, v1 quad_perm:[1,0,3,2] row_mask:0xf bank_mask:0xf
	v_cmp_gt_f32_e64 s[0:1], v1, v10
	v_cndmask_b32_e64 v1, v10, v1, s[0:1]
	v_and_b32_e32 v11, 63, v0
	s_nop 0
	v_mov_b32_dpp v10, v1 quad_perm:[2,3,0,1] row_mask:0xf bank_mask:0xf
	v_cmp_gt_f32_e64 s[0:1], v1, v10
	v_cndmask_b32_e64 v1, v10, v1, s[0:1]
	s_nop 1
	v_mov_b32_dpp v10, v1 row_half_mirror row_mask:0xf bank_mask:0xf
	v_cmp_gt_f32_e64 s[0:1], v1, v10
	v_cndmask_b32_e64 v1, v10, v1, s[0:1]
	s_nop 1
	v_mov_b32_dpp v10, v1 row_mirror row_mask:0xf bank_mask:0xf
	v_cmp_gt_f32_e64 s[0:1], v1, v10
	v_cndmask_b32_e64 v1, v10, v1, s[0:1]
	s_nop 1
	v_mov_b32_dpp v10, v1 row_bcast:15 row_mask:0xf bank_mask:0xf
	v_cmp_gt_f32_e64 s[0:1], v1, v10
	v_cndmask_b32_e64 v1, v10, v1, s[0:1]
	v_cmp_eq_u32_e64 s[0:1], 63, v11
	s_nop 0
	v_mov_b32_dpp v10, v1 row_bcast:31 row_mask:0xf bank_mask:0xf
	s_and_saveexec_b64 s[8:9], s[0:1]
	s_cbranch_execz .LBB44_7
; %bb.6:
	v_lshrrev_b32_e32 v11, 4, v0
	v_cmp_gt_f32_e64 s[0:1], v1, v10
	v_and_b32_e32 v11, 60, v11
	v_cndmask_b32_e64 v1, v10, v1, s[0:1]
	ds_write_b32 v11, v1
.LBB44_7:
	s_or_b64 exec, exec, s[8:9]
	v_and_b32_e32 v1, 3, v0
	v_lshlrev_b32_e32 v1, 2, v1
	s_waitcnt lgkmcnt(0)
	s_barrier
	ds_read_b32 v1, v1
	s_waitcnt lgkmcnt(0)
	s_nop 0
	v_mov_b32_dpp v10, v1 quad_perm:[1,0,3,2] row_mask:0xf bank_mask:0xf
	v_cmp_gt_f32_e64 s[0:1], v1, v10
	v_cndmask_b32_e64 v1, v10, v1, s[0:1]
	s_nop 1
	v_mov_b32_dpp v10, v1 quad_perm:[2,3,0,1] row_mask:0xf bank_mask:0xf
	v_cmp_gt_f32_e64 s[0:1], v1, v10
	v_cndmask_b32_e64 v1, v10, v1, s[0:1]
	v_mul_f32_e32 v1, 0x3c010204, v1
	v_cmp_eq_u32_e64 s[0:1], 0, v0
	s_and_saveexec_b64 s[8:9], s[0:1]
	s_cbranch_execz .LBB44_9
; %bb.8:
	s_load_dwordx2 s[0:1], s[4:5], 0x8
	s_ashr_i32 s7, s6, 31
	s_lshl_b64 s[6:7], s[6:7], 2
	v_mov_b32_e32 v10, 0
	s_waitcnt lgkmcnt(0)
	s_add_u32 s0, s0, s6
	s_addc_u32 s1, s1, s7
	global_store_dword v10, v1, s[0:1]
.LBB44_9:
	s_or_b64 exec, exec, s[8:9]
	s_and_saveexec_b64 s[0:1], vcc
	s_cbranch_execz .LBB44_11
; %bb.10:
	v_rcp_f32_e32 v10, v1
	v_lshlrev_b32_e32 v20, 4, v0
	v_cvt_f32_f16_sdwa v1, v6 dst_sel:DWORD dst_unused:UNUSED_PAD src0_sel:WORD_1
	v_cvt_f32_f16_e32 v0, v6
	v_mov_b32_e32 v11, v10
	;;#ASMSTART
	v_pk_mul_f32 v[0:1], v[0:1], v[10:11]
	;;#ASMEND
	v_cvt_f32_f16_sdwa v13, v7 dst_sel:DWORD dst_unused:UNUSED_PAD src0_sel:WORD_1
	v_cvt_f32_f16_e32 v12, v7
	v_cvt_f32_f16_sdwa v7, v8 dst_sel:DWORD dst_unused:UNUSED_PAD src0_sel:WORD_1
	v_cvt_f32_f16_e32 v6, v8
	;; [unrolled: 2-line block ×7, first 2 shown]
	v_cvt_i32_f32_e32 v4, v0
	v_cvt_i32_f32_sdwa v5, v1 dst_sel:BYTE_1 dst_unused:UNUSED_PAD src0_sel:DWORD
	;;#ASMSTART
	v_pk_mul_f32 v[0:1], v[12:13], v[10:11]
	;;#ASMEND
	s_load_dwordx2 s[0:1], s[4:5], 0x0
	v_cvt_i32_f32_e32 v12, v0
	v_cvt_i32_f32_sdwa v13, v1 dst_sel:BYTE_1 dst_unused:UNUSED_PAD src0_sel:DWORD
	;;#ASMSTART
	v_pk_mul_f32 v[0:1], v[6:7], v[10:11]
	;;#ASMEND
	v_cvt_i32_f32_e32 v6, v0
	v_cvt_i32_f32_sdwa v7, v1 dst_sel:BYTE_1 dst_unused:UNUSED_PAD src0_sel:DWORD
	;;#ASMSTART
	v_pk_mul_f32 v[0:1], v[14:15], v[10:11]
	;;#ASMEND
	v_cvt_i32_f32_e32 v14, v0
	v_cvt_i32_f32_sdwa v15, v1 dst_sel:BYTE_1 dst_unused:UNUSED_PAD src0_sel:DWORD
	;;#ASMSTART
	v_pk_mul_f32 v[0:1], v[8:9], v[10:11]
	;;#ASMEND
	v_cvt_i32_f32_e32 v8, v0
	v_cvt_i32_f32_sdwa v9, v1 dst_sel:BYTE_1 dst_unused:UNUSED_PAD src0_sel:DWORD
	;;#ASMSTART
	v_pk_mul_f32 v[0:1], v[16:17], v[10:11]
	;;#ASMEND
	v_cvt_i32_f32_e32 v16, v0
	v_cvt_i32_f32_sdwa v17, v1 dst_sel:BYTE_1 dst_unused:UNUSED_PAD src0_sel:DWORD
	;;#ASMSTART
	v_pk_mul_f32 v[0:1], v[2:3], v[10:11]
	;;#ASMEND
	s_waitcnt lgkmcnt(0)
	s_add_u32 s0, s0, s2
	v_cvt_i32_f32_e32 v3, v0
	v_cvt_i32_f32_sdwa v21, v1 dst_sel:BYTE_1 dst_unused:UNUSED_PAD src0_sel:DWORD
	;;#ASMSTART
	v_pk_mul_f32 v[0:1], v[18:19], v[10:11]
	;;#ASMEND
	v_cvt_i32_f32_e32 v10, v0
	v_cvt_i32_f32_sdwa v11, v1 dst_sel:BYTE_1 dst_unused:UNUSED_PAD src0_sel:DWORD
	s_addc_u32 s1, s1, 0
	s_add_i32 s2, s10, 3
	v_or_b32_sdwa v0, v4, v5 dst_sel:DWORD dst_unused:UNUSED_PAD src0_sel:BYTE_0 src1_sel:DWORD
	v_or_b32_sdwa v1, v12, v13 dst_sel:WORD_1 dst_unused:UNUSED_PAD src0_sel:BYTE_0 src1_sel:DWORD
	s_ashr_i32 s4, s2, 31
	v_or_b32_sdwa v0, v0, v1 dst_sel:DWORD dst_unused:UNUSED_PAD src0_sel:WORD_0 src1_sel:DWORD
	v_or_b32_sdwa v1, v6, v7 dst_sel:DWORD dst_unused:UNUSED_PAD src0_sel:BYTE_0 src1_sel:DWORD
	v_or_b32_sdwa v2, v14, v15 dst_sel:WORD_1 dst_unused:UNUSED_PAD src0_sel:BYTE_0 src1_sel:DWORD
	s_lshr_b32 s4, s4, 30
	v_or_b32_sdwa v1, v1, v2 dst_sel:DWORD dst_unused:UNUSED_PAD src0_sel:WORD_0 src1_sel:DWORD
	v_or_b32_sdwa v2, v8, v9 dst_sel:DWORD dst_unused:UNUSED_PAD src0_sel:BYTE_0 src1_sel:DWORD
	v_or_b32_sdwa v4, v16, v17 dst_sel:WORD_1 dst_unused:UNUSED_PAD src0_sel:BYTE_0 src1_sel:DWORD
	s_add_i32 s2, s2, s4
	v_or_b32_sdwa v2, v2, v4 dst_sel:DWORD dst_unused:UNUSED_PAD src0_sel:WORD_0 src1_sel:DWORD
	v_or_b32_sdwa v3, v3, v21 dst_sel:DWORD dst_unused:UNUSED_PAD src0_sel:BYTE_0 src1_sel:DWORD
	v_or_b32_sdwa v4, v10, v11 dst_sel:WORD_1 dst_unused:UNUSED_PAD src0_sel:BYTE_0 src1_sel:DWORD
	s_mov_b32 s3, 0x20000
	s_and_b32 s1, s1, 0xffff
	s_and_b32 s2, s2, -4
	v_or_b32_sdwa v3, v3, v4 dst_sel:DWORD dst_unused:UNUSED_PAD src0_sel:WORD_0 src1_sel:DWORD
	buffer_store_dwordx4 v[0:3], v20, s[0:3], 0 offen
	;;#ASMSTART
	s_nop 0
	;;#ASMEND
.LBB44_11:
	s_endpgm
	.section	.rodata,"a",@progbits
	.p2align	6, 0x0
	.amdhsa_kernel _ZN5aiter37dynamic_per_token_scaled_quant_kernelIDF16_aLi16EEEvPT0_PfPT_PKfiPKii
		.amdhsa_group_segment_fixed_size 16
		.amdhsa_private_segment_fixed_size 0
		.amdhsa_kernarg_size 52
		.amdhsa_user_sgpr_count 6
		.amdhsa_user_sgpr_private_segment_buffer 1
		.amdhsa_user_sgpr_dispatch_ptr 0
		.amdhsa_user_sgpr_queue_ptr 0
		.amdhsa_user_sgpr_kernarg_segment_ptr 1
		.amdhsa_user_sgpr_dispatch_id 0
		.amdhsa_user_sgpr_flat_scratch_init 0
		.amdhsa_user_sgpr_kernarg_preload_length 0
		.amdhsa_user_sgpr_kernarg_preload_offset 0
		.amdhsa_user_sgpr_private_segment_size 0
		.amdhsa_uses_dynamic_stack 0
		.amdhsa_system_sgpr_private_segment_wavefront_offset 0
		.amdhsa_system_sgpr_workgroup_id_x 1
		.amdhsa_system_sgpr_workgroup_id_y 0
		.amdhsa_system_sgpr_workgroup_id_z 0
		.amdhsa_system_sgpr_workgroup_info 0
		.amdhsa_system_vgpr_workitem_id 0
		.amdhsa_next_free_vgpr 24
		.amdhsa_next_free_sgpr 16
		.amdhsa_accum_offset 24
		.amdhsa_reserve_vcc 1
		.amdhsa_reserve_flat_scratch 0
		.amdhsa_float_round_mode_32 0
		.amdhsa_float_round_mode_16_64 0
		.amdhsa_float_denorm_mode_32 3
		.amdhsa_float_denorm_mode_16_64 3
		.amdhsa_dx10_clamp 1
		.amdhsa_ieee_mode 1
		.amdhsa_fp16_overflow 0
		.amdhsa_tg_split 0
		.amdhsa_exception_fp_ieee_invalid_op 0
		.amdhsa_exception_fp_denorm_src 0
		.amdhsa_exception_fp_ieee_div_zero 0
		.amdhsa_exception_fp_ieee_overflow 0
		.amdhsa_exception_fp_ieee_underflow 0
		.amdhsa_exception_fp_ieee_inexact 0
		.amdhsa_exception_int_div_zero 0
	.end_amdhsa_kernel
	.section	.text._ZN5aiter37dynamic_per_token_scaled_quant_kernelIDF16_aLi16EEEvPT0_PfPT_PKfiPKii,"axG",@progbits,_ZN5aiter37dynamic_per_token_scaled_quant_kernelIDF16_aLi16EEEvPT0_PfPT_PKfiPKii,comdat
.Lfunc_end44:
	.size	_ZN5aiter37dynamic_per_token_scaled_quant_kernelIDF16_aLi16EEEvPT0_PfPT_PKfiPKii, .Lfunc_end44-_ZN5aiter37dynamic_per_token_scaled_quant_kernelIDF16_aLi16EEEvPT0_PfPT_PKfiPKii
                                        ; -- End function
	.section	.AMDGPU.csdata,"",@progbits
; Kernel info:
; codeLenInByte = 1216
; NumSgprs: 20
; NumVgprs: 24
; NumAgprs: 0
; TotalNumVgprs: 24
; ScratchSize: 0
; MemoryBound: 0
; FloatMode: 240
; IeeeMode: 1
; LDSByteSize: 16 bytes/workgroup (compile time only)
; SGPRBlocks: 2
; VGPRBlocks: 2
; NumSGPRsForWavesPerEU: 20
; NumVGPRsForWavesPerEU: 24
; AccumOffset: 24
; Occupancy: 8
; WaveLimiterHint : 0
; COMPUTE_PGM_RSRC2:SCRATCH_EN: 0
; COMPUTE_PGM_RSRC2:USER_SGPR: 6
; COMPUTE_PGM_RSRC2:TRAP_HANDLER: 0
; COMPUTE_PGM_RSRC2:TGID_X_EN: 1
; COMPUTE_PGM_RSRC2:TGID_Y_EN: 0
; COMPUTE_PGM_RSRC2:TGID_Z_EN: 0
; COMPUTE_PGM_RSRC2:TIDIG_COMP_CNT: 0
; COMPUTE_PGM_RSRC3_GFX90A:ACCUM_OFFSET: 5
; COMPUTE_PGM_RSRC3_GFX90A:TG_SPLIT: 0
	.section	.text._ZN5aiter37dynamic_per_token_scaled_quant_kernelItaLi16EEEvPT0_PfPT_PKfiPKii,"axG",@progbits,_ZN5aiter37dynamic_per_token_scaled_quant_kernelItaLi16EEEvPT0_PfPT_PKfiPKii,comdat
	.protected	_ZN5aiter37dynamic_per_token_scaled_quant_kernelItaLi16EEEvPT0_PfPT_PKfiPKii ; -- Begin function _ZN5aiter37dynamic_per_token_scaled_quant_kernelItaLi16EEEvPT0_PfPT_PKfiPKii
	.globl	_ZN5aiter37dynamic_per_token_scaled_quant_kernelItaLi16EEEvPT0_PfPT_PKfiPKii
	.p2align	8
	.type	_ZN5aiter37dynamic_per_token_scaled_quant_kernelItaLi16EEEvPT0_PfPT_PKfiPKii,@function
_ZN5aiter37dynamic_per_token_scaled_quant_kernelItaLi16EEEvPT0_PfPT_PKfiPKii: ; @_ZN5aiter37dynamic_per_token_scaled_quant_kernelItaLi16EEEvPT0_PfPT_PKfiPKii
; %bb.0:
	s_load_dwordx2 s[2:3], s[4:5], 0x28
	s_waitcnt lgkmcnt(0)
	s_cmp_eq_u64 s[2:3], 0
	s_cselect_b64 s[0:1], -1, 0
	s_and_b64 vcc, exec, s[0:1]
	s_cbranch_vccnz .LBB45_2
; %bb.1:
	s_load_dword s0, s[4:5], 0x30
	s_load_dword s1, s[2:3], 0x0
	s_waitcnt lgkmcnt(0)
	s_mul_i32 s1, s1, s0
	s_cmp_lt_i32 s6, s1
	s_cselect_b64 s[0:1], -1, 0
.LBB45_2:
	s_andn2_b64 vcc, exec, s[0:1]
	s_cbranch_vccnz .LBB45_11
; %bb.3:
	s_load_dword s10, s[4:5], 0x20
	v_mov_b32_e32 v1, 0
                                        ; implicit-def: $vgpr6
                                        ; implicit-def: $vgpr2
	s_waitcnt lgkmcnt(0)
	s_add_i32 s0, s10, 15
	s_ashr_i32 s1, s0, 31
	s_lshr_b32 s1, s1, 28
	s_add_i32 s0, s0, s1
	s_ashr_i32 s0, s0, 4
	v_cmp_gt_u32_e32 vcc, s0, v0
	s_mul_i32 s2, s6, s10
	s_and_saveexec_b64 s[0:1], vcc
	s_cbranch_execz .LBB45_5
; %bb.4:
	s_load_dwordx2 s[8:9], s[4:5], 0x10
	s_mov_b32 s3, 0
	s_lshl_b64 s[12:13], s[2:3], 1
	s_mov_b32 s15, 0x20000
	v_lshlrev_b32_e32 v1, 5, v0
	s_waitcnt lgkmcnt(0)
	s_add_u32 s12, s8, s12
	s_addc_u32 s3, s9, s13
	s_add_i32 s7, s10, 1
	s_lshr_b32 s8, s7, 31
	s_add_i32 s7, s7, s8
	s_and_b32 s13, s3, 0xffff
	s_lshl_b32 s3, s7, 1
	s_and_b32 s14, s3, -4
	buffer_load_dwordx4 v[6:9], v1, s[12:15], 0 offen
	buffer_load_dwordx4 v[2:5], v1, s[12:15], 16 offen
	s_waitcnt vmcnt(1)
	v_cvt_f32_u32_sdwa v1, v6 dst_sel:DWORD dst_unused:UNUSED_PAD src0_sel:WORD_0
	v_cvt_f32_u32_sdwa v10, v6 dst_sel:DWORD dst_unused:UNUSED_PAD src0_sel:WORD_1
	v_cvt_f32_u32_sdwa v11, v7 dst_sel:DWORD dst_unused:UNUSED_PAD src0_sel:WORD_0
	v_cvt_f32_u32_sdwa v12, v7 dst_sel:DWORD dst_unused:UNUSED_PAD src0_sel:WORD_1
	;; [unrolled: 2-line block ×4, first 2 shown]
	s_waitcnt vmcnt(0)
	v_cvt_f32_u32_sdwa v17, v2 dst_sel:DWORD dst_unused:UNUSED_PAD src0_sel:WORD_0
	v_cvt_f32_u32_sdwa v18, v2 dst_sel:DWORD dst_unused:UNUSED_PAD src0_sel:WORD_1
	v_max3_f32 v1, v1, 0, v10
	v_cvt_f32_u32_sdwa v19, v3 dst_sel:DWORD dst_unused:UNUSED_PAD src0_sel:WORD_0
	v_cvt_f32_u32_sdwa v20, v3 dst_sel:DWORD dst_unused:UNUSED_PAD src0_sel:WORD_1
	v_max3_f32 v1, v1, v11, v12
	;; [unrolled: 3-line block ×3, first 2 shown]
	v_cvt_f32_u32_sdwa v23, v5 dst_sel:DWORD dst_unused:UNUSED_PAD src0_sel:WORD_0
	v_max3_f32 v1, v1, v15, v16
	v_cvt_f32_u32_sdwa v10, v5 dst_sel:DWORD dst_unused:UNUSED_PAD src0_sel:WORD_1
	v_max3_f32 v1, v1, v17, v18
	v_max3_f32 v1, v1, v19, v20
	;; [unrolled: 1-line block ×4, first 2 shown]
.LBB45_5:
	s_or_b64 exec, exec, s[0:1]
	s_nop 0
	v_mov_b32_dpp v10, v1 quad_perm:[1,0,3,2] row_mask:0xf bank_mask:0xf
	v_cmp_gt_f32_e64 s[0:1], v1, v10
	v_cndmask_b32_e64 v1, v10, v1, s[0:1]
	v_and_b32_e32 v11, 63, v0
	s_nop 0
	v_mov_b32_dpp v10, v1 quad_perm:[2,3,0,1] row_mask:0xf bank_mask:0xf
	v_cmp_gt_f32_e64 s[0:1], v1, v10
	v_cndmask_b32_e64 v1, v10, v1, s[0:1]
	s_nop 1
	v_mov_b32_dpp v10, v1 row_half_mirror row_mask:0xf bank_mask:0xf
	v_cmp_gt_f32_e64 s[0:1], v1, v10
	v_cndmask_b32_e64 v1, v10, v1, s[0:1]
	s_nop 1
	v_mov_b32_dpp v10, v1 row_mirror row_mask:0xf bank_mask:0xf
	v_cmp_gt_f32_e64 s[0:1], v1, v10
	v_cndmask_b32_e64 v1, v10, v1, s[0:1]
	s_nop 1
	v_mov_b32_dpp v10, v1 row_bcast:15 row_mask:0xf bank_mask:0xf
	v_cmp_gt_f32_e64 s[0:1], v1, v10
	v_cndmask_b32_e64 v1, v10, v1, s[0:1]
	v_cmp_eq_u32_e64 s[0:1], 63, v11
	s_nop 0
	v_mov_b32_dpp v10, v1 row_bcast:31 row_mask:0xf bank_mask:0xf
	s_and_saveexec_b64 s[8:9], s[0:1]
	s_cbranch_execz .LBB45_7
; %bb.6:
	v_lshrrev_b32_e32 v11, 4, v0
	v_cmp_gt_f32_e64 s[0:1], v1, v10
	v_and_b32_e32 v11, 60, v11
	v_cndmask_b32_e64 v1, v10, v1, s[0:1]
	ds_write_b32 v11, v1
.LBB45_7:
	s_or_b64 exec, exec, s[8:9]
	v_and_b32_e32 v1, 3, v0
	v_lshlrev_b32_e32 v1, 2, v1
	s_waitcnt lgkmcnt(0)
	s_barrier
	ds_read_b32 v1, v1
	s_waitcnt lgkmcnt(0)
	s_nop 0
	v_mov_b32_dpp v10, v1 quad_perm:[1,0,3,2] row_mask:0xf bank_mask:0xf
	v_cmp_gt_f32_e64 s[0:1], v1, v10
	v_cndmask_b32_e64 v1, v10, v1, s[0:1]
	s_nop 1
	v_mov_b32_dpp v10, v1 quad_perm:[2,3,0,1] row_mask:0xf bank_mask:0xf
	v_cmp_gt_f32_e64 s[0:1], v1, v10
	v_cndmask_b32_e64 v1, v10, v1, s[0:1]
	v_mul_f32_e32 v1, 0x3c010204, v1
	v_cmp_eq_u32_e64 s[0:1], 0, v0
	s_and_saveexec_b64 s[8:9], s[0:1]
	s_cbranch_execz .LBB45_9
; %bb.8:
	s_load_dwordx2 s[0:1], s[4:5], 0x8
	s_ashr_i32 s7, s6, 31
	s_lshl_b64 s[6:7], s[6:7], 2
	v_mov_b32_e32 v10, 0
	s_waitcnt lgkmcnt(0)
	s_add_u32 s0, s0, s6
	s_addc_u32 s1, s1, s7
	global_store_dword v10, v1, s[0:1]
.LBB45_9:
	s_or_b64 exec, exec, s[8:9]
	s_and_saveexec_b64 s[0:1], vcc
	s_cbranch_execz .LBB45_11
; %bb.10:
	v_rcp_f32_e32 v10, v1
	v_lshlrev_b32_e32 v20, 4, v0
	v_cvt_f32_u32_sdwa v1, v6 dst_sel:DWORD dst_unused:UNUSED_PAD src0_sel:WORD_1
	v_cvt_f32_u32_sdwa v0, v6 dst_sel:DWORD dst_unused:UNUSED_PAD src0_sel:WORD_0
	v_mov_b32_e32 v11, v10
	;;#ASMSTART
	v_pk_mul_f32 v[0:1], v[0:1], v[10:11]
	;;#ASMEND
	v_cvt_f32_u32_sdwa v13, v7 dst_sel:DWORD dst_unused:UNUSED_PAD src0_sel:WORD_1
	v_cvt_f32_u32_sdwa v12, v7 dst_sel:DWORD dst_unused:UNUSED_PAD src0_sel:WORD_0
	v_cvt_f32_u32_sdwa v7, v8 dst_sel:DWORD dst_unused:UNUSED_PAD src0_sel:WORD_1
	v_cvt_f32_u32_sdwa v6, v8 dst_sel:DWORD dst_unused:UNUSED_PAD src0_sel:WORD_0
	;; [unrolled: 2-line block ×7, first 2 shown]
	v_cvt_i32_f32_e32 v4, v0
	v_cvt_i32_f32_sdwa v5, v1 dst_sel:BYTE_1 dst_unused:UNUSED_PAD src0_sel:DWORD
	;;#ASMSTART
	v_pk_mul_f32 v[0:1], v[12:13], v[10:11]
	;;#ASMEND
	s_load_dwordx2 s[0:1], s[4:5], 0x0
	v_cvt_i32_f32_e32 v12, v0
	v_cvt_i32_f32_sdwa v13, v1 dst_sel:BYTE_1 dst_unused:UNUSED_PAD src0_sel:DWORD
	;;#ASMSTART
	v_pk_mul_f32 v[0:1], v[6:7], v[10:11]
	;;#ASMEND
	v_cvt_i32_f32_e32 v6, v0
	v_cvt_i32_f32_sdwa v7, v1 dst_sel:BYTE_1 dst_unused:UNUSED_PAD src0_sel:DWORD
	;;#ASMSTART
	v_pk_mul_f32 v[0:1], v[14:15], v[10:11]
	;;#ASMEND
	;; [unrolled: 5-line block ×5, first 2 shown]
	s_waitcnt lgkmcnt(0)
	s_add_u32 s0, s0, s2
	v_cvt_i32_f32_e32 v3, v0
	v_cvt_i32_f32_sdwa v21, v1 dst_sel:BYTE_1 dst_unused:UNUSED_PAD src0_sel:DWORD
	;;#ASMSTART
	v_pk_mul_f32 v[0:1], v[18:19], v[10:11]
	;;#ASMEND
	v_cvt_i32_f32_e32 v10, v0
	v_cvt_i32_f32_sdwa v11, v1 dst_sel:BYTE_1 dst_unused:UNUSED_PAD src0_sel:DWORD
	s_addc_u32 s1, s1, 0
	s_add_i32 s2, s10, 3
	v_or_b32_sdwa v0, v4, v5 dst_sel:DWORD dst_unused:UNUSED_PAD src0_sel:BYTE_0 src1_sel:DWORD
	v_or_b32_sdwa v1, v12, v13 dst_sel:WORD_1 dst_unused:UNUSED_PAD src0_sel:BYTE_0 src1_sel:DWORD
	s_ashr_i32 s4, s2, 31
	v_or_b32_sdwa v0, v0, v1 dst_sel:DWORD dst_unused:UNUSED_PAD src0_sel:WORD_0 src1_sel:DWORD
	v_or_b32_sdwa v1, v6, v7 dst_sel:DWORD dst_unused:UNUSED_PAD src0_sel:BYTE_0 src1_sel:DWORD
	v_or_b32_sdwa v2, v14, v15 dst_sel:WORD_1 dst_unused:UNUSED_PAD src0_sel:BYTE_0 src1_sel:DWORD
	s_lshr_b32 s4, s4, 30
	v_or_b32_sdwa v1, v1, v2 dst_sel:DWORD dst_unused:UNUSED_PAD src0_sel:WORD_0 src1_sel:DWORD
	v_or_b32_sdwa v2, v8, v9 dst_sel:DWORD dst_unused:UNUSED_PAD src0_sel:BYTE_0 src1_sel:DWORD
	v_or_b32_sdwa v4, v16, v17 dst_sel:WORD_1 dst_unused:UNUSED_PAD src0_sel:BYTE_0 src1_sel:DWORD
	s_add_i32 s2, s2, s4
	v_or_b32_sdwa v2, v2, v4 dst_sel:DWORD dst_unused:UNUSED_PAD src0_sel:WORD_0 src1_sel:DWORD
	v_or_b32_sdwa v3, v3, v21 dst_sel:DWORD dst_unused:UNUSED_PAD src0_sel:BYTE_0 src1_sel:DWORD
	v_or_b32_sdwa v4, v10, v11 dst_sel:WORD_1 dst_unused:UNUSED_PAD src0_sel:BYTE_0 src1_sel:DWORD
	s_mov_b32 s3, 0x20000
	s_and_b32 s1, s1, 0xffff
	s_and_b32 s2, s2, -4
	v_or_b32_sdwa v3, v3, v4 dst_sel:DWORD dst_unused:UNUSED_PAD src0_sel:WORD_0 src1_sel:DWORD
	buffer_store_dwordx4 v[0:3], v20, s[0:3], 0 offen
	;;#ASMSTART
	s_nop 0
	;;#ASMEND
.LBB45_11:
	s_endpgm
	.section	.rodata,"a",@progbits
	.p2align	6, 0x0
	.amdhsa_kernel _ZN5aiter37dynamic_per_token_scaled_quant_kernelItaLi16EEEvPT0_PfPT_PKfiPKii
		.amdhsa_group_segment_fixed_size 16
		.amdhsa_private_segment_fixed_size 0
		.amdhsa_kernarg_size 52
		.amdhsa_user_sgpr_count 6
		.amdhsa_user_sgpr_private_segment_buffer 1
		.amdhsa_user_sgpr_dispatch_ptr 0
		.amdhsa_user_sgpr_queue_ptr 0
		.amdhsa_user_sgpr_kernarg_segment_ptr 1
		.amdhsa_user_sgpr_dispatch_id 0
		.amdhsa_user_sgpr_flat_scratch_init 0
		.amdhsa_user_sgpr_kernarg_preload_length 0
		.amdhsa_user_sgpr_kernarg_preload_offset 0
		.amdhsa_user_sgpr_private_segment_size 0
		.amdhsa_uses_dynamic_stack 0
		.amdhsa_system_sgpr_private_segment_wavefront_offset 0
		.amdhsa_system_sgpr_workgroup_id_x 1
		.amdhsa_system_sgpr_workgroup_id_y 0
		.amdhsa_system_sgpr_workgroup_id_z 0
		.amdhsa_system_sgpr_workgroup_info 0
		.amdhsa_system_vgpr_workitem_id 0
		.amdhsa_next_free_vgpr 24
		.amdhsa_next_free_sgpr 16
		.amdhsa_accum_offset 24
		.amdhsa_reserve_vcc 1
		.amdhsa_reserve_flat_scratch 0
		.amdhsa_float_round_mode_32 0
		.amdhsa_float_round_mode_16_64 0
		.amdhsa_float_denorm_mode_32 3
		.amdhsa_float_denorm_mode_16_64 3
		.amdhsa_dx10_clamp 1
		.amdhsa_ieee_mode 1
		.amdhsa_fp16_overflow 0
		.amdhsa_tg_split 0
		.amdhsa_exception_fp_ieee_invalid_op 0
		.amdhsa_exception_fp_denorm_src 0
		.amdhsa_exception_fp_ieee_div_zero 0
		.amdhsa_exception_fp_ieee_overflow 0
		.amdhsa_exception_fp_ieee_underflow 0
		.amdhsa_exception_fp_ieee_inexact 0
		.amdhsa_exception_int_div_zero 0
	.end_amdhsa_kernel
	.section	.text._ZN5aiter37dynamic_per_token_scaled_quant_kernelItaLi16EEEvPT0_PfPT_PKfiPKii,"axG",@progbits,_ZN5aiter37dynamic_per_token_scaled_quant_kernelItaLi16EEEvPT0_PfPT_PKfiPKii,comdat
.Lfunc_end45:
	.size	_ZN5aiter37dynamic_per_token_scaled_quant_kernelItaLi16EEEvPT0_PfPT_PKfiPKii, .Lfunc_end45-_ZN5aiter37dynamic_per_token_scaled_quant_kernelItaLi16EEEvPT0_PfPT_PKfiPKii
                                        ; -- End function
	.section	.AMDGPU.csdata,"",@progbits
; Kernel info:
; codeLenInByte = 1248
; NumSgprs: 20
; NumVgprs: 24
; NumAgprs: 0
; TotalNumVgprs: 24
; ScratchSize: 0
; MemoryBound: 0
; FloatMode: 240
; IeeeMode: 1
; LDSByteSize: 16 bytes/workgroup (compile time only)
; SGPRBlocks: 2
; VGPRBlocks: 2
; NumSGPRsForWavesPerEU: 20
; NumVGPRsForWavesPerEU: 24
; AccumOffset: 24
; Occupancy: 8
; WaveLimiterHint : 0
; COMPUTE_PGM_RSRC2:SCRATCH_EN: 0
; COMPUTE_PGM_RSRC2:USER_SGPR: 6
; COMPUTE_PGM_RSRC2:TRAP_HANDLER: 0
; COMPUTE_PGM_RSRC2:TGID_X_EN: 1
; COMPUTE_PGM_RSRC2:TGID_Y_EN: 0
; COMPUTE_PGM_RSRC2:TGID_Z_EN: 0
; COMPUTE_PGM_RSRC2:TIDIG_COMP_CNT: 0
; COMPUTE_PGM_RSRC3_GFX90A:ACCUM_OFFSET: 5
; COMPUTE_PGM_RSRC3_GFX90A:TG_SPLIT: 0
	.section	.text._ZN5aiter37dynamic_per_token_scaled_quant_kernelIDF16_aLi32EEEvPT0_PfPT_PKfiPKii,"axG",@progbits,_ZN5aiter37dynamic_per_token_scaled_quant_kernelIDF16_aLi32EEEvPT0_PfPT_PKfiPKii,comdat
	.protected	_ZN5aiter37dynamic_per_token_scaled_quant_kernelIDF16_aLi32EEEvPT0_PfPT_PKfiPKii ; -- Begin function _ZN5aiter37dynamic_per_token_scaled_quant_kernelIDF16_aLi32EEEvPT0_PfPT_PKfiPKii
	.globl	_ZN5aiter37dynamic_per_token_scaled_quant_kernelIDF16_aLi32EEEvPT0_PfPT_PKfiPKii
	.p2align	8
	.type	_ZN5aiter37dynamic_per_token_scaled_quant_kernelIDF16_aLi32EEEvPT0_PfPT_PKfiPKii,@function
_ZN5aiter37dynamic_per_token_scaled_quant_kernelIDF16_aLi32EEEvPT0_PfPT_PKfiPKii: ; @_ZN5aiter37dynamic_per_token_scaled_quant_kernelIDF16_aLi32EEEvPT0_PfPT_PKfiPKii
; %bb.0:
	s_load_dwordx2 s[2:3], s[4:5], 0x28
	s_waitcnt lgkmcnt(0)
	s_cmp_eq_u64 s[2:3], 0
	s_cselect_b64 s[0:1], -1, 0
	s_and_b64 vcc, exec, s[0:1]
	s_cbranch_vccnz .LBB46_2
; %bb.1:
	s_load_dword s0, s[4:5], 0x30
	s_load_dword s1, s[2:3], 0x0
	s_waitcnt lgkmcnt(0)
	s_mul_i32 s1, s1, s0
	s_cmp_lt_i32 s6, s1
	s_cselect_b64 s[0:1], -1, 0
.LBB46_2:
	s_andn2_b64 vcc, exec, s[0:1]
	s_cbranch_vccnz .LBB46_11
; %bb.3:
	s_load_dword s10, s[4:5], 0x20
	v_mov_b32_e32 v1, 0
                                        ; implicit-def: $vgpr14
                                        ; implicit-def: $vgpr10
                                        ; implicit-def: $vgpr6
                                        ; implicit-def: $vgpr2
	s_waitcnt lgkmcnt(0)
	s_add_i32 s0, s10, 31
	s_ashr_i32 s1, s0, 31
	s_lshr_b32 s1, s1, 27
	s_add_i32 s0, s0, s1
	s_ashr_i32 s0, s0, 5
	v_cmp_gt_u32_e32 vcc, s0, v0
	s_mul_i32 s2, s6, s10
	s_and_saveexec_b64 s[0:1], vcc
	s_cbranch_execz .LBB46_5
; %bb.4:
	s_load_dwordx2 s[8:9], s[4:5], 0x10
	s_mov_b32 s3, 0
	s_lshl_b64 s[12:13], s[2:3], 1
	s_mov_b32 s15, 0x20000
	v_lshlrev_b32_e32 v1, 6, v0
	s_waitcnt lgkmcnt(0)
	s_add_u32 s12, s8, s12
	s_addc_u32 s3, s9, s13
	s_add_i32 s7, s10, 1
	s_lshr_b32 s8, s7, 31
	s_add_i32 s7, s7, s8
	s_and_b32 s13, s3, 0xffff
	s_lshl_b32 s3, s7, 1
	s_and_b32 s14, s3, -4
	buffer_load_dwordx4 v[14:17], v1, s[12:15], 0 offen
	buffer_load_dwordx4 v[10:13], v1, s[12:15], 16 offen
	;; [unrolled: 1-line block ×4, first 2 shown]
	s_waitcnt vmcnt(3)
	v_cvt_f32_f16_e64 v1, |v14|
	v_cvt_f32_f16_sdwa v18, |v14| dst_sel:DWORD dst_unused:UNUSED_PAD src0_sel:WORD_1
	v_cvt_f32_f16_e64 v19, |v15|
	v_cvt_f32_f16_sdwa v20, |v15| dst_sel:DWORD dst_unused:UNUSED_PAD src0_sel:WORD_1
	;; [unrolled: 2-line block ×4, first 2 shown]
	s_waitcnt vmcnt(2)
	v_cvt_f32_f16_e64 v25, |v10|
	v_cvt_f32_f16_sdwa v26, |v10| dst_sel:DWORD dst_unused:UNUSED_PAD src0_sel:WORD_1
	v_max3_f32 v1, v1, 0, v18
	v_cvt_f32_f16_e64 v27, |v11|
	v_cvt_f32_f16_sdwa v28, |v11| dst_sel:DWORD dst_unused:UNUSED_PAD src0_sel:WORD_1
	v_max3_f32 v1, v1, v19, v20
	;; [unrolled: 3-line block ×4, first 2 shown]
	s_waitcnt vmcnt(1)
	v_cvt_f32_f16_e64 v33, |v6|
	v_cvt_f32_f16_sdwa v34, |v6| dst_sel:DWORD dst_unused:UNUSED_PAD src0_sel:WORD_1
	v_max3_f32 v1, v1, v25, v26
	v_cvt_f32_f16_e64 v35, |v7|
	v_cvt_f32_f16_sdwa v36, |v7| dst_sel:DWORD dst_unused:UNUSED_PAD src0_sel:WORD_1
	v_max3_f32 v1, v1, v27, v28
	v_cvt_f32_f16_e64 v37, |v8|
	v_cvt_f32_f16_sdwa v38, |v8| dst_sel:DWORD dst_unused:UNUSED_PAD src0_sel:WORD_1
	v_max3_f32 v1, v1, v29, v30
	v_cvt_f32_f16_e64 v39, |v9|
	v_cvt_f32_f16_sdwa v40, |v9| dst_sel:DWORD dst_unused:UNUSED_PAD src0_sel:WORD_1
	v_max3_f32 v1, v1, v31, v32
	s_waitcnt vmcnt(0)
	v_cvt_f32_f16_e64 v41, |v2|
	v_cvt_f32_f16_sdwa v42, |v2| dst_sel:DWORD dst_unused:UNUSED_PAD src0_sel:WORD_1
	v_max3_f32 v1, v1, v33, v34
	v_cvt_f32_f16_e64 v43, |v3|
	v_cvt_f32_f16_sdwa v44, |v3| dst_sel:DWORD dst_unused:UNUSED_PAD src0_sel:WORD_1
	v_max3_f32 v1, v1, v35, v36
	;; [unrolled: 3-line block ×3, first 2 shown]
	v_cvt_f32_f16_e64 v47, |v5|
	v_max3_f32 v1, v1, v39, v40
	v_cvt_f32_f16_sdwa v18, |v5| dst_sel:DWORD dst_unused:UNUSED_PAD src0_sel:WORD_1
	v_max3_f32 v1, v1, v41, v42
	v_max3_f32 v1, v1, v43, v44
	;; [unrolled: 1-line block ×4, first 2 shown]
.LBB46_5:
	s_or_b64 exec, exec, s[0:1]
	s_nop 0
	v_mov_b32_dpp v18, v1 quad_perm:[1,0,3,2] row_mask:0xf bank_mask:0xf
	v_cmp_gt_f32_e64 s[0:1], v1, v18
	v_cndmask_b32_e64 v1, v18, v1, s[0:1]
	v_and_b32_e32 v19, 63, v0
	s_nop 0
	v_mov_b32_dpp v18, v1 quad_perm:[2,3,0,1] row_mask:0xf bank_mask:0xf
	v_cmp_gt_f32_e64 s[0:1], v1, v18
	v_cndmask_b32_e64 v1, v18, v1, s[0:1]
	s_nop 1
	v_mov_b32_dpp v18, v1 row_half_mirror row_mask:0xf bank_mask:0xf
	v_cmp_gt_f32_e64 s[0:1], v1, v18
	v_cndmask_b32_e64 v1, v18, v1, s[0:1]
	s_nop 1
	v_mov_b32_dpp v18, v1 row_mirror row_mask:0xf bank_mask:0xf
	v_cmp_gt_f32_e64 s[0:1], v1, v18
	v_cndmask_b32_e64 v1, v18, v1, s[0:1]
	s_nop 1
	v_mov_b32_dpp v18, v1 row_bcast:15 row_mask:0xf bank_mask:0xf
	v_cmp_gt_f32_e64 s[0:1], v1, v18
	v_cndmask_b32_e64 v1, v18, v1, s[0:1]
	v_cmp_eq_u32_e64 s[0:1], 63, v19
	s_nop 0
	v_mov_b32_dpp v18, v1 row_bcast:31 row_mask:0xf bank_mask:0xf
	s_and_saveexec_b64 s[8:9], s[0:1]
	s_cbranch_execz .LBB46_7
; %bb.6:
	v_lshrrev_b32_e32 v19, 4, v0
	v_cmp_gt_f32_e64 s[0:1], v1, v18
	v_and_b32_e32 v19, 60, v19
	v_cndmask_b32_e64 v1, v18, v1, s[0:1]
	ds_write_b32 v19, v1
.LBB46_7:
	s_or_b64 exec, exec, s[8:9]
	v_and_b32_e32 v1, 3, v0
	v_lshlrev_b32_e32 v1, 2, v1
	s_waitcnt lgkmcnt(0)
	s_barrier
	ds_read_b32 v1, v1
	s_waitcnt lgkmcnt(0)
	s_nop 0
	v_mov_b32_dpp v18, v1 quad_perm:[1,0,3,2] row_mask:0xf bank_mask:0xf
	v_cmp_gt_f32_e64 s[0:1], v1, v18
	v_cndmask_b32_e64 v1, v18, v1, s[0:1]
	s_nop 1
	v_mov_b32_dpp v18, v1 quad_perm:[2,3,0,1] row_mask:0xf bank_mask:0xf
	v_cmp_gt_f32_e64 s[0:1], v1, v18
	v_cndmask_b32_e64 v1, v18, v1, s[0:1]
	v_mul_f32_e32 v1, 0x3c010204, v1
	v_cmp_eq_u32_e64 s[0:1], 0, v0
	s_and_saveexec_b64 s[8:9], s[0:1]
	s_cbranch_execz .LBB46_9
; %bb.8:
	s_load_dwordx2 s[0:1], s[4:5], 0x8
	s_ashr_i32 s7, s6, 31
	s_lshl_b64 s[6:7], s[6:7], 2
	v_mov_b32_e32 v18, 0
	s_waitcnt lgkmcnt(0)
	s_add_u32 s0, s0, s6
	s_addc_u32 s1, s1, s7
	global_store_dword v18, v1, s[0:1]
.LBB46_9:
	s_or_b64 exec, exec, s[8:9]
	s_and_saveexec_b64 s[0:1], vcc
	s_cbranch_execz .LBB46_11
; %bb.10:
	v_rcp_f32_e32 v18, v1
	v_lshlrev_b32_e32 v28, 5, v0
	v_cvt_f32_f16_sdwa v1, v14 dst_sel:DWORD dst_unused:UNUSED_PAD src0_sel:WORD_1
	v_cvt_f32_f16_e32 v0, v14
	v_mov_b32_e32 v19, v18
	;;#ASMSTART
	v_pk_mul_f32 v[0:1], v[0:1], v[18:19]
	;;#ASMEND
	v_cvt_f32_f16_sdwa v21, v15 dst_sel:DWORD dst_unused:UNUSED_PAD src0_sel:WORD_1
	v_cvt_f32_f16_e32 v20, v15
	v_cvt_f32_f16_sdwa v15, v16 dst_sel:DWORD dst_unused:UNUSED_PAD src0_sel:WORD_1
	v_cvt_f32_f16_e32 v14, v16
	;; [unrolled: 2-line block ×7, first 2 shown]
	v_cvt_i32_f32_e32 v12, v0
	v_cvt_i32_f32_sdwa v13, v1 dst_sel:BYTE_1 dst_unused:UNUSED_PAD src0_sel:DWORD
	;;#ASMSTART
	v_pk_mul_f32 v[0:1], v[20:21], v[18:19]
	;;#ASMEND
	v_cvt_i32_f32_e32 v20, v0
	v_cvt_i32_f32_sdwa v21, v1 dst_sel:BYTE_1 dst_unused:UNUSED_PAD src0_sel:DWORD
	;;#ASMSTART
	v_pk_mul_f32 v[0:1], v[14:15], v[18:19]
	;;#ASMEND
	s_load_dwordx2 s[0:1], s[4:5], 0x0
	v_cvt_i32_f32_e32 v14, v0
	v_cvt_i32_f32_sdwa v15, v1 dst_sel:BYTE_1 dst_unused:UNUSED_PAD src0_sel:DWORD
	;;#ASMSTART
	v_pk_mul_f32 v[0:1], v[22:23], v[18:19]
	;;#ASMEND
	v_cvt_i32_f32_e32 v22, v0
	v_cvt_i32_f32_sdwa v23, v1 dst_sel:BYTE_1 dst_unused:UNUSED_PAD src0_sel:DWORD
	;;#ASMSTART
	v_pk_mul_f32 v[0:1], v[16:17], v[18:19]
	;;#ASMEND
	;; [unrolled: 5-line block ×5, first 2 shown]
	s_waitcnt lgkmcnt(0)
	s_add_u32 s0, s0, s2
	v_cvt_i32_f32_e32 v0, v0
	v_cvt_i32_f32_sdwa v1, v1 dst_sel:BYTE_1 dst_unused:UNUSED_PAD src0_sel:DWORD
	s_addc_u32 s1, s1, 0
	s_add_i32 s2, s10, 3
	v_or_b32_sdwa v10, v12, v13 dst_sel:DWORD dst_unused:UNUSED_PAD src0_sel:BYTE_0 src1_sel:DWORD
	v_or_b32_sdwa v11, v20, v21 dst_sel:WORD_1 dst_unused:UNUSED_PAD src0_sel:BYTE_0 src1_sel:DWORD
	s_ashr_i32 s4, s2, 31
	v_or_b32_sdwa v10, v10, v11 dst_sel:DWORD dst_unused:UNUSED_PAD src0_sel:WORD_0 src1_sel:DWORD
	v_or_b32_sdwa v11, v14, v15 dst_sel:DWORD dst_unused:UNUSED_PAD src0_sel:BYTE_0 src1_sel:DWORD
	v_or_b32_sdwa v12, v22, v23 dst_sel:WORD_1 dst_unused:UNUSED_PAD src0_sel:BYTE_0 src1_sel:DWORD
	s_lshr_b32 s4, s4, 30
	v_or_b32_sdwa v11, v11, v12 dst_sel:DWORD dst_unused:UNUSED_PAD src0_sel:WORD_0 src1_sel:DWORD
	v_or_b32_sdwa v12, v16, v17 dst_sel:DWORD dst_unused:UNUSED_PAD src0_sel:BYTE_0 src1_sel:DWORD
	v_or_b32_sdwa v13, v24, v25 dst_sel:WORD_1 dst_unused:UNUSED_PAD src0_sel:BYTE_0 src1_sel:DWORD
	s_add_i32 s2, s2, s4
	v_or_b32_sdwa v12, v12, v13 dst_sel:DWORD dst_unused:UNUSED_PAD src0_sel:WORD_0 src1_sel:DWORD
	v_or_b32_sdwa v13, v29, v30 dst_sel:DWORD dst_unused:UNUSED_PAD src0_sel:BYTE_0 src1_sel:DWORD
	v_or_b32_sdwa v0, v0, v1 dst_sel:WORD_1 dst_unused:UNUSED_PAD src0_sel:BYTE_0 src1_sel:DWORD
	s_mov_b32 s3, 0x20000
	s_and_b32 s1, s1, 0xffff
	s_and_b32 s2, s2, -4
	v_or_b32_sdwa v13, v13, v0 dst_sel:DWORD dst_unused:UNUSED_PAD src0_sel:WORD_0 src1_sel:DWORD
	v_cvt_f32_f16_sdwa v1, v6 dst_sel:DWORD dst_unused:UNUSED_PAD src0_sel:WORD_1
	v_cvt_f32_f16_e32 v0, v6
	buffer_store_dwordx4 v[10:13], v28, s[0:3], 0 offen
	;;#ASMSTART
	s_nop 0
	;;#ASMEND
	;;#ASMSTART
	v_pk_mul_f32 v[0:1], v[0:1], v[18:19]
	;;#ASMEND
	v_cvt_f32_f16_e32 v6, v8
	v_cvt_f32_f16_sdwa v11, v7 dst_sel:DWORD dst_unused:UNUSED_PAD src0_sel:WORD_1
	v_cvt_f32_f16_e32 v10, v7
	v_cvt_f32_f16_sdwa v7, v8 dst_sel:DWORD dst_unused:UNUSED_PAD src0_sel:WORD_1
	v_cvt_f32_f16_sdwa v13, v9 dst_sel:DWORD dst_unused:UNUSED_PAD src0_sel:WORD_1
	v_cvt_f32_f16_e32 v12, v9
	v_cvt_f32_f16_sdwa v9, v2 dst_sel:DWORD dst_unused:UNUSED_PAD src0_sel:WORD_1
	v_cvt_f32_f16_e32 v8, v2
	;; [unrolled: 2-line block ×5, first 2 shown]
	v_cvt_i32_f32_e32 v4, v0
	v_cvt_i32_f32_sdwa v5, v1 dst_sel:BYTE_1 dst_unused:UNUSED_PAD src0_sel:DWORD
	;;#ASMSTART
	v_pk_mul_f32 v[0:1], v[10:11], v[18:19]
	;;#ASMEND
	v_cvt_i32_f32_e32 v10, v0
	v_cvt_i32_f32_sdwa v11, v1 dst_sel:BYTE_1 dst_unused:UNUSED_PAD src0_sel:DWORD
	;;#ASMSTART
	v_pk_mul_f32 v[0:1], v[6:7], v[18:19]
	;;#ASMEND
	;; [unrolled: 5-line block ×7, first 2 shown]
	v_cvt_i32_f32_e32 v16, v0
	v_cvt_i32_f32_sdwa v17, v1 dst_sel:BYTE_1 dst_unused:UNUSED_PAD src0_sel:DWORD
	v_or_b32_sdwa v0, v4, v5 dst_sel:DWORD dst_unused:UNUSED_PAD src0_sel:BYTE_0 src1_sel:DWORD
	v_or_b32_sdwa v1, v10, v11 dst_sel:WORD_1 dst_unused:UNUSED_PAD src0_sel:BYTE_0 src1_sel:DWORD
	v_or_b32_sdwa v0, v0, v1 dst_sel:DWORD dst_unused:UNUSED_PAD src0_sel:WORD_0 src1_sel:DWORD
	v_or_b32_sdwa v1, v6, v7 dst_sel:DWORD dst_unused:UNUSED_PAD src0_sel:BYTE_0 src1_sel:DWORD
	v_or_b32_sdwa v2, v12, v13 dst_sel:WORD_1 dst_unused:UNUSED_PAD src0_sel:BYTE_0 src1_sel:DWORD
	v_or_b32_sdwa v1, v1, v2 dst_sel:DWORD dst_unused:UNUSED_PAD src0_sel:WORD_0 src1_sel:DWORD
	;; [unrolled: 3-line block ×4, first 2 shown]
	buffer_store_dwordx4 v[0:3], v28, s[0:3], 16 offen
	;;#ASMSTART
	s_nop 0
	;;#ASMEND
.LBB46_11:
	s_endpgm
	.section	.rodata,"a",@progbits
	.p2align	6, 0x0
	.amdhsa_kernel _ZN5aiter37dynamic_per_token_scaled_quant_kernelIDF16_aLi32EEEvPT0_PfPT_PKfiPKii
		.amdhsa_group_segment_fixed_size 16
		.amdhsa_private_segment_fixed_size 0
		.amdhsa_kernarg_size 52
		.amdhsa_user_sgpr_count 6
		.amdhsa_user_sgpr_private_segment_buffer 1
		.amdhsa_user_sgpr_dispatch_ptr 0
		.amdhsa_user_sgpr_queue_ptr 0
		.amdhsa_user_sgpr_kernarg_segment_ptr 1
		.amdhsa_user_sgpr_dispatch_id 0
		.amdhsa_user_sgpr_flat_scratch_init 0
		.amdhsa_user_sgpr_kernarg_preload_length 0
		.amdhsa_user_sgpr_kernarg_preload_offset 0
		.amdhsa_user_sgpr_private_segment_size 0
		.amdhsa_uses_dynamic_stack 0
		.amdhsa_system_sgpr_private_segment_wavefront_offset 0
		.amdhsa_system_sgpr_workgroup_id_x 1
		.amdhsa_system_sgpr_workgroup_id_y 0
		.amdhsa_system_sgpr_workgroup_id_z 0
		.amdhsa_system_sgpr_workgroup_info 0
		.amdhsa_system_vgpr_workitem_id 0
		.amdhsa_next_free_vgpr 48
		.amdhsa_next_free_sgpr 16
		.amdhsa_accum_offset 48
		.amdhsa_reserve_vcc 1
		.amdhsa_reserve_flat_scratch 0
		.amdhsa_float_round_mode_32 0
		.amdhsa_float_round_mode_16_64 0
		.amdhsa_float_denorm_mode_32 3
		.amdhsa_float_denorm_mode_16_64 3
		.amdhsa_dx10_clamp 1
		.amdhsa_ieee_mode 1
		.amdhsa_fp16_overflow 0
		.amdhsa_tg_split 0
		.amdhsa_exception_fp_ieee_invalid_op 0
		.amdhsa_exception_fp_denorm_src 0
		.amdhsa_exception_fp_ieee_div_zero 0
		.amdhsa_exception_fp_ieee_overflow 0
		.amdhsa_exception_fp_ieee_underflow 0
		.amdhsa_exception_fp_ieee_inexact 0
		.amdhsa_exception_int_div_zero 0
	.end_amdhsa_kernel
	.section	.text._ZN5aiter37dynamic_per_token_scaled_quant_kernelIDF16_aLi32EEEvPT0_PfPT_PKfiPKii,"axG",@progbits,_ZN5aiter37dynamic_per_token_scaled_quant_kernelIDF16_aLi32EEEvPT0_PfPT_PKfiPKii,comdat
.Lfunc_end46:
	.size	_ZN5aiter37dynamic_per_token_scaled_quant_kernelIDF16_aLi32EEEvPT0_PfPT_PKfiPKii, .Lfunc_end46-_ZN5aiter37dynamic_per_token_scaled_quant_kernelIDF16_aLi32EEEvPT0_PfPT_PKfiPKii
                                        ; -- End function
	.section	.AMDGPU.csdata,"",@progbits
; Kernel info:
; codeLenInByte = 1800
; NumSgprs: 20
; NumVgprs: 48
; NumAgprs: 0
; TotalNumVgprs: 48
; ScratchSize: 0
; MemoryBound: 0
; FloatMode: 240
; IeeeMode: 1
; LDSByteSize: 16 bytes/workgroup (compile time only)
; SGPRBlocks: 2
; VGPRBlocks: 5
; NumSGPRsForWavesPerEU: 20
; NumVGPRsForWavesPerEU: 48
; AccumOffset: 48
; Occupancy: 8
; WaveLimiterHint : 0
; COMPUTE_PGM_RSRC2:SCRATCH_EN: 0
; COMPUTE_PGM_RSRC2:USER_SGPR: 6
; COMPUTE_PGM_RSRC2:TRAP_HANDLER: 0
; COMPUTE_PGM_RSRC2:TGID_X_EN: 1
; COMPUTE_PGM_RSRC2:TGID_Y_EN: 0
; COMPUTE_PGM_RSRC2:TGID_Z_EN: 0
; COMPUTE_PGM_RSRC2:TIDIG_COMP_CNT: 0
; COMPUTE_PGM_RSRC3_GFX90A:ACCUM_OFFSET: 11
; COMPUTE_PGM_RSRC3_GFX90A:TG_SPLIT: 0
	.section	.text._ZN5aiter37dynamic_per_token_scaled_quant_kernelItaLi32EEEvPT0_PfPT_PKfiPKii,"axG",@progbits,_ZN5aiter37dynamic_per_token_scaled_quant_kernelItaLi32EEEvPT0_PfPT_PKfiPKii,comdat
	.protected	_ZN5aiter37dynamic_per_token_scaled_quant_kernelItaLi32EEEvPT0_PfPT_PKfiPKii ; -- Begin function _ZN5aiter37dynamic_per_token_scaled_quant_kernelItaLi32EEEvPT0_PfPT_PKfiPKii
	.globl	_ZN5aiter37dynamic_per_token_scaled_quant_kernelItaLi32EEEvPT0_PfPT_PKfiPKii
	.p2align	8
	.type	_ZN5aiter37dynamic_per_token_scaled_quant_kernelItaLi32EEEvPT0_PfPT_PKfiPKii,@function
_ZN5aiter37dynamic_per_token_scaled_quant_kernelItaLi32EEEvPT0_PfPT_PKfiPKii: ; @_ZN5aiter37dynamic_per_token_scaled_quant_kernelItaLi32EEEvPT0_PfPT_PKfiPKii
; %bb.0:
	s_load_dwordx2 s[2:3], s[4:5], 0x28
	s_waitcnt lgkmcnt(0)
	s_cmp_eq_u64 s[2:3], 0
	s_cselect_b64 s[0:1], -1, 0
	s_and_b64 vcc, exec, s[0:1]
	s_cbranch_vccnz .LBB47_2
; %bb.1:
	s_load_dword s0, s[4:5], 0x30
	s_load_dword s1, s[2:3], 0x0
	s_waitcnt lgkmcnt(0)
	s_mul_i32 s1, s1, s0
	s_cmp_lt_i32 s6, s1
	s_cselect_b64 s[0:1], -1, 0
.LBB47_2:
	s_andn2_b64 vcc, exec, s[0:1]
	s_cbranch_vccnz .LBB47_11
; %bb.3:
	s_load_dword s10, s[4:5], 0x20
	v_mov_b32_e32 v1, 0
                                        ; implicit-def: $vgpr14
                                        ; implicit-def: $vgpr10
                                        ; implicit-def: $vgpr6
                                        ; implicit-def: $vgpr2
	s_waitcnt lgkmcnt(0)
	s_add_i32 s0, s10, 31
	s_ashr_i32 s1, s0, 31
	s_lshr_b32 s1, s1, 27
	s_add_i32 s0, s0, s1
	s_ashr_i32 s0, s0, 5
	v_cmp_gt_u32_e32 vcc, s0, v0
	s_mul_i32 s2, s6, s10
	s_and_saveexec_b64 s[0:1], vcc
	s_cbranch_execz .LBB47_5
; %bb.4:
	s_load_dwordx2 s[8:9], s[4:5], 0x10
	s_mov_b32 s3, 0
	s_lshl_b64 s[12:13], s[2:3], 1
	s_mov_b32 s15, 0x20000
	v_lshlrev_b32_e32 v1, 6, v0
	s_waitcnt lgkmcnt(0)
	s_add_u32 s12, s8, s12
	s_addc_u32 s3, s9, s13
	s_add_i32 s7, s10, 1
	s_lshr_b32 s8, s7, 31
	s_add_i32 s7, s7, s8
	s_and_b32 s13, s3, 0xffff
	s_lshl_b32 s3, s7, 1
	s_and_b32 s14, s3, -4
	buffer_load_dwordx4 v[14:17], v1, s[12:15], 0 offen
	buffer_load_dwordx4 v[10:13], v1, s[12:15], 16 offen
	;; [unrolled: 1-line block ×4, first 2 shown]
	s_waitcnt vmcnt(3)
	v_cvt_f32_u32_sdwa v1, v14 dst_sel:DWORD dst_unused:UNUSED_PAD src0_sel:WORD_0
	v_cvt_f32_u32_sdwa v18, v14 dst_sel:DWORD dst_unused:UNUSED_PAD src0_sel:WORD_1
	v_cvt_f32_u32_sdwa v19, v15 dst_sel:DWORD dst_unused:UNUSED_PAD src0_sel:WORD_0
	v_cvt_f32_u32_sdwa v20, v15 dst_sel:DWORD dst_unused:UNUSED_PAD src0_sel:WORD_1
	;; [unrolled: 2-line block ×4, first 2 shown]
	s_waitcnt vmcnt(2)
	v_cvt_f32_u32_sdwa v25, v10 dst_sel:DWORD dst_unused:UNUSED_PAD src0_sel:WORD_0
	v_cvt_f32_u32_sdwa v26, v10 dst_sel:DWORD dst_unused:UNUSED_PAD src0_sel:WORD_1
	v_max3_f32 v1, v1, 0, v18
	v_cvt_f32_u32_sdwa v27, v11 dst_sel:DWORD dst_unused:UNUSED_PAD src0_sel:WORD_0
	v_cvt_f32_u32_sdwa v28, v11 dst_sel:DWORD dst_unused:UNUSED_PAD src0_sel:WORD_1
	v_max3_f32 v1, v1, v19, v20
	;; [unrolled: 3-line block ×4, first 2 shown]
	s_waitcnt vmcnt(1)
	v_cvt_f32_u32_sdwa v33, v6 dst_sel:DWORD dst_unused:UNUSED_PAD src0_sel:WORD_0
	v_cvt_f32_u32_sdwa v34, v6 dst_sel:DWORD dst_unused:UNUSED_PAD src0_sel:WORD_1
	v_max3_f32 v1, v1, v25, v26
	v_cvt_f32_u32_sdwa v35, v7 dst_sel:DWORD dst_unused:UNUSED_PAD src0_sel:WORD_0
	v_cvt_f32_u32_sdwa v36, v7 dst_sel:DWORD dst_unused:UNUSED_PAD src0_sel:WORD_1
	v_max3_f32 v1, v1, v27, v28
	;; [unrolled: 3-line block ×4, first 2 shown]
	s_waitcnt vmcnt(0)
	v_cvt_f32_u32_sdwa v41, v2 dst_sel:DWORD dst_unused:UNUSED_PAD src0_sel:WORD_0
	v_cvt_f32_u32_sdwa v42, v2 dst_sel:DWORD dst_unused:UNUSED_PAD src0_sel:WORD_1
	v_max3_f32 v1, v1, v33, v34
	v_cvt_f32_u32_sdwa v43, v3 dst_sel:DWORD dst_unused:UNUSED_PAD src0_sel:WORD_0
	v_cvt_f32_u32_sdwa v44, v3 dst_sel:DWORD dst_unused:UNUSED_PAD src0_sel:WORD_1
	v_max3_f32 v1, v1, v35, v36
	;; [unrolled: 3-line block ×3, first 2 shown]
	v_cvt_f32_u32_sdwa v47, v5 dst_sel:DWORD dst_unused:UNUSED_PAD src0_sel:WORD_0
	v_max3_f32 v1, v1, v39, v40
	v_cvt_f32_u32_sdwa v18, v5 dst_sel:DWORD dst_unused:UNUSED_PAD src0_sel:WORD_1
	v_max3_f32 v1, v1, v41, v42
	v_max3_f32 v1, v1, v43, v44
	;; [unrolled: 1-line block ×4, first 2 shown]
.LBB47_5:
	s_or_b64 exec, exec, s[0:1]
	s_nop 0
	v_mov_b32_dpp v18, v1 quad_perm:[1,0,3,2] row_mask:0xf bank_mask:0xf
	v_cmp_gt_f32_e64 s[0:1], v1, v18
	v_cndmask_b32_e64 v1, v18, v1, s[0:1]
	v_and_b32_e32 v19, 63, v0
	s_nop 0
	v_mov_b32_dpp v18, v1 quad_perm:[2,3,0,1] row_mask:0xf bank_mask:0xf
	v_cmp_gt_f32_e64 s[0:1], v1, v18
	v_cndmask_b32_e64 v1, v18, v1, s[0:1]
	s_nop 1
	v_mov_b32_dpp v18, v1 row_half_mirror row_mask:0xf bank_mask:0xf
	v_cmp_gt_f32_e64 s[0:1], v1, v18
	v_cndmask_b32_e64 v1, v18, v1, s[0:1]
	s_nop 1
	v_mov_b32_dpp v18, v1 row_mirror row_mask:0xf bank_mask:0xf
	v_cmp_gt_f32_e64 s[0:1], v1, v18
	v_cndmask_b32_e64 v1, v18, v1, s[0:1]
	s_nop 1
	v_mov_b32_dpp v18, v1 row_bcast:15 row_mask:0xf bank_mask:0xf
	v_cmp_gt_f32_e64 s[0:1], v1, v18
	v_cndmask_b32_e64 v1, v18, v1, s[0:1]
	v_cmp_eq_u32_e64 s[0:1], 63, v19
	s_nop 0
	v_mov_b32_dpp v18, v1 row_bcast:31 row_mask:0xf bank_mask:0xf
	s_and_saveexec_b64 s[8:9], s[0:1]
	s_cbranch_execz .LBB47_7
; %bb.6:
	v_lshrrev_b32_e32 v19, 4, v0
	v_cmp_gt_f32_e64 s[0:1], v1, v18
	v_and_b32_e32 v19, 60, v19
	v_cndmask_b32_e64 v1, v18, v1, s[0:1]
	ds_write_b32 v19, v1
.LBB47_7:
	s_or_b64 exec, exec, s[8:9]
	v_and_b32_e32 v1, 3, v0
	v_lshlrev_b32_e32 v1, 2, v1
	s_waitcnt lgkmcnt(0)
	s_barrier
	ds_read_b32 v1, v1
	s_waitcnt lgkmcnt(0)
	s_nop 0
	v_mov_b32_dpp v18, v1 quad_perm:[1,0,3,2] row_mask:0xf bank_mask:0xf
	v_cmp_gt_f32_e64 s[0:1], v1, v18
	v_cndmask_b32_e64 v1, v18, v1, s[0:1]
	s_nop 1
	v_mov_b32_dpp v18, v1 quad_perm:[2,3,0,1] row_mask:0xf bank_mask:0xf
	v_cmp_gt_f32_e64 s[0:1], v1, v18
	v_cndmask_b32_e64 v1, v18, v1, s[0:1]
	v_mul_f32_e32 v1, 0x3c010204, v1
	v_cmp_eq_u32_e64 s[0:1], 0, v0
	s_and_saveexec_b64 s[8:9], s[0:1]
	s_cbranch_execz .LBB47_9
; %bb.8:
	s_load_dwordx2 s[0:1], s[4:5], 0x8
	s_ashr_i32 s7, s6, 31
	s_lshl_b64 s[6:7], s[6:7], 2
	v_mov_b32_e32 v18, 0
	s_waitcnt lgkmcnt(0)
	s_add_u32 s0, s0, s6
	s_addc_u32 s1, s1, s7
	global_store_dword v18, v1, s[0:1]
.LBB47_9:
	s_or_b64 exec, exec, s[8:9]
	s_and_saveexec_b64 s[0:1], vcc
	s_cbranch_execz .LBB47_11
; %bb.10:
	v_rcp_f32_e32 v18, v1
	v_lshlrev_b32_e32 v28, 5, v0
	v_cvt_f32_u32_sdwa v1, v14 dst_sel:DWORD dst_unused:UNUSED_PAD src0_sel:WORD_1
	v_cvt_f32_u32_sdwa v0, v14 dst_sel:DWORD dst_unused:UNUSED_PAD src0_sel:WORD_0
	v_mov_b32_e32 v19, v18
	;;#ASMSTART
	v_pk_mul_f32 v[0:1], v[0:1], v[18:19]
	;;#ASMEND
	v_cvt_f32_u32_sdwa v21, v15 dst_sel:DWORD dst_unused:UNUSED_PAD src0_sel:WORD_1
	v_cvt_f32_u32_sdwa v20, v15 dst_sel:DWORD dst_unused:UNUSED_PAD src0_sel:WORD_0
	v_cvt_f32_u32_sdwa v15, v16 dst_sel:DWORD dst_unused:UNUSED_PAD src0_sel:WORD_1
	v_cvt_f32_u32_sdwa v14, v16 dst_sel:DWORD dst_unused:UNUSED_PAD src0_sel:WORD_0
	;; [unrolled: 2-line block ×7, first 2 shown]
	v_cvt_i32_f32_e32 v12, v0
	v_cvt_i32_f32_sdwa v13, v1 dst_sel:BYTE_1 dst_unused:UNUSED_PAD src0_sel:DWORD
	;;#ASMSTART
	v_pk_mul_f32 v[0:1], v[20:21], v[18:19]
	;;#ASMEND
	v_cvt_i32_f32_e32 v20, v0
	v_cvt_i32_f32_sdwa v21, v1 dst_sel:BYTE_1 dst_unused:UNUSED_PAD src0_sel:DWORD
	;;#ASMSTART
	v_pk_mul_f32 v[0:1], v[14:15], v[18:19]
	;;#ASMEND
	s_load_dwordx2 s[0:1], s[4:5], 0x0
	v_cvt_i32_f32_e32 v14, v0
	v_cvt_i32_f32_sdwa v15, v1 dst_sel:BYTE_1 dst_unused:UNUSED_PAD src0_sel:DWORD
	;;#ASMSTART
	v_pk_mul_f32 v[0:1], v[22:23], v[18:19]
	;;#ASMEND
	v_cvt_i32_f32_e32 v22, v0
	v_cvt_i32_f32_sdwa v23, v1 dst_sel:BYTE_1 dst_unused:UNUSED_PAD src0_sel:DWORD
	;;#ASMSTART
	v_pk_mul_f32 v[0:1], v[16:17], v[18:19]
	;;#ASMEND
	;; [unrolled: 5-line block ×5, first 2 shown]
	s_waitcnt lgkmcnt(0)
	s_add_u32 s0, s0, s2
	v_cvt_i32_f32_e32 v0, v0
	v_cvt_i32_f32_sdwa v1, v1 dst_sel:BYTE_1 dst_unused:UNUSED_PAD src0_sel:DWORD
	s_addc_u32 s1, s1, 0
	s_add_i32 s2, s10, 3
	v_or_b32_sdwa v10, v12, v13 dst_sel:DWORD dst_unused:UNUSED_PAD src0_sel:BYTE_0 src1_sel:DWORD
	v_or_b32_sdwa v11, v20, v21 dst_sel:WORD_1 dst_unused:UNUSED_PAD src0_sel:BYTE_0 src1_sel:DWORD
	s_ashr_i32 s4, s2, 31
	v_or_b32_sdwa v10, v10, v11 dst_sel:DWORD dst_unused:UNUSED_PAD src0_sel:WORD_0 src1_sel:DWORD
	v_or_b32_sdwa v11, v14, v15 dst_sel:DWORD dst_unused:UNUSED_PAD src0_sel:BYTE_0 src1_sel:DWORD
	v_or_b32_sdwa v12, v22, v23 dst_sel:WORD_1 dst_unused:UNUSED_PAD src0_sel:BYTE_0 src1_sel:DWORD
	s_lshr_b32 s4, s4, 30
	v_or_b32_sdwa v11, v11, v12 dst_sel:DWORD dst_unused:UNUSED_PAD src0_sel:WORD_0 src1_sel:DWORD
	v_or_b32_sdwa v12, v16, v17 dst_sel:DWORD dst_unused:UNUSED_PAD src0_sel:BYTE_0 src1_sel:DWORD
	v_or_b32_sdwa v13, v24, v25 dst_sel:WORD_1 dst_unused:UNUSED_PAD src0_sel:BYTE_0 src1_sel:DWORD
	s_add_i32 s2, s2, s4
	v_or_b32_sdwa v12, v12, v13 dst_sel:DWORD dst_unused:UNUSED_PAD src0_sel:WORD_0 src1_sel:DWORD
	v_or_b32_sdwa v13, v29, v30 dst_sel:DWORD dst_unused:UNUSED_PAD src0_sel:BYTE_0 src1_sel:DWORD
	v_or_b32_sdwa v0, v0, v1 dst_sel:WORD_1 dst_unused:UNUSED_PAD src0_sel:BYTE_0 src1_sel:DWORD
	s_mov_b32 s3, 0x20000
	s_and_b32 s1, s1, 0xffff
	s_and_b32 s2, s2, -4
	v_or_b32_sdwa v13, v13, v0 dst_sel:DWORD dst_unused:UNUSED_PAD src0_sel:WORD_0 src1_sel:DWORD
	v_cvt_f32_u32_sdwa v1, v6 dst_sel:DWORD dst_unused:UNUSED_PAD src0_sel:WORD_1
	v_cvt_f32_u32_sdwa v0, v6 dst_sel:DWORD dst_unused:UNUSED_PAD src0_sel:WORD_0
	buffer_store_dwordx4 v[10:13], v28, s[0:3], 0 offen
	;;#ASMSTART
	s_nop 0
	;;#ASMEND
	;;#ASMSTART
	v_pk_mul_f32 v[0:1], v[0:1], v[18:19]
	;;#ASMEND
	v_cvt_f32_u32_sdwa v6, v8 dst_sel:DWORD dst_unused:UNUSED_PAD src0_sel:WORD_0
	v_cvt_f32_u32_sdwa v11, v7 dst_sel:DWORD dst_unused:UNUSED_PAD src0_sel:WORD_1
	v_cvt_f32_u32_sdwa v10, v7 dst_sel:DWORD dst_unused:UNUSED_PAD src0_sel:WORD_0
	v_cvt_f32_u32_sdwa v7, v8 dst_sel:DWORD dst_unused:UNUSED_PAD src0_sel:WORD_1
	v_cvt_f32_u32_sdwa v13, v9 dst_sel:DWORD dst_unused:UNUSED_PAD src0_sel:WORD_1
	v_cvt_f32_u32_sdwa v12, v9 dst_sel:DWORD dst_unused:UNUSED_PAD src0_sel:WORD_0
	v_cvt_f32_u32_sdwa v9, v2 dst_sel:DWORD dst_unused:UNUSED_PAD src0_sel:WORD_1
	v_cvt_f32_u32_sdwa v8, v2 dst_sel:DWORD dst_unused:UNUSED_PAD src0_sel:WORD_0
	;; [unrolled: 2-line block ×5, first 2 shown]
	v_cvt_i32_f32_e32 v4, v0
	v_cvt_i32_f32_sdwa v5, v1 dst_sel:BYTE_1 dst_unused:UNUSED_PAD src0_sel:DWORD
	;;#ASMSTART
	v_pk_mul_f32 v[0:1], v[10:11], v[18:19]
	;;#ASMEND
	v_cvt_i32_f32_e32 v10, v0
	v_cvt_i32_f32_sdwa v11, v1 dst_sel:BYTE_1 dst_unused:UNUSED_PAD src0_sel:DWORD
	;;#ASMSTART
	v_pk_mul_f32 v[0:1], v[6:7], v[18:19]
	;;#ASMEND
	v_cvt_i32_f32_e32 v6, v0
	v_cvt_i32_f32_sdwa v7, v1 dst_sel:BYTE_1 dst_unused:UNUSED_PAD src0_sel:DWORD
	;;#ASMSTART
	v_pk_mul_f32 v[0:1], v[12:13], v[18:19]
	;;#ASMEND
	v_cvt_i32_f32_e32 v12, v0
	v_cvt_i32_f32_sdwa v13, v1 dst_sel:BYTE_1 dst_unused:UNUSED_PAD src0_sel:DWORD
	;;#ASMSTART
	v_pk_mul_f32 v[0:1], v[8:9], v[18:19]
	;;#ASMEND
	v_cvt_i32_f32_e32 v8, v0
	v_cvt_i32_f32_sdwa v9, v1 dst_sel:BYTE_1 dst_unused:UNUSED_PAD src0_sel:DWORD
	;;#ASMSTART
	v_pk_mul_f32 v[0:1], v[14:15], v[18:19]
	;;#ASMEND
	v_cvt_i32_f32_e32 v14, v0
	v_cvt_i32_f32_sdwa v15, v1 dst_sel:BYTE_1 dst_unused:UNUSED_PAD src0_sel:DWORD
	;;#ASMSTART
	v_pk_mul_f32 v[0:1], v[2:3], v[18:19]
	;;#ASMEND
	v_cvt_i32_f32_e32 v3, v0
	v_cvt_i32_f32_sdwa v20, v1 dst_sel:BYTE_1 dst_unused:UNUSED_PAD src0_sel:DWORD
	;;#ASMSTART
	v_pk_mul_f32 v[0:1], v[16:17], v[18:19]
	;;#ASMEND
	v_cvt_i32_f32_e32 v16, v0
	v_cvt_i32_f32_sdwa v17, v1 dst_sel:BYTE_1 dst_unused:UNUSED_PAD src0_sel:DWORD
	v_or_b32_sdwa v0, v4, v5 dst_sel:DWORD dst_unused:UNUSED_PAD src0_sel:BYTE_0 src1_sel:DWORD
	v_or_b32_sdwa v1, v10, v11 dst_sel:WORD_1 dst_unused:UNUSED_PAD src0_sel:BYTE_0 src1_sel:DWORD
	v_or_b32_sdwa v0, v0, v1 dst_sel:DWORD dst_unused:UNUSED_PAD src0_sel:WORD_0 src1_sel:DWORD
	v_or_b32_sdwa v1, v6, v7 dst_sel:DWORD dst_unused:UNUSED_PAD src0_sel:BYTE_0 src1_sel:DWORD
	v_or_b32_sdwa v2, v12, v13 dst_sel:WORD_1 dst_unused:UNUSED_PAD src0_sel:BYTE_0 src1_sel:DWORD
	v_or_b32_sdwa v1, v1, v2 dst_sel:DWORD dst_unused:UNUSED_PAD src0_sel:WORD_0 src1_sel:DWORD
	;; [unrolled: 3-line block ×4, first 2 shown]
	buffer_store_dwordx4 v[0:3], v28, s[0:3], 16 offen
	;;#ASMSTART
	s_nop 0
	;;#ASMEND
.LBB47_11:
	s_endpgm
	.section	.rodata,"a",@progbits
	.p2align	6, 0x0
	.amdhsa_kernel _ZN5aiter37dynamic_per_token_scaled_quant_kernelItaLi32EEEvPT0_PfPT_PKfiPKii
		.amdhsa_group_segment_fixed_size 16
		.amdhsa_private_segment_fixed_size 0
		.amdhsa_kernarg_size 52
		.amdhsa_user_sgpr_count 6
		.amdhsa_user_sgpr_private_segment_buffer 1
		.amdhsa_user_sgpr_dispatch_ptr 0
		.amdhsa_user_sgpr_queue_ptr 0
		.amdhsa_user_sgpr_kernarg_segment_ptr 1
		.amdhsa_user_sgpr_dispatch_id 0
		.amdhsa_user_sgpr_flat_scratch_init 0
		.amdhsa_user_sgpr_kernarg_preload_length 0
		.amdhsa_user_sgpr_kernarg_preload_offset 0
		.amdhsa_user_sgpr_private_segment_size 0
		.amdhsa_uses_dynamic_stack 0
		.amdhsa_system_sgpr_private_segment_wavefront_offset 0
		.amdhsa_system_sgpr_workgroup_id_x 1
		.amdhsa_system_sgpr_workgroup_id_y 0
		.amdhsa_system_sgpr_workgroup_id_z 0
		.amdhsa_system_sgpr_workgroup_info 0
		.amdhsa_system_vgpr_workitem_id 0
		.amdhsa_next_free_vgpr 48
		.amdhsa_next_free_sgpr 16
		.amdhsa_accum_offset 48
		.amdhsa_reserve_vcc 1
		.amdhsa_reserve_flat_scratch 0
		.amdhsa_float_round_mode_32 0
		.amdhsa_float_round_mode_16_64 0
		.amdhsa_float_denorm_mode_32 3
		.amdhsa_float_denorm_mode_16_64 3
		.amdhsa_dx10_clamp 1
		.amdhsa_ieee_mode 1
		.amdhsa_fp16_overflow 0
		.amdhsa_tg_split 0
		.amdhsa_exception_fp_ieee_invalid_op 0
		.amdhsa_exception_fp_denorm_src 0
		.amdhsa_exception_fp_ieee_div_zero 0
		.amdhsa_exception_fp_ieee_overflow 0
		.amdhsa_exception_fp_ieee_underflow 0
		.amdhsa_exception_fp_ieee_inexact 0
		.amdhsa_exception_int_div_zero 0
	.end_amdhsa_kernel
	.section	.text._ZN5aiter37dynamic_per_token_scaled_quant_kernelItaLi32EEEvPT0_PfPT_PKfiPKii,"axG",@progbits,_ZN5aiter37dynamic_per_token_scaled_quant_kernelItaLi32EEEvPT0_PfPT_PKfiPKii,comdat
.Lfunc_end47:
	.size	_ZN5aiter37dynamic_per_token_scaled_quant_kernelItaLi32EEEvPT0_PfPT_PKfiPKii, .Lfunc_end47-_ZN5aiter37dynamic_per_token_scaled_quant_kernelItaLi32EEEvPT0_PfPT_PKfiPKii
                                        ; -- End function
	.section	.AMDGPU.csdata,"",@progbits
; Kernel info:
; codeLenInByte = 1864
; NumSgprs: 20
; NumVgprs: 48
; NumAgprs: 0
; TotalNumVgprs: 48
; ScratchSize: 0
; MemoryBound: 0
; FloatMode: 240
; IeeeMode: 1
; LDSByteSize: 16 bytes/workgroup (compile time only)
; SGPRBlocks: 2
; VGPRBlocks: 5
; NumSGPRsForWavesPerEU: 20
; NumVGPRsForWavesPerEU: 48
; AccumOffset: 48
; Occupancy: 8
; WaveLimiterHint : 0
; COMPUTE_PGM_RSRC2:SCRATCH_EN: 0
; COMPUTE_PGM_RSRC2:USER_SGPR: 6
; COMPUTE_PGM_RSRC2:TRAP_HANDLER: 0
; COMPUTE_PGM_RSRC2:TGID_X_EN: 1
; COMPUTE_PGM_RSRC2:TGID_Y_EN: 0
; COMPUTE_PGM_RSRC2:TGID_Z_EN: 0
; COMPUTE_PGM_RSRC2:TIDIG_COMP_CNT: 0
; COMPUTE_PGM_RSRC3_GFX90A:ACCUM_OFFSET: 11
; COMPUTE_PGM_RSRC3_GFX90A:TG_SPLIT: 0
	.section	.text._ZN5aiter37dynamic_per_token_scaled_quant_kernelIDF16_aLi0EEEvPT0_PfPT_PKfiPKii,"axG",@progbits,_ZN5aiter37dynamic_per_token_scaled_quant_kernelIDF16_aLi0EEEvPT0_PfPT_PKfiPKii,comdat
	.protected	_ZN5aiter37dynamic_per_token_scaled_quant_kernelIDF16_aLi0EEEvPT0_PfPT_PKfiPKii ; -- Begin function _ZN5aiter37dynamic_per_token_scaled_quant_kernelIDF16_aLi0EEEvPT0_PfPT_PKfiPKii
	.globl	_ZN5aiter37dynamic_per_token_scaled_quant_kernelIDF16_aLi0EEEvPT0_PfPT_PKfiPKii
	.p2align	8
	.type	_ZN5aiter37dynamic_per_token_scaled_quant_kernelIDF16_aLi0EEEvPT0_PfPT_PKfiPKii,@function
_ZN5aiter37dynamic_per_token_scaled_quant_kernelIDF16_aLi0EEEvPT0_PfPT_PKfiPKii: ; @_ZN5aiter37dynamic_per_token_scaled_quant_kernelIDF16_aLi0EEEvPT0_PfPT_PKfiPKii
; %bb.0:
	s_load_dwordx2 s[2:3], s[4:5], 0x28
	s_waitcnt lgkmcnt(0)
	s_cmp_eq_u64 s[2:3], 0
	s_cselect_b64 s[0:1], -1, 0
	s_and_b64 vcc, exec, s[0:1]
	s_cbranch_vccnz .LBB48_2
; %bb.1:
	s_load_dword s0, s[4:5], 0x30
	s_load_dword s1, s[2:3], 0x0
	s_waitcnt lgkmcnt(0)
	s_mul_i32 s1, s1, s0
	s_cmp_lt_i32 s6, s1
	s_cselect_b64 s[0:1], -1, 0
.LBB48_2:
	s_andn2_b64 vcc, exec, s[0:1]
	s_cbranch_vccnz .LBB48_23
; %bb.3:
	s_load_dword s22, s[4:5], 0x20
	s_load_dwordx2 s[0:1], s[4:5], 0x10
	s_mov_b32 s19, 0
	v_lshlrev_b32_e32 v1, 5, v0
                                        ; implicit-def: $vgpr2_vgpr3_vgpr4_vgpr5_vgpr6_vgpr7_vgpr8_vgpr9
	s_waitcnt lgkmcnt(0)
	s_mul_i32 s18, s6, s22
	s_lshl_b64 s[2:3], s[18:19], 1
	s_add_u32 s8, s0, s2
	s_addc_u32 s0, s1, s3
	s_add_i32 s1, s22, 1
	s_lshr_b32 s2, s1, 31
	s_add_i32 s1, s1, s2
	s_and_b32 s9, s0, 0xffff
	s_lshl_b32 s0, s1, 1
	s_and_b32 s10, s0, -4
	s_add_i32 s0, s22, 15
	s_ashr_i32 s1, s0, 31
	s_lshr_b32 s1, s1, 28
	s_add_i32 s0, s0, s1
	s_ashr_i32 s16, s0, 4
	v_cmp_gt_u32_e64 s[0:1], s16, v0
	s_and_saveexec_b64 s[2:3], s[0:1]
	s_cbranch_execz .LBB48_5
; %bb.4:
	s_mov_b32 s11, 0x20000
	buffer_load_dwordx4 v[2:5], v1, s[8:11], 0 offen
	buffer_load_dwordx4 v[6:9], v1, s[8:11], 16 offen
.LBB48_5:
	s_or_b64 exec, exec, s[2:3]
	s_load_dwordx4 s[12:15], s[4:5], 0x0
	v_add_u32_e32 v18, 0x100, v0
	v_mov_b32_e32 v19, 0
	s_ashr_i32 s17, s16, 31
	v_cmp_gt_u32_e64 s[2:3], s16, v18
	v_pk_mov_b32 v[20:21], v[18:19], v[18:19] op_sel:[0,1]
	v_mov_b32_e32 v22, v19
	s_and_saveexec_b64 s[4:5], s[2:3]
	s_cbranch_execz .LBB48_9
; %bb.6:
	v_mov_b32_e32 v10, 0x2000
	v_lshl_add_u32 v23, v0, 5, v10
	s_mov_b64 s[20:21], 0
	v_mov_b32_e32 v22, 0
	s_mov_b32 s11, 0x20000
	v_pk_mov_b32 v[20:21], v[18:19], v[18:19] op_sel:[0,1]
.LBB48_7:                               ; =>This Inner Loop Header: Depth=1
	buffer_load_dwordx4 v[10:13], v23, s[8:11], 0 offen
	buffer_load_dwordx4 v[14:17], v23, s[8:11], 16 offen
	s_waitcnt vmcnt(3)
	v_cvt_f32_f16_e64 v24, |v2|
	v_cvt_f32_f16_sdwa v2, |v2| dst_sel:DWORD dst_unused:UNUSED_PAD src0_sel:WORD_1
	v_cvt_f32_f16_e64 v25, |v3|
	v_cvt_f32_f16_sdwa v3, |v3| dst_sel:DWORD dst_unused:UNUSED_PAD src0_sel:WORD_1
	;; [unrolled: 2-line block ×4, first 2 shown]
	s_waitcnt vmcnt(2)
	v_cvt_f32_f16_e64 v28, |v6|
	v_cvt_f32_f16_sdwa v6, |v6| dst_sel:DWORD dst_unused:UNUSED_PAD src0_sel:WORD_1
	v_max3_f32 v2, v22, v24, v2
	v_cvt_f32_f16_e64 v29, |v7|
	v_cvt_f32_f16_sdwa v7, |v7| dst_sel:DWORD dst_unused:UNUSED_PAD src0_sel:WORD_1
	v_max3_f32 v2, v2, v25, v3
	;; [unrolled: 3-line block ×4, first 2 shown]
	v_max3_f32 v2, v2, v28, v6
	v_add_co_u32_e32 v20, vcc, 0x100, v20
	v_max3_f32 v2, v2, v29, v7
	v_addc_co_u32_e32 v21, vcc, 0, v21, vcc
	v_max3_f32 v2, v2, v30, v8
	v_cmp_le_u64_e32 vcc, s[16:17], v[20:21]
	v_max3_f32 v22, v2, v31, v9
	v_add_u32_e32 v23, 0x2000, v23
	s_or_b64 s[20:21], vcc, s[20:21]
	s_waitcnt vmcnt(0)
	v_pk_mov_b32 v[2:3], v[10:11], v[10:11] op_sel:[0,1]
	v_pk_mov_b32 v[4:5], v[12:13], v[12:13] op_sel:[0,1]
	;; [unrolled: 1-line block ×4, first 2 shown]
	s_andn2_b64 exec, exec, s[20:21]
	s_cbranch_execnz .LBB48_7
; %bb.8:
	s_or_b64 exec, exec, s[20:21]
	v_pk_mov_b32 v[2:3], v[10:11], v[10:11] op_sel:[0,1]
	v_pk_mov_b32 v[4:5], v[12:13], v[12:13] op_sel:[0,1]
	;; [unrolled: 1-line block ×4, first 2 shown]
.LBB48_9:
	s_or_b64 exec, exec, s[4:5]
	v_add_co_u32_e32 v10, vcc, 0xffffff00, v20
	v_addc_co_u32_e32 v11, vcc, -1, v21, vcc
	v_cmp_gt_u64_e32 vcc, s[16:17], v[10:11]
	s_and_saveexec_b64 s[4:5], vcc
	s_cbranch_execz .LBB48_11
; %bb.10:
	s_waitcnt vmcnt(1)
	v_cvt_f32_f16_e64 v10, |v2|
	v_cvt_f32_f16_sdwa v2, |v2| dst_sel:DWORD dst_unused:UNUSED_PAD src0_sel:WORD_1
	v_cvt_f32_f16_e64 v11, |v3|
	v_cvt_f32_f16_sdwa v3, |v3| dst_sel:DWORD dst_unused:UNUSED_PAD src0_sel:WORD_1
	v_cvt_f32_f16_e64 v12, |v4|
	v_cvt_f32_f16_sdwa v4, |v4| dst_sel:DWORD dst_unused:UNUSED_PAD src0_sel:WORD_1
	v_cvt_f32_f16_e64 v13, |v5|
	v_cvt_f32_f16_sdwa v5, |v5| dst_sel:DWORD dst_unused:UNUSED_PAD src0_sel:WORD_1
	v_max3_f32 v2, v22, v10, v2
	v_max3_f32 v2, v2, v11, v3
	;; [unrolled: 1-line block ×3, first 2 shown]
	s_waitcnt vmcnt(0)
	v_cvt_f32_f16_e64 v3, |v6|
	v_cvt_f32_f16_sdwa v4, |v6| dst_sel:DWORD dst_unused:UNUSED_PAD src0_sel:WORD_1
	v_max3_f32 v2, v2, v13, v5
	v_cvt_f32_f16_e64 v5, |v7|
	v_cvt_f32_f16_sdwa v6, |v7| dst_sel:DWORD dst_unused:UNUSED_PAD src0_sel:WORD_1
	v_cvt_f32_f16_e64 v7, |v8|
	v_cvt_f32_f16_sdwa v8, |v8| dst_sel:DWORD dst_unused:UNUSED_PAD src0_sel:WORD_1
	;; [unrolled: 2-line block ×3, first 2 shown]
	v_max3_f32 v2, v2, v3, v4
	v_max3_f32 v2, v2, v5, v6
	;; [unrolled: 1-line block ×4, first 2 shown]
.LBB48_11:
	s_or_b64 exec, exec, s[4:5]
	s_waitcnt vmcnt(1)
	v_mov_b32_dpp v2, v22 quad_perm:[1,0,3,2] row_mask:0xf bank_mask:0xf
	v_cmp_gt_f32_e32 vcc, v22, v2
	v_cndmask_b32_e32 v2, v2, v22, vcc
	v_and_b32_e32 v4, 63, v0
	s_nop 0
	v_mov_b32_dpp v3, v2 quad_perm:[2,3,0,1] row_mask:0xf bank_mask:0xf
	v_cmp_gt_f32_e32 vcc, v2, v3
	v_cndmask_b32_e32 v2, v3, v2, vcc
	s_nop 1
	v_mov_b32_dpp v3, v2 row_half_mirror row_mask:0xf bank_mask:0xf
	v_cmp_gt_f32_e32 vcc, v2, v3
	v_cndmask_b32_e32 v2, v3, v2, vcc
	s_nop 1
	v_mov_b32_dpp v3, v2 row_mirror row_mask:0xf bank_mask:0xf
	v_cmp_gt_f32_e32 vcc, v2, v3
	v_cndmask_b32_e32 v2, v3, v2, vcc
	s_nop 1
	v_mov_b32_dpp v3, v2 row_bcast:15 row_mask:0xf bank_mask:0xf
	v_cmp_gt_f32_e32 vcc, v2, v3
	v_cndmask_b32_e32 v2, v3, v2, vcc
	v_cmp_eq_u32_e32 vcc, 63, v4
	s_nop 0
	v_mov_b32_dpp v3, v2 row_bcast:31 row_mask:0xf bank_mask:0xf
	s_and_saveexec_b64 s[4:5], vcc
	s_cbranch_execz .LBB48_13
; %bb.12:
	v_lshrrev_b32_e32 v4, 4, v0
	v_cmp_gt_f32_e32 vcc, v2, v3
	v_and_b32_e32 v4, 60, v4
	v_cndmask_b32_e32 v2, v3, v2, vcc
	ds_write_b32 v4, v2
.LBB48_13:
	s_or_b64 exec, exec, s[4:5]
	v_and_b32_e32 v2, 3, v0
	v_lshlrev_b32_e32 v2, 2, v2
	s_waitcnt lgkmcnt(0)
	s_barrier
	ds_read_b32 v2, v2
	s_waitcnt lgkmcnt(0)
	s_nop 0
	v_mov_b32_dpp v3, v2 quad_perm:[1,0,3,2] row_mask:0xf bank_mask:0xf
	v_cmp_gt_f32_e32 vcc, v2, v3
	v_cndmask_b32_e32 v2, v3, v2, vcc
	s_nop 1
	v_mov_b32_dpp v3, v2 quad_perm:[2,3,0,1] row_mask:0xf bank_mask:0xf
	v_cmp_gt_f32_e32 vcc, v2, v3
	v_cndmask_b32_e32 v2, v3, v2, vcc
	v_mul_f32_e32 v10, 0x3c010204, v2
	v_cmp_eq_u32_e32 vcc, 0, v0
	s_and_saveexec_b64 s[4:5], vcc
	s_cbranch_execz .LBB48_15
; %bb.14:
	s_ashr_i32 s7, s6, 31
	s_lshl_b64 s[6:7], s[6:7], 2
	s_add_u32 s6, s14, s6
	s_addc_u32 s7, s15, s7
	v_mov_b32_e32 v2, 0
	global_store_dword v2, v10, s[6:7]
.LBB48_15:
	s_or_b64 exec, exec, s[4:5]
                                        ; implicit-def: $vgpr2_vgpr3_vgpr4_vgpr5_vgpr6_vgpr7_vgpr8_vgpr9
	s_and_saveexec_b64 s[4:5], s[0:1]
	s_cbranch_execz .LBB48_17
; %bb.16:
	s_mov_b32 s11, 0x20000
	buffer_load_dwordx4 v[2:5], v1, s[8:11], 0 offen
	buffer_load_dwordx4 v[6:9], v1, s[8:11], 16 offen
.LBB48_17:
	s_or_b64 exec, exec, s[4:5]
	s_add_u32 s4, s12, s18
	s_addc_u32 s0, s13, 0
	s_add_i32 s1, s22, 3
	v_rcp_f32_e32 v20, v10
	s_ashr_i32 s5, s1, 31
	s_lshr_b32 s5, s5, 30
	s_add_i32 s1, s1, s5
	s_and_b32 s6, s1, -4
	s_and_b32 s5, s0, 0xffff
	s_and_saveexec_b64 s[0:1], s[2:3]
	s_cbranch_execz .LBB48_21
; %bb.18:
	v_mov_b32_e32 v10, 0x2000
	s_mov_b32 s11, 0x20000
	v_mov_b32_e32 v21, v20
	v_lshlrev_b32_e32 v1, 4, v0
	v_lshl_add_u32 v0, v0, 5, v10
	s_mov_b64 s[2:3], 0
	s_mov_b32 s7, s11
.LBB48_19:                              ; =>This Inner Loop Header: Depth=1
	buffer_load_dwordx4 v[10:13], v0, s[8:11], 0 offen
	buffer_load_dwordx4 v[14:17], v0, s[8:11], 16 offen
	s_waitcnt vmcnt(3)
	v_cvt_f32_f16_sdwa v23, v2 dst_sel:DWORD dst_unused:UNUSED_PAD src0_sel:WORD_1
	v_cvt_f32_f16_e32 v22, v2
	v_cvt_f32_f16_sdwa v25, v3 dst_sel:DWORD dst_unused:UNUSED_PAD src0_sel:WORD_1
	v_cvt_f32_f16_e32 v24, v3
	;; [unrolled: 2-line block ×4, first 2 shown]
	s_waitcnt vmcnt(2)
	v_cvt_f32_f16_sdwa v5, v6 dst_sel:DWORD dst_unused:UNUSED_PAD src0_sel:WORD_1
	v_cvt_f32_f16_e32 v4, v6
	v_cvt_f32_f16_sdwa v29, v7 dst_sel:DWORD dst_unused:UNUSED_PAD src0_sel:WORD_1
	v_cvt_f32_f16_e32 v28, v7
	;; [unrolled: 2-line block ×4, first 2 shown]
	;;#ASMSTART
	v_pk_mul_f32 v[8:9], v[22:23], v[20:21]
	;;#ASMEND
	;;#ASMSTART
	v_pk_mul_f32 v[22:23], v[24:25], v[20:21]
	;;#ASMEND
	;; [unrolled: 3-line block ×8, first 2 shown]
	v_cvt_i32_f32_e32 v8, v8
	v_cvt_i32_f32_sdwa v9, v9 dst_sel:BYTE_1 dst_unused:UNUSED_PAD src0_sel:DWORD
	v_cvt_i32_f32_e32 v22, v22
	v_cvt_i32_f32_sdwa v23, v23 dst_sel:BYTE_1 dst_unused:UNUSED_PAD src0_sel:DWORD
	;; [unrolled: 2-line block ×8, first 2 shown]
	v_add_co_u32_e32 v18, vcc, 0x100, v18
	v_or_b32_sdwa v8, v8, v9 dst_sel:DWORD dst_unused:UNUSED_PAD src0_sel:BYTE_0 src1_sel:DWORD
	v_or_b32_sdwa v9, v22, v23 dst_sel:WORD_1 dst_unused:UNUSED_PAD src0_sel:BYTE_0 src1_sel:DWORD
	v_or_b32_sdwa v3, v2, v3 dst_sel:DWORD dst_unused:UNUSED_PAD src0_sel:BYTE_0 src1_sel:DWORD
	v_or_b32_sdwa v22, v24, v25 dst_sel:WORD_1 dst_unused:UNUSED_PAD src0_sel:BYTE_0 src1_sel:DWORD
	;; [unrolled: 2-line block ×4, first 2 shown]
	v_addc_co_u32_e32 v19, vcc, 0, v19, vcc
	v_or_b32_sdwa v2, v8, v9 dst_sel:DWORD dst_unused:UNUSED_PAD src0_sel:WORD_0 src1_sel:DWORD
	v_or_b32_sdwa v3, v3, v22 dst_sel:DWORD dst_unused:UNUSED_PAD src0_sel:WORD_0 src1_sel:DWORD
	;; [unrolled: 1-line block ×4, first 2 shown]
	v_cmp_le_u64_e32 vcc, s[16:17], v[18:19]
	buffer_store_dwordx4 v[2:5], v1, s[4:7], 0 offen
	v_add_u32_e32 v0, 0x2000, v0
	s_or_b64 s[2:3], vcc, s[2:3]
	v_add_u32_e32 v1, 0x1000, v1
	;;#ASMSTART
	s_nop 0
	;;#ASMEND
	s_waitcnt vmcnt(1)
	v_pk_mov_b32 v[2:3], v[10:11], v[10:11] op_sel:[0,1]
	v_pk_mov_b32 v[4:5], v[12:13], v[12:13] op_sel:[0,1]
	;; [unrolled: 1-line block ×4, first 2 shown]
	s_andn2_b64 exec, exec, s[2:3]
	s_cbranch_execnz .LBB48_19
; %bb.20:
	s_or_b64 exec, exec, s[2:3]
	v_pk_mov_b32 v[2:3], v[10:11], v[10:11] op_sel:[0,1]
	v_pk_mov_b32 v[4:5], v[12:13], v[12:13] op_sel:[0,1]
	;; [unrolled: 1-line block ×4, first 2 shown]
.LBB48_21:
	s_or_b64 exec, exec, s[0:1]
	v_add_co_u32_e32 v0, vcc, 0xffffff00, v18
	v_addc_co_u32_e32 v1, vcc, -1, v19, vcc
	v_cmp_gt_u64_e32 vcc, s[16:17], v[0:1]
	s_and_saveexec_b64 s[0:1], vcc
	s_cbranch_execz .LBB48_23
; %bb.22:
	v_lshlrev_b32_e32 v18, 4, v0
	s_waitcnt vmcnt(1)
	v_cvt_f32_f16_sdwa v1, v2 dst_sel:DWORD dst_unused:UNUSED_PAD src0_sel:WORD_1
	v_cvt_f32_f16_e32 v0, v2
	v_mov_b32_e32 v21, v20
	;;#ASMSTART
	v_pk_mul_f32 v[0:1], v[0:1], v[20:21]
	;;#ASMEND
	v_cvt_f32_f16_sdwa v11, v3 dst_sel:DWORD dst_unused:UNUSED_PAD src0_sel:WORD_1
	v_cvt_f32_f16_e32 v10, v3
	v_cvt_f32_f16_sdwa v3, v4 dst_sel:DWORD dst_unused:UNUSED_PAD src0_sel:WORD_1
	v_cvt_f32_f16_e32 v2, v4
	;; [unrolled: 2-line block ×3, first 2 shown]
	s_waitcnt vmcnt(0)
	v_cvt_f32_f16_sdwa v5, v6 dst_sel:DWORD dst_unused:UNUSED_PAD src0_sel:WORD_1
	v_cvt_f32_f16_e32 v4, v6
	v_cvt_f32_f16_sdwa v15, v7 dst_sel:DWORD dst_unused:UNUSED_PAD src0_sel:WORD_1
	v_cvt_f32_f16_e32 v14, v7
	;; [unrolled: 2-line block ×4, first 2 shown]
	v_cvt_i32_f32_e32 v8, v0
	v_cvt_i32_f32_sdwa v9, v1 dst_sel:BYTE_1 dst_unused:UNUSED_PAD src0_sel:DWORD
	;;#ASMSTART
	v_pk_mul_f32 v[0:1], v[10:11], v[20:21]
	;;#ASMEND
	v_cvt_i32_f32_e32 v10, v0
	v_cvt_i32_f32_sdwa v11, v1 dst_sel:BYTE_1 dst_unused:UNUSED_PAD src0_sel:DWORD
	;;#ASMSTART
	v_pk_mul_f32 v[0:1], v[2:3], v[20:21]
	;;#ASMEND
	;; [unrolled: 5-line block ×7, first 2 shown]
	v_cvt_i32_f32_e32 v16, v0
	v_cvt_i32_f32_sdwa v17, v1 dst_sel:BYTE_1 dst_unused:UNUSED_PAD src0_sel:DWORD
	v_or_b32_sdwa v0, v8, v9 dst_sel:DWORD dst_unused:UNUSED_PAD src0_sel:BYTE_0 src1_sel:DWORD
	v_or_b32_sdwa v1, v10, v11 dst_sel:WORD_1 dst_unused:UNUSED_PAD src0_sel:BYTE_0 src1_sel:DWORD
	v_or_b32_sdwa v0, v0, v1 dst_sel:DWORD dst_unused:UNUSED_PAD src0_sel:WORD_0 src1_sel:DWORD
	v_or_b32_sdwa v1, v2, v3 dst_sel:DWORD dst_unused:UNUSED_PAD src0_sel:BYTE_0 src1_sel:DWORD
	v_or_b32_sdwa v2, v12, v13 dst_sel:WORD_1 dst_unused:UNUSED_PAD src0_sel:BYTE_0 src1_sel:DWORD
	v_or_b32_sdwa v1, v1, v2 dst_sel:DWORD dst_unused:UNUSED_PAD src0_sel:WORD_0 src1_sel:DWORD
	;; [unrolled: 3-line block ×4, first 2 shown]
	s_mov_b32 s7, 0x20000
	buffer_store_dwordx4 v[0:3], v18, s[4:7], 0 offen
	;;#ASMSTART
	s_nop 0
	;;#ASMEND
.LBB48_23:
	s_endpgm
	.section	.rodata,"a",@progbits
	.p2align	6, 0x0
	.amdhsa_kernel _ZN5aiter37dynamic_per_token_scaled_quant_kernelIDF16_aLi0EEEvPT0_PfPT_PKfiPKii
		.amdhsa_group_segment_fixed_size 16
		.amdhsa_private_segment_fixed_size 0
		.amdhsa_kernarg_size 52
		.amdhsa_user_sgpr_count 6
		.amdhsa_user_sgpr_private_segment_buffer 1
		.amdhsa_user_sgpr_dispatch_ptr 0
		.amdhsa_user_sgpr_queue_ptr 0
		.amdhsa_user_sgpr_kernarg_segment_ptr 1
		.amdhsa_user_sgpr_dispatch_id 0
		.amdhsa_user_sgpr_flat_scratch_init 0
		.amdhsa_user_sgpr_kernarg_preload_length 0
		.amdhsa_user_sgpr_kernarg_preload_offset 0
		.amdhsa_user_sgpr_private_segment_size 0
		.amdhsa_uses_dynamic_stack 0
		.amdhsa_system_sgpr_private_segment_wavefront_offset 0
		.amdhsa_system_sgpr_workgroup_id_x 1
		.amdhsa_system_sgpr_workgroup_id_y 0
		.amdhsa_system_sgpr_workgroup_id_z 0
		.amdhsa_system_sgpr_workgroup_info 0
		.amdhsa_system_vgpr_workitem_id 0
		.amdhsa_next_free_vgpr 32
		.amdhsa_next_free_sgpr 23
		.amdhsa_accum_offset 32
		.amdhsa_reserve_vcc 1
		.amdhsa_reserve_flat_scratch 0
		.amdhsa_float_round_mode_32 0
		.amdhsa_float_round_mode_16_64 0
		.amdhsa_float_denorm_mode_32 3
		.amdhsa_float_denorm_mode_16_64 3
		.amdhsa_dx10_clamp 1
		.amdhsa_ieee_mode 1
		.amdhsa_fp16_overflow 0
		.amdhsa_tg_split 0
		.amdhsa_exception_fp_ieee_invalid_op 0
		.amdhsa_exception_fp_denorm_src 0
		.amdhsa_exception_fp_ieee_div_zero 0
		.amdhsa_exception_fp_ieee_overflow 0
		.amdhsa_exception_fp_ieee_underflow 0
		.amdhsa_exception_fp_ieee_inexact 0
		.amdhsa_exception_int_div_zero 0
	.end_amdhsa_kernel
	.section	.text._ZN5aiter37dynamic_per_token_scaled_quant_kernelIDF16_aLi0EEEvPT0_PfPT_PKfiPKii,"axG",@progbits,_ZN5aiter37dynamic_per_token_scaled_quant_kernelIDF16_aLi0EEEvPT0_PfPT_PKfiPKii,comdat
.Lfunc_end48:
	.size	_ZN5aiter37dynamic_per_token_scaled_quant_kernelIDF16_aLi0EEEvPT0_PfPT_PKfiPKii, .Lfunc_end48-_ZN5aiter37dynamic_per_token_scaled_quant_kernelIDF16_aLi0EEEvPT0_PfPT_PKfiPKii
                                        ; -- End function
	.section	.AMDGPU.csdata,"",@progbits
; Kernel info:
; codeLenInByte = 2184
; NumSgprs: 27
; NumVgprs: 32
; NumAgprs: 0
; TotalNumVgprs: 32
; ScratchSize: 0
; MemoryBound: 0
; FloatMode: 240
; IeeeMode: 1
; LDSByteSize: 16 bytes/workgroup (compile time only)
; SGPRBlocks: 3
; VGPRBlocks: 3
; NumSGPRsForWavesPerEU: 27
; NumVGPRsForWavesPerEU: 32
; AccumOffset: 32
; Occupancy: 8
; WaveLimiterHint : 0
; COMPUTE_PGM_RSRC2:SCRATCH_EN: 0
; COMPUTE_PGM_RSRC2:USER_SGPR: 6
; COMPUTE_PGM_RSRC2:TRAP_HANDLER: 0
; COMPUTE_PGM_RSRC2:TGID_X_EN: 1
; COMPUTE_PGM_RSRC2:TGID_Y_EN: 0
; COMPUTE_PGM_RSRC2:TGID_Z_EN: 0
; COMPUTE_PGM_RSRC2:TIDIG_COMP_CNT: 0
; COMPUTE_PGM_RSRC3_GFX90A:ACCUM_OFFSET: 7
; COMPUTE_PGM_RSRC3_GFX90A:TG_SPLIT: 0
	.section	.text._ZN5aiter37dynamic_per_token_scaled_quant_kernelItaLi0EEEvPT0_PfPT_PKfiPKii,"axG",@progbits,_ZN5aiter37dynamic_per_token_scaled_quant_kernelItaLi0EEEvPT0_PfPT_PKfiPKii,comdat
	.protected	_ZN5aiter37dynamic_per_token_scaled_quant_kernelItaLi0EEEvPT0_PfPT_PKfiPKii ; -- Begin function _ZN5aiter37dynamic_per_token_scaled_quant_kernelItaLi0EEEvPT0_PfPT_PKfiPKii
	.globl	_ZN5aiter37dynamic_per_token_scaled_quant_kernelItaLi0EEEvPT0_PfPT_PKfiPKii
	.p2align	8
	.type	_ZN5aiter37dynamic_per_token_scaled_quant_kernelItaLi0EEEvPT0_PfPT_PKfiPKii,@function
_ZN5aiter37dynamic_per_token_scaled_quant_kernelItaLi0EEEvPT0_PfPT_PKfiPKii: ; @_ZN5aiter37dynamic_per_token_scaled_quant_kernelItaLi0EEEvPT0_PfPT_PKfiPKii
; %bb.0:
	s_load_dwordx2 s[2:3], s[4:5], 0x28
	s_waitcnt lgkmcnt(0)
	s_cmp_eq_u64 s[2:3], 0
	s_cselect_b64 s[0:1], -1, 0
	s_and_b64 vcc, exec, s[0:1]
	s_cbranch_vccnz .LBB49_2
; %bb.1:
	s_load_dword s0, s[4:5], 0x30
	s_load_dword s1, s[2:3], 0x0
	s_waitcnt lgkmcnt(0)
	s_mul_i32 s1, s1, s0
	s_cmp_lt_i32 s6, s1
	s_cselect_b64 s[0:1], -1, 0
.LBB49_2:
	s_andn2_b64 vcc, exec, s[0:1]
	s_cbranch_vccnz .LBB49_23
; %bb.3:
	s_load_dword s22, s[4:5], 0x20
	s_load_dwordx2 s[0:1], s[4:5], 0x10
	s_mov_b32 s19, 0
	v_lshlrev_b32_e32 v1, 5, v0
                                        ; implicit-def: $vgpr2_vgpr3_vgpr4_vgpr5_vgpr6_vgpr7_vgpr8_vgpr9
	s_waitcnt lgkmcnt(0)
	s_mul_i32 s18, s6, s22
	s_lshl_b64 s[2:3], s[18:19], 1
	s_add_u32 s8, s0, s2
	s_addc_u32 s0, s1, s3
	s_add_i32 s1, s22, 1
	s_lshr_b32 s2, s1, 31
	s_add_i32 s1, s1, s2
	s_and_b32 s9, s0, 0xffff
	s_lshl_b32 s0, s1, 1
	s_and_b32 s10, s0, -4
	s_add_i32 s0, s22, 15
	s_ashr_i32 s1, s0, 31
	s_lshr_b32 s1, s1, 28
	s_add_i32 s0, s0, s1
	s_ashr_i32 s16, s0, 4
	v_cmp_gt_u32_e64 s[0:1], s16, v0
	s_and_saveexec_b64 s[2:3], s[0:1]
	s_cbranch_execz .LBB49_5
; %bb.4:
	s_mov_b32 s11, 0x20000
	buffer_load_dwordx4 v[2:5], v1, s[8:11], 0 offen
	buffer_load_dwordx4 v[6:9], v1, s[8:11], 16 offen
.LBB49_5:
	s_or_b64 exec, exec, s[2:3]
	s_load_dwordx4 s[12:15], s[4:5], 0x0
	v_add_u32_e32 v18, 0x100, v0
	v_mov_b32_e32 v19, 0
	s_ashr_i32 s17, s16, 31
	v_cmp_gt_u32_e64 s[2:3], s16, v18
	v_pk_mov_b32 v[20:21], v[18:19], v[18:19] op_sel:[0,1]
	v_mov_b32_e32 v22, v19
	s_and_saveexec_b64 s[4:5], s[2:3]
	s_cbranch_execz .LBB49_9
; %bb.6:
	v_mov_b32_e32 v10, 0x2000
	v_lshl_add_u32 v23, v0, 5, v10
	s_mov_b64 s[20:21], 0
	v_mov_b32_e32 v22, 0
	s_mov_b32 s11, 0x20000
	v_pk_mov_b32 v[20:21], v[18:19], v[18:19] op_sel:[0,1]
.LBB49_7:                               ; =>This Inner Loop Header: Depth=1
	buffer_load_dwordx4 v[10:13], v23, s[8:11], 0 offen
	buffer_load_dwordx4 v[14:17], v23, s[8:11], 16 offen
	s_waitcnt vmcnt(3)
	v_cvt_f32_u32_sdwa v24, v2 dst_sel:DWORD dst_unused:UNUSED_PAD src0_sel:WORD_0
	v_cvt_f32_u32_sdwa v2, v2 dst_sel:DWORD dst_unused:UNUSED_PAD src0_sel:WORD_1
	v_cvt_f32_u32_sdwa v25, v3 dst_sel:DWORD dst_unused:UNUSED_PAD src0_sel:WORD_0
	v_cvt_f32_u32_sdwa v3, v3 dst_sel:DWORD dst_unused:UNUSED_PAD src0_sel:WORD_1
	;; [unrolled: 2-line block ×4, first 2 shown]
	s_waitcnt vmcnt(2)
	v_cvt_f32_u32_sdwa v28, v6 dst_sel:DWORD dst_unused:UNUSED_PAD src0_sel:WORD_0
	v_cvt_f32_u32_sdwa v6, v6 dst_sel:DWORD dst_unused:UNUSED_PAD src0_sel:WORD_1
	v_max3_f32 v2, v22, v24, v2
	v_cvt_f32_u32_sdwa v29, v7 dst_sel:DWORD dst_unused:UNUSED_PAD src0_sel:WORD_0
	v_cvt_f32_u32_sdwa v7, v7 dst_sel:DWORD dst_unused:UNUSED_PAD src0_sel:WORD_1
	v_max3_f32 v2, v2, v25, v3
	;; [unrolled: 3-line block ×4, first 2 shown]
	v_max3_f32 v2, v2, v28, v6
	v_add_co_u32_e32 v20, vcc, 0x100, v20
	v_max3_f32 v2, v2, v29, v7
	v_addc_co_u32_e32 v21, vcc, 0, v21, vcc
	v_max3_f32 v2, v2, v30, v8
	v_cmp_le_u64_e32 vcc, s[16:17], v[20:21]
	v_max3_f32 v22, v2, v31, v9
	v_add_u32_e32 v23, 0x2000, v23
	s_or_b64 s[20:21], vcc, s[20:21]
	s_waitcnt vmcnt(0)
	v_pk_mov_b32 v[2:3], v[10:11], v[10:11] op_sel:[0,1]
	v_pk_mov_b32 v[4:5], v[12:13], v[12:13] op_sel:[0,1]
	;; [unrolled: 1-line block ×4, first 2 shown]
	s_andn2_b64 exec, exec, s[20:21]
	s_cbranch_execnz .LBB49_7
; %bb.8:
	s_or_b64 exec, exec, s[20:21]
	v_pk_mov_b32 v[2:3], v[10:11], v[10:11] op_sel:[0,1]
	v_pk_mov_b32 v[4:5], v[12:13], v[12:13] op_sel:[0,1]
	;; [unrolled: 1-line block ×4, first 2 shown]
.LBB49_9:
	s_or_b64 exec, exec, s[4:5]
	v_add_co_u32_e32 v10, vcc, 0xffffff00, v20
	v_addc_co_u32_e32 v11, vcc, -1, v21, vcc
	v_cmp_gt_u64_e32 vcc, s[16:17], v[10:11]
	s_and_saveexec_b64 s[4:5], vcc
	s_cbranch_execz .LBB49_11
; %bb.10:
	s_waitcnt vmcnt(1)
	v_cvt_f32_u32_sdwa v10, v2 dst_sel:DWORD dst_unused:UNUSED_PAD src0_sel:WORD_0
	v_cvt_f32_u32_sdwa v2, v2 dst_sel:DWORD dst_unused:UNUSED_PAD src0_sel:WORD_1
	v_cvt_f32_u32_sdwa v11, v3 dst_sel:DWORD dst_unused:UNUSED_PAD src0_sel:WORD_0
	v_cvt_f32_u32_sdwa v3, v3 dst_sel:DWORD dst_unused:UNUSED_PAD src0_sel:WORD_1
	v_cvt_f32_u32_sdwa v12, v4 dst_sel:DWORD dst_unused:UNUSED_PAD src0_sel:WORD_0
	v_cvt_f32_u32_sdwa v4, v4 dst_sel:DWORD dst_unused:UNUSED_PAD src0_sel:WORD_1
	v_cvt_f32_u32_sdwa v13, v5 dst_sel:DWORD dst_unused:UNUSED_PAD src0_sel:WORD_0
	v_cvt_f32_u32_sdwa v5, v5 dst_sel:DWORD dst_unused:UNUSED_PAD src0_sel:WORD_1
	v_max3_f32 v2, v22, v10, v2
	v_max3_f32 v2, v2, v11, v3
	;; [unrolled: 1-line block ×3, first 2 shown]
	s_waitcnt vmcnt(0)
	v_cvt_f32_u32_sdwa v3, v6 dst_sel:DWORD dst_unused:UNUSED_PAD src0_sel:WORD_0
	v_cvt_f32_u32_sdwa v4, v6 dst_sel:DWORD dst_unused:UNUSED_PAD src0_sel:WORD_1
	v_max3_f32 v2, v2, v13, v5
	v_cvt_f32_u32_sdwa v5, v7 dst_sel:DWORD dst_unused:UNUSED_PAD src0_sel:WORD_0
	v_cvt_f32_u32_sdwa v6, v7 dst_sel:DWORD dst_unused:UNUSED_PAD src0_sel:WORD_1
	v_cvt_f32_u32_sdwa v7, v8 dst_sel:DWORD dst_unused:UNUSED_PAD src0_sel:WORD_0
	v_cvt_f32_u32_sdwa v8, v8 dst_sel:DWORD dst_unused:UNUSED_PAD src0_sel:WORD_1
	;; [unrolled: 2-line block ×3, first 2 shown]
	v_max3_f32 v2, v2, v3, v4
	v_max3_f32 v2, v2, v5, v6
	;; [unrolled: 1-line block ×4, first 2 shown]
.LBB49_11:
	s_or_b64 exec, exec, s[4:5]
	s_waitcnt vmcnt(1)
	v_mov_b32_dpp v2, v22 quad_perm:[1,0,3,2] row_mask:0xf bank_mask:0xf
	v_cmp_gt_f32_e32 vcc, v22, v2
	v_cndmask_b32_e32 v2, v2, v22, vcc
	v_and_b32_e32 v4, 63, v0
	s_nop 0
	v_mov_b32_dpp v3, v2 quad_perm:[2,3,0,1] row_mask:0xf bank_mask:0xf
	v_cmp_gt_f32_e32 vcc, v2, v3
	v_cndmask_b32_e32 v2, v3, v2, vcc
	s_nop 1
	v_mov_b32_dpp v3, v2 row_half_mirror row_mask:0xf bank_mask:0xf
	v_cmp_gt_f32_e32 vcc, v2, v3
	v_cndmask_b32_e32 v2, v3, v2, vcc
	s_nop 1
	v_mov_b32_dpp v3, v2 row_mirror row_mask:0xf bank_mask:0xf
	v_cmp_gt_f32_e32 vcc, v2, v3
	v_cndmask_b32_e32 v2, v3, v2, vcc
	s_nop 1
	v_mov_b32_dpp v3, v2 row_bcast:15 row_mask:0xf bank_mask:0xf
	v_cmp_gt_f32_e32 vcc, v2, v3
	v_cndmask_b32_e32 v2, v3, v2, vcc
	v_cmp_eq_u32_e32 vcc, 63, v4
	s_nop 0
	v_mov_b32_dpp v3, v2 row_bcast:31 row_mask:0xf bank_mask:0xf
	s_and_saveexec_b64 s[4:5], vcc
	s_cbranch_execz .LBB49_13
; %bb.12:
	v_lshrrev_b32_e32 v4, 4, v0
	v_cmp_gt_f32_e32 vcc, v2, v3
	v_and_b32_e32 v4, 60, v4
	v_cndmask_b32_e32 v2, v3, v2, vcc
	ds_write_b32 v4, v2
.LBB49_13:
	s_or_b64 exec, exec, s[4:5]
	v_and_b32_e32 v2, 3, v0
	v_lshlrev_b32_e32 v2, 2, v2
	s_waitcnt lgkmcnt(0)
	s_barrier
	ds_read_b32 v2, v2
	s_waitcnt lgkmcnt(0)
	s_nop 0
	v_mov_b32_dpp v3, v2 quad_perm:[1,0,3,2] row_mask:0xf bank_mask:0xf
	v_cmp_gt_f32_e32 vcc, v2, v3
	v_cndmask_b32_e32 v2, v3, v2, vcc
	s_nop 1
	v_mov_b32_dpp v3, v2 quad_perm:[2,3,0,1] row_mask:0xf bank_mask:0xf
	v_cmp_gt_f32_e32 vcc, v2, v3
	v_cndmask_b32_e32 v2, v3, v2, vcc
	v_mul_f32_e32 v10, 0x3c010204, v2
	v_cmp_eq_u32_e32 vcc, 0, v0
	s_and_saveexec_b64 s[4:5], vcc
	s_cbranch_execz .LBB49_15
; %bb.14:
	s_ashr_i32 s7, s6, 31
	s_lshl_b64 s[6:7], s[6:7], 2
	s_add_u32 s6, s14, s6
	s_addc_u32 s7, s15, s7
	v_mov_b32_e32 v2, 0
	global_store_dword v2, v10, s[6:7]
.LBB49_15:
	s_or_b64 exec, exec, s[4:5]
                                        ; implicit-def: $vgpr2_vgpr3_vgpr4_vgpr5_vgpr6_vgpr7_vgpr8_vgpr9
	s_and_saveexec_b64 s[4:5], s[0:1]
	s_cbranch_execz .LBB49_17
; %bb.16:
	s_mov_b32 s11, 0x20000
	buffer_load_dwordx4 v[2:5], v1, s[8:11], 0 offen
	buffer_load_dwordx4 v[6:9], v1, s[8:11], 16 offen
.LBB49_17:
	s_or_b64 exec, exec, s[4:5]
	s_add_u32 s4, s12, s18
	s_addc_u32 s0, s13, 0
	s_add_i32 s1, s22, 3
	v_rcp_f32_e32 v20, v10
	s_ashr_i32 s5, s1, 31
	s_lshr_b32 s5, s5, 30
	s_add_i32 s1, s1, s5
	s_and_b32 s6, s1, -4
	s_and_b32 s5, s0, 0xffff
	s_and_saveexec_b64 s[0:1], s[2:3]
	s_cbranch_execz .LBB49_21
; %bb.18:
	v_mov_b32_e32 v10, 0x2000
	s_mov_b32 s11, 0x20000
	v_mov_b32_e32 v21, v20
	v_lshlrev_b32_e32 v1, 4, v0
	v_lshl_add_u32 v0, v0, 5, v10
	s_mov_b64 s[2:3], 0
	s_mov_b32 s7, s11
.LBB49_19:                              ; =>This Inner Loop Header: Depth=1
	buffer_load_dwordx4 v[10:13], v0, s[8:11], 0 offen
	buffer_load_dwordx4 v[14:17], v0, s[8:11], 16 offen
	s_waitcnt vmcnt(3)
	v_cvt_f32_u32_sdwa v23, v2 dst_sel:DWORD dst_unused:UNUSED_PAD src0_sel:WORD_1
	v_cvt_f32_u32_sdwa v22, v2 dst_sel:DWORD dst_unused:UNUSED_PAD src0_sel:WORD_0
	v_cvt_f32_u32_sdwa v25, v3 dst_sel:DWORD dst_unused:UNUSED_PAD src0_sel:WORD_1
	v_cvt_f32_u32_sdwa v24, v3 dst_sel:DWORD dst_unused:UNUSED_PAD src0_sel:WORD_0
	;; [unrolled: 2-line block ×4, first 2 shown]
	s_waitcnt vmcnt(2)
	v_cvt_f32_u32_sdwa v5, v6 dst_sel:DWORD dst_unused:UNUSED_PAD src0_sel:WORD_1
	v_cvt_f32_u32_sdwa v4, v6 dst_sel:DWORD dst_unused:UNUSED_PAD src0_sel:WORD_0
	v_cvt_f32_u32_sdwa v29, v7 dst_sel:DWORD dst_unused:UNUSED_PAD src0_sel:WORD_1
	v_cvt_f32_u32_sdwa v28, v7 dst_sel:DWORD dst_unused:UNUSED_PAD src0_sel:WORD_0
	;; [unrolled: 2-line block ×4, first 2 shown]
	;;#ASMSTART
	v_pk_mul_f32 v[8:9], v[22:23], v[20:21]
	;;#ASMEND
	;;#ASMSTART
	v_pk_mul_f32 v[22:23], v[24:25], v[20:21]
	;;#ASMEND
	;; [unrolled: 3-line block ×8, first 2 shown]
	v_cvt_i32_f32_e32 v8, v8
	v_cvt_i32_f32_sdwa v9, v9 dst_sel:BYTE_1 dst_unused:UNUSED_PAD src0_sel:DWORD
	v_cvt_i32_f32_e32 v22, v22
	v_cvt_i32_f32_sdwa v23, v23 dst_sel:BYTE_1 dst_unused:UNUSED_PAD src0_sel:DWORD
	;; [unrolled: 2-line block ×8, first 2 shown]
	v_add_co_u32_e32 v18, vcc, 0x100, v18
	v_or_b32_sdwa v8, v8, v9 dst_sel:DWORD dst_unused:UNUSED_PAD src0_sel:BYTE_0 src1_sel:DWORD
	v_or_b32_sdwa v9, v22, v23 dst_sel:WORD_1 dst_unused:UNUSED_PAD src0_sel:BYTE_0 src1_sel:DWORD
	v_or_b32_sdwa v3, v2, v3 dst_sel:DWORD dst_unused:UNUSED_PAD src0_sel:BYTE_0 src1_sel:DWORD
	v_or_b32_sdwa v22, v24, v25 dst_sel:WORD_1 dst_unused:UNUSED_PAD src0_sel:BYTE_0 src1_sel:DWORD
	;; [unrolled: 2-line block ×4, first 2 shown]
	v_addc_co_u32_e32 v19, vcc, 0, v19, vcc
	v_or_b32_sdwa v2, v8, v9 dst_sel:DWORD dst_unused:UNUSED_PAD src0_sel:WORD_0 src1_sel:DWORD
	v_or_b32_sdwa v3, v3, v22 dst_sel:DWORD dst_unused:UNUSED_PAD src0_sel:WORD_0 src1_sel:DWORD
	;; [unrolled: 1-line block ×4, first 2 shown]
	v_cmp_le_u64_e32 vcc, s[16:17], v[18:19]
	buffer_store_dwordx4 v[2:5], v1, s[4:7], 0 offen
	v_add_u32_e32 v0, 0x2000, v0
	s_or_b64 s[2:3], vcc, s[2:3]
	v_add_u32_e32 v1, 0x1000, v1
	;;#ASMSTART
	s_nop 0
	;;#ASMEND
	s_waitcnt vmcnt(1)
	v_pk_mov_b32 v[2:3], v[10:11], v[10:11] op_sel:[0,1]
	v_pk_mov_b32 v[4:5], v[12:13], v[12:13] op_sel:[0,1]
	;; [unrolled: 1-line block ×4, first 2 shown]
	s_andn2_b64 exec, exec, s[2:3]
	s_cbranch_execnz .LBB49_19
; %bb.20:
	s_or_b64 exec, exec, s[2:3]
	v_pk_mov_b32 v[2:3], v[10:11], v[10:11] op_sel:[0,1]
	v_pk_mov_b32 v[4:5], v[12:13], v[12:13] op_sel:[0,1]
	v_pk_mov_b32 v[6:7], v[14:15], v[14:15] op_sel:[0,1]
	v_pk_mov_b32 v[8:9], v[16:17], v[16:17] op_sel:[0,1]
.LBB49_21:
	s_or_b64 exec, exec, s[0:1]
	v_add_co_u32_e32 v0, vcc, 0xffffff00, v18
	v_addc_co_u32_e32 v1, vcc, -1, v19, vcc
	v_cmp_gt_u64_e32 vcc, s[16:17], v[0:1]
	s_and_saveexec_b64 s[0:1], vcc
	s_cbranch_execz .LBB49_23
; %bb.22:
	v_lshlrev_b32_e32 v18, 4, v0
	s_waitcnt vmcnt(1)
	v_cvt_f32_u32_sdwa v1, v2 dst_sel:DWORD dst_unused:UNUSED_PAD src0_sel:WORD_1
	v_cvt_f32_u32_sdwa v0, v2 dst_sel:DWORD dst_unused:UNUSED_PAD src0_sel:WORD_0
	v_mov_b32_e32 v21, v20
	;;#ASMSTART
	v_pk_mul_f32 v[0:1], v[0:1], v[20:21]
	;;#ASMEND
	v_cvt_f32_u32_sdwa v11, v3 dst_sel:DWORD dst_unused:UNUSED_PAD src0_sel:WORD_1
	v_cvt_f32_u32_sdwa v10, v3 dst_sel:DWORD dst_unused:UNUSED_PAD src0_sel:WORD_0
	v_cvt_f32_u32_sdwa v3, v4 dst_sel:DWORD dst_unused:UNUSED_PAD src0_sel:WORD_1
	v_cvt_f32_u32_sdwa v2, v4 dst_sel:DWORD dst_unused:UNUSED_PAD src0_sel:WORD_0
	;; [unrolled: 2-line block ×3, first 2 shown]
	s_waitcnt vmcnt(0)
	v_cvt_f32_u32_sdwa v5, v6 dst_sel:DWORD dst_unused:UNUSED_PAD src0_sel:WORD_1
	v_cvt_f32_u32_sdwa v4, v6 dst_sel:DWORD dst_unused:UNUSED_PAD src0_sel:WORD_0
	v_cvt_f32_u32_sdwa v15, v7 dst_sel:DWORD dst_unused:UNUSED_PAD src0_sel:WORD_1
	v_cvt_f32_u32_sdwa v14, v7 dst_sel:DWORD dst_unused:UNUSED_PAD src0_sel:WORD_0
	;; [unrolled: 2-line block ×4, first 2 shown]
	v_cvt_i32_f32_e32 v8, v0
	v_cvt_i32_f32_sdwa v9, v1 dst_sel:BYTE_1 dst_unused:UNUSED_PAD src0_sel:DWORD
	;;#ASMSTART
	v_pk_mul_f32 v[0:1], v[10:11], v[20:21]
	;;#ASMEND
	v_cvt_i32_f32_e32 v10, v0
	v_cvt_i32_f32_sdwa v11, v1 dst_sel:BYTE_1 dst_unused:UNUSED_PAD src0_sel:DWORD
	;;#ASMSTART
	v_pk_mul_f32 v[0:1], v[2:3], v[20:21]
	;;#ASMEND
	;; [unrolled: 5-line block ×7, first 2 shown]
	v_cvt_i32_f32_e32 v16, v0
	v_cvt_i32_f32_sdwa v17, v1 dst_sel:BYTE_1 dst_unused:UNUSED_PAD src0_sel:DWORD
	v_or_b32_sdwa v0, v8, v9 dst_sel:DWORD dst_unused:UNUSED_PAD src0_sel:BYTE_0 src1_sel:DWORD
	v_or_b32_sdwa v1, v10, v11 dst_sel:WORD_1 dst_unused:UNUSED_PAD src0_sel:BYTE_0 src1_sel:DWORD
	v_or_b32_sdwa v0, v0, v1 dst_sel:DWORD dst_unused:UNUSED_PAD src0_sel:WORD_0 src1_sel:DWORD
	v_or_b32_sdwa v1, v2, v3 dst_sel:DWORD dst_unused:UNUSED_PAD src0_sel:BYTE_0 src1_sel:DWORD
	v_or_b32_sdwa v2, v12, v13 dst_sel:WORD_1 dst_unused:UNUSED_PAD src0_sel:BYTE_0 src1_sel:DWORD
	v_or_b32_sdwa v1, v1, v2 dst_sel:DWORD dst_unused:UNUSED_PAD src0_sel:WORD_0 src1_sel:DWORD
	;; [unrolled: 3-line block ×4, first 2 shown]
	s_mov_b32 s7, 0x20000
	buffer_store_dwordx4 v[0:3], v18, s[4:7], 0 offen
	;;#ASMSTART
	s_nop 0
	;;#ASMEND
.LBB49_23:
	s_endpgm
	.section	.rodata,"a",@progbits
	.p2align	6, 0x0
	.amdhsa_kernel _ZN5aiter37dynamic_per_token_scaled_quant_kernelItaLi0EEEvPT0_PfPT_PKfiPKii
		.amdhsa_group_segment_fixed_size 16
		.amdhsa_private_segment_fixed_size 0
		.amdhsa_kernarg_size 52
		.amdhsa_user_sgpr_count 6
		.amdhsa_user_sgpr_private_segment_buffer 1
		.amdhsa_user_sgpr_dispatch_ptr 0
		.amdhsa_user_sgpr_queue_ptr 0
		.amdhsa_user_sgpr_kernarg_segment_ptr 1
		.amdhsa_user_sgpr_dispatch_id 0
		.amdhsa_user_sgpr_flat_scratch_init 0
		.amdhsa_user_sgpr_kernarg_preload_length 0
		.amdhsa_user_sgpr_kernarg_preload_offset 0
		.amdhsa_user_sgpr_private_segment_size 0
		.amdhsa_uses_dynamic_stack 0
		.amdhsa_system_sgpr_private_segment_wavefront_offset 0
		.amdhsa_system_sgpr_workgroup_id_x 1
		.amdhsa_system_sgpr_workgroup_id_y 0
		.amdhsa_system_sgpr_workgroup_id_z 0
		.amdhsa_system_sgpr_workgroup_info 0
		.amdhsa_system_vgpr_workitem_id 0
		.amdhsa_next_free_vgpr 32
		.amdhsa_next_free_sgpr 23
		.amdhsa_accum_offset 32
		.amdhsa_reserve_vcc 1
		.amdhsa_reserve_flat_scratch 0
		.amdhsa_float_round_mode_32 0
		.amdhsa_float_round_mode_16_64 0
		.amdhsa_float_denorm_mode_32 3
		.amdhsa_float_denorm_mode_16_64 3
		.amdhsa_dx10_clamp 1
		.amdhsa_ieee_mode 1
		.amdhsa_fp16_overflow 0
		.amdhsa_tg_split 0
		.amdhsa_exception_fp_ieee_invalid_op 0
		.amdhsa_exception_fp_denorm_src 0
		.amdhsa_exception_fp_ieee_div_zero 0
		.amdhsa_exception_fp_ieee_overflow 0
		.amdhsa_exception_fp_ieee_underflow 0
		.amdhsa_exception_fp_ieee_inexact 0
		.amdhsa_exception_int_div_zero 0
	.end_amdhsa_kernel
	.section	.text._ZN5aiter37dynamic_per_token_scaled_quant_kernelItaLi0EEEvPT0_PfPT_PKfiPKii,"axG",@progbits,_ZN5aiter37dynamic_per_token_scaled_quant_kernelItaLi0EEEvPT0_PfPT_PKfiPKii,comdat
.Lfunc_end49:
	.size	_ZN5aiter37dynamic_per_token_scaled_quant_kernelItaLi0EEEvPT0_PfPT_PKfiPKii, .Lfunc_end49-_ZN5aiter37dynamic_per_token_scaled_quant_kernelItaLi0EEEvPT0_PfPT_PKfiPKii
                                        ; -- End function
	.section	.AMDGPU.csdata,"",@progbits
; Kernel info:
; codeLenInByte = 2248
; NumSgprs: 27
; NumVgprs: 32
; NumAgprs: 0
; TotalNumVgprs: 32
; ScratchSize: 0
; MemoryBound: 0
; FloatMode: 240
; IeeeMode: 1
; LDSByteSize: 16 bytes/workgroup (compile time only)
; SGPRBlocks: 3
; VGPRBlocks: 3
; NumSGPRsForWavesPerEU: 27
; NumVGPRsForWavesPerEU: 32
; AccumOffset: 32
; Occupancy: 8
; WaveLimiterHint : 0
; COMPUTE_PGM_RSRC2:SCRATCH_EN: 0
; COMPUTE_PGM_RSRC2:USER_SGPR: 6
; COMPUTE_PGM_RSRC2:TRAP_HANDLER: 0
; COMPUTE_PGM_RSRC2:TGID_X_EN: 1
; COMPUTE_PGM_RSRC2:TGID_Y_EN: 0
; COMPUTE_PGM_RSRC2:TGID_Z_EN: 0
; COMPUTE_PGM_RSRC2:TIDIG_COMP_CNT: 0
; COMPUTE_PGM_RSRC3_GFX90A:ACCUM_OFFSET: 7
; COMPUTE_PGM_RSRC3_GFX90A:TG_SPLIT: 0
	.section	.text._ZN5aiter37dynamic_per_group_scaled_quant_kernelIDF16_DB8_Li32ELi32ELb1ELi64ELb1EEEvPT0_PfPKT_PKfliilPKii,"axG",@progbits,_ZN5aiter37dynamic_per_group_scaled_quant_kernelIDF16_DB8_Li32ELi32ELb1ELi64ELb1EEEvPT0_PfPKT_PKfliilPKii,comdat
	.protected	_ZN5aiter37dynamic_per_group_scaled_quant_kernelIDF16_DB8_Li32ELi32ELb1ELi64ELb1EEEvPT0_PfPKT_PKfliilPKii ; -- Begin function _ZN5aiter37dynamic_per_group_scaled_quant_kernelIDF16_DB8_Li32ELi32ELb1ELi64ELb1EEEvPT0_PfPKT_PKfliilPKii
	.globl	_ZN5aiter37dynamic_per_group_scaled_quant_kernelIDF16_DB8_Li32ELi32ELb1ELi64ELb1EEEvPT0_PfPKT_PKfliilPKii
	.p2align	8
	.type	_ZN5aiter37dynamic_per_group_scaled_quant_kernelIDF16_DB8_Li32ELi32ELb1ELi64ELb1EEEvPT0_PfPKT_PKfliilPKii,@function
_ZN5aiter37dynamic_per_group_scaled_quant_kernelIDF16_DB8_Li32ELi32ELb1ELi64ELb1EEEvPT0_PfPKT_PKfliilPKii: ; @_ZN5aiter37dynamic_per_group_scaled_quant_kernelIDF16_DB8_Li32ELi32ELb1ELi64ELb1EEEvPT0_PfPKT_PKfliilPKii
; %bb.0:
	s_load_dwordx2 s[0:1], s[4:5], 0x38
	s_waitcnt lgkmcnt(0)
	s_cmp_eq_u64 s[0:1], 0
	s_cbranch_scc1 .LBB50_2
; %bb.1:
	s_load_dword s2, s[4:5], 0x40
	s_load_dword s3, s[0:1], 0x0
	s_waitcnt lgkmcnt(0)
	s_mul_hi_i32 s9, s3, s2
	s_mul_i32 s8, s3, s2
	s_branch .LBB50_3
.LBB50_2:
	s_load_dwordx2 s[8:9], s[4:5], 0x20
.LBB50_3:
	s_load_dwordx2 s[2:3], s[4:5], 0x28
	s_mov_b32 s7, 0
	s_lshl_b64 s[0:1], s[6:7], 6
	v_or_b32_e32 v10, s0, v0
                                        ; implicit-def: $vgpr8_vgpr9
	s_waitcnt lgkmcnt(0)
	s_ashr_i32 s6, s2, 31
	s_lshr_b32 s6, s6, 27
	s_add_i32 s2, s2, s6
	s_ashr_i32 s16, s2, 5
	s_add_i32 s2, s16, 7
	s_lshr_b32 s6, s2, 29
	s_add_i32 s2, s2, s6
	s_and_b32 s10, s2, -8
	s_ashr_i32 s11, s10, 31
	s_or_b64 s[12:13], s[0:1], s[10:11]
	s_mov_b32 s12, s7
	s_cmp_lg_u64 s[12:13], 0
	s_cselect_b64 s[6:7], -1, 0
	s_and_saveexec_b64 s[12:13], s[6:7]
	s_xor_b64 s[6:7], exec, s[12:13]
	s_cbranch_execz .LBB50_5
; %bb.4:
	s_add_u32 s14, s10, s11
	s_mov_b32 s12, s11
	s_mov_b32 s13, s11
	s_addc_u32 s15, s11, s11
	s_xor_b64 s[14:15], s[14:15], s[12:13]
	v_cvt_f32_u32_e32 v0, s14
	v_cvt_f32_u32_e32 v1, s15
	s_sub_u32 s0, 0, s14
	s_subb_u32 s11, 0, s15
	v_madmk_f32 v0, v1, 0x4f800000, v0
	v_rcp_f32_e32 v0, v0
	v_mul_f32_e32 v0, 0x5f7ffffc, v0
	v_mul_f32_e32 v1, 0x2f800000, v0
	v_trunc_f32_e32 v1, v1
	v_madmk_f32 v0, v1, 0xcf800000, v0
	v_cvt_u32_f32_e32 v1, v1
	v_cvt_u32_f32_e32 v0, v0
	v_mul_lo_u32 v2, s0, v1
	v_mul_hi_u32 v4, s0, v0
	v_mul_lo_u32 v3, s11, v0
	v_add_u32_e32 v2, v4, v2
	v_mul_lo_u32 v5, s0, v0
	v_add_u32_e32 v2, v2, v3
	v_mul_lo_u32 v4, v0, v2
	v_mul_hi_u32 v6, v0, v5
	v_mul_hi_u32 v3, v0, v2
	v_add_co_u32_e32 v4, vcc, v6, v4
	v_addc_co_u32_e32 v3, vcc, 0, v3, vcc
	v_mul_hi_u32 v7, v1, v5
	v_mul_lo_u32 v5, v1, v5
	v_add_co_u32_e32 v4, vcc, v4, v5
	v_mul_hi_u32 v6, v1, v2
	v_addc_co_u32_e32 v3, vcc, v3, v7, vcc
	v_addc_co_u32_e32 v4, vcc, 0, v6, vcc
	v_mul_lo_u32 v2, v1, v2
	v_add_co_u32_e32 v2, vcc, v3, v2
	v_addc_co_u32_e32 v3, vcc, 0, v4, vcc
	v_add_co_u32_e32 v0, vcc, v0, v2
	v_addc_co_u32_e32 v1, vcc, v1, v3, vcc
	v_mul_lo_u32 v2, s0, v1
	v_mul_hi_u32 v3, s0, v0
	v_add_u32_e32 v2, v3, v2
	v_mul_lo_u32 v3, s11, v0
	v_add_u32_e32 v2, v2, v3
	v_mul_lo_u32 v4, s0, v0
	v_mul_hi_u32 v5, v1, v4
	v_mul_lo_u32 v6, v1, v4
	v_mul_lo_u32 v8, v0, v2
	v_mul_hi_u32 v4, v0, v4
	v_mul_hi_u32 v7, v0, v2
	v_add_co_u32_e32 v4, vcc, v4, v8
	v_addc_co_u32_e32 v7, vcc, 0, v7, vcc
	v_add_co_u32_e32 v4, vcc, v4, v6
	v_mul_hi_u32 v3, v1, v2
	v_addc_co_u32_e32 v4, vcc, v7, v5, vcc
	v_addc_co_u32_e32 v3, vcc, 0, v3, vcc
	v_mul_lo_u32 v2, v1, v2
	v_add_co_u32_e32 v2, vcc, v4, v2
	v_addc_co_u32_e32 v3, vcc, 0, v3, vcc
	v_add_co_u32_e32 v2, vcc, v0, v2
	v_addc_co_u32_e32 v3, vcc, v1, v3, vcc
	v_mad_u64_u32 v[0:1], s[18:19], v10, v3, 0
	v_mul_hi_u32 v4, v10, v2
	v_add_co_u32_e32 v4, vcc, v4, v0
	v_addc_co_u32_e32 v5, vcc, 0, v1, vcc
	v_mad_u64_u32 v[0:1], s[18:19], s1, v3, 0
	v_mad_u64_u32 v[2:3], s[18:19], s1, v2, 0
	v_add_co_u32_e32 v2, vcc, v4, v2
	v_addc_co_u32_e32 v2, vcc, v5, v3, vcc
	v_addc_co_u32_e32 v1, vcc, 0, v1, vcc
	v_add_co_u32_e32 v2, vcc, v2, v0
	v_addc_co_u32_e32 v3, vcc, 0, v1, vcc
	v_mul_lo_u32 v4, s15, v2
	v_mul_lo_u32 v5, s14, v3
	v_mad_u64_u32 v[0:1], s[18:19], s14, v2, 0
	v_add3_u32 v1, v1, v5, v4
	v_sub_u32_e32 v4, s1, v1
	v_mov_b32_e32 v5, s15
	v_sub_co_u32_e32 v0, vcc, v10, v0
	v_mov_b32_e32 v6, s1
	v_subb_co_u32_e64 v4, s[0:1], v4, v5, vcc
	v_subrev_co_u32_e64 v5, s[0:1], s14, v0
	v_subbrev_co_u32_e64 v4, s[0:1], 0, v4, s[0:1]
	v_cmp_le_u32_e64 s[0:1], s15, v4
	v_cndmask_b32_e64 v7, 0, -1, s[0:1]
	v_cmp_le_u32_e64 s[0:1], s14, v5
	v_cndmask_b32_e64 v5, 0, -1, s[0:1]
	v_cmp_eq_u32_e64 s[0:1], s15, v4
	v_cndmask_b32_e64 v4, v7, v5, s[0:1]
	v_add_co_u32_e64 v5, s[0:1], 2, v2
	v_subb_co_u32_e32 v1, vcc, v6, v1, vcc
	v_addc_co_u32_e64 v7, s[0:1], 0, v3, s[0:1]
	v_cmp_le_u32_e32 vcc, s15, v1
	v_add_co_u32_e64 v8, s[0:1], 1, v2
	v_cndmask_b32_e64 v6, 0, -1, vcc
	v_cmp_le_u32_e32 vcc, s14, v0
	v_addc_co_u32_e64 v9, s[0:1], 0, v3, s[0:1]
	v_cndmask_b32_e64 v0, 0, -1, vcc
	v_cmp_eq_u32_e32 vcc, s15, v1
	v_cmp_ne_u32_e64 s[0:1], 0, v4
	v_cndmask_b32_e32 v0, v6, v0, vcc
	v_cmp_ne_u32_e32 vcc, 0, v0
	v_cndmask_b32_e64 v1, v8, v5, s[0:1]
	v_cndmask_b32_e64 v4, v9, v7, s[0:1]
	v_cndmask_b32_e32 v1, v2, v1, vcc
	v_cndmask_b32_e32 v0, v3, v4, vcc
	v_xor_b32_e32 v1, s12, v1
	v_xor_b32_e32 v0, s13, v0
	v_mov_b32_e32 v2, s13
	v_subrev_co_u32_e32 v8, vcc, s12, v1
	v_subb_co_u32_e32 v9, vcc, v0, v2, vcc
.LBB50_5:
	s_andn2_saveexec_b64 s[0:1], s[6:7]
	s_cbranch_execz .LBB50_7
; %bb.6:
	v_cvt_f32_u32_e32 v0, s10
	s_sub_i32 s6, 0, s10
	v_mov_b32_e32 v9, 0
	v_rcp_iflag_f32_e32 v0, v0
	v_mul_f32_e32 v0, 0x4f7ffffe, v0
	v_cvt_u32_f32_e32 v0, v0
	v_mul_lo_u32 v1, s6, v0
	v_mul_hi_u32 v1, v0, v1
	v_add_u32_e32 v0, v0, v1
	v_mul_hi_u32 v0, v10, v0
	v_mul_lo_u32 v1, v0, s10
	v_sub_u32_e32 v1, v10, v1
	v_add_u32_e32 v2, 1, v0
	v_subrev_u32_e32 v3, s10, v1
	v_cmp_le_u32_e32 vcc, s10, v1
	v_cndmask_b32_e32 v1, v1, v3, vcc
	v_cndmask_b32_e32 v0, v0, v2, vcc
	v_add_u32_e32 v2, 1, v0
	v_cmp_le_u32_e32 vcc, s10, v1
	v_cndmask_b32_e32 v8, v0, v2, vcc
.LBB50_7:
	s_or_b64 exec, exec, s[0:1]
	v_mad_u64_u32 v[0:1], s[0:1], v8, s10, 0
	v_sub_co_u32_e32 v11, vcc, v10, v0
	v_cmp_gt_i64_e32 vcc, s[8:9], v[8:9]
	v_cmp_gt_i32_e64 s[0:1], s16, v11
	s_and_b64 s[0:1], vcc, s[0:1]
	s_and_saveexec_b64 s[6:7], s[0:1]
	s_cbranch_execz .LBB50_9
; %bb.8:
	s_load_dwordx2 s[0:1], s[4:5], 0x10
	s_load_dwordx4 s[8:11], s[4:5], 0x0
	s_ashr_i32 s6, s3, 31
	v_mul_lo_u32 v2, v9, s3
	v_mul_lo_u32 v3, v8, s6
	v_mad_u64_u32 v[0:1], s[6:7], v8, s3, 0
	v_add3_u32 v1, v1, v3, v2
	v_lshlrev_b64 v[0:1], 1, v[0:1]
	v_lshlrev_b32_e32 v2, 5, v11
	v_mov_b32_e32 v3, 0
	s_waitcnt lgkmcnt(0)
	v_mov_b32_e32 v4, s1
	v_add_co_u32_e32 v5, vcc, s0, v0
	v_addc_co_u32_e32 v4, vcc, v4, v1, vcc
	v_lshlrev_b64 v[0:1], 1, v[2:3]
	v_add_co_u32_e32 v20, vcc, v5, v0
	v_addc_co_u32_e32 v21, vcc, v4, v1, vcc
	global_load_dwordx4 v[12:15], v[20:21], off
	global_load_dwordx4 v[16:19], v[20:21], off offset:16
	global_load_dwordx4 v[4:7], v[20:21], off offset:32
	;; [unrolled: 1-line block ×3, first 2 shown]
	v_ashrrev_i32_e32 v9, 31, v8
	v_lshrrev_b32_e32 v24, 27, v9
	v_lshrrev_b32_e32 v9, 28, v9
	v_add_u32_e32 v24, v8, v24
	v_add_u32_e32 v9, v8, v9
	v_lshrrev_b32_e32 v25, 5, v24
	v_and_b32_e32 v9, 0x3ffffff0, v9
	v_and_b32_e32 v24, 0xffe0, v24
	v_mov_b32_e32 v22, 11
	v_sub_u32_e32 v9, v8, v9
	v_sub_u32_e32 v8, v8, v24
	v_lshrrev_b16_sdwa v22, v22, sext(v8) dst_sel:DWORD dst_unused:UNUSED_PAD src0_sel:DWORD src1_sel:BYTE_0
	v_and_b32_e32 v22, 15, v22
	v_mov_b32_e32 v23, 4
	v_add_u16_e32 v8, v8, v22
	s_ashr_i32 s0, s2, 3
	v_lshlrev_b32_e32 v21, 6, v11
	v_ashrrev_i16_sdwa v8, v23, sext(v8) dst_sel:DWORD dst_unused:UNUSED_PAD src0_sel:DWORD src1_sel:BYTE_0
	v_lshrrev_b32_e32 v20, 3, v11
	v_lshrrev_b32_e32 v11, 1, v11
	v_and_b32_e32 v21, 0xc0, v21
	v_mul_lo_u32 v25, v25, s0
	v_lshlrev_b32_e32 v9, 2, v9
	v_bfe_i32 v8, v8, 0, 16
	v_and_b32_e32 v11, 2, v11
	v_add_lshl_u32 v20, v20, v25, 8
	v_add3_u32 v8, v21, v9, v8
	v_add3_u32 v8, v8, v20, v11
	s_mov_b32 s1, 0x2edbe6ff
	s_movk_i32 s3, 0xff
	s_load_dword s2, s[4:5], 0x30
	s_and_b32 s9, s9, 0xffff
	s_waitcnt vmcnt(3)
	v_cvt_f32_f16_e64 v9, |v12|
	v_cvt_f32_f16_sdwa v11, |v12| dst_sel:DWORD dst_unused:UNUSED_PAD src0_sel:WORD_1
	v_cvt_f32_f16_e64 v20, |v13|
	v_cvt_f32_f16_sdwa v21, |v13| dst_sel:DWORD dst_unused:UNUSED_PAD src0_sel:WORD_1
	;; [unrolled: 2-line block ×4, first 2 shown]
	s_waitcnt vmcnt(2)
	v_cvt_f32_f16_e64 v26, |v16|
	v_cvt_f32_f16_sdwa v27, |v16| dst_sel:DWORD dst_unused:UNUSED_PAD src0_sel:WORD_1
	v_max3_f32 v9, v9, s1, v11
	v_cvt_f32_f16_e64 v28, |v17|
	v_cvt_f32_f16_sdwa v29, |v17| dst_sel:DWORD dst_unused:UNUSED_PAD src0_sel:WORD_1
	v_max3_f32 v9, v9, v20, v21
	v_cvt_f32_f16_e64 v30, |v18|
	v_cvt_f32_f16_sdwa v31, |v18| dst_sel:DWORD dst_unused:UNUSED_PAD src0_sel:WORD_1
	v_max3_f32 v9, v9, v22, v23
	v_cvt_f32_f16_e64 v32, |v19|
	v_cvt_f32_f16_sdwa v33, |v19| dst_sel:DWORD dst_unused:UNUSED_PAD src0_sel:WORD_1
	v_max3_f32 v9, v9, v24, v25
	s_waitcnt vmcnt(1)
	v_cvt_f32_f16_e64 v34, |v4|
	v_cvt_f32_f16_sdwa v35, |v4| dst_sel:DWORD dst_unused:UNUSED_PAD src0_sel:WORD_1
	v_max3_f32 v9, v9, v26, v27
	v_cvt_f32_f16_e64 v36, |v5|
	v_cvt_f32_f16_sdwa v37, |v5| dst_sel:DWORD dst_unused:UNUSED_PAD src0_sel:WORD_1
	v_max3_f32 v9, v9, v28, v29
	v_cvt_f32_f16_e64 v38, |v6|
	v_cvt_f32_f16_sdwa v39, |v6| dst_sel:DWORD dst_unused:UNUSED_PAD src0_sel:WORD_1
	v_max3_f32 v9, v9, v30, v31
	v_cvt_f32_f16_e64 v40, |v7|
	v_cvt_f32_f16_sdwa v41, |v7| dst_sel:DWORD dst_unused:UNUSED_PAD src0_sel:WORD_1
	v_max3_f32 v9, v9, v32, v33
	;; [unrolled: 13-line block ×3, first 2 shown]
	v_max3_f32 v9, v9, v42, v43
	v_max3_f32 v9, v9, v44, v45
	;; [unrolled: 1-line block ×4, first 2 shown]
	v_mul_f32_e32 v9, 0x3b124925, v9
	v_bfe_u32 v11, v9, 23, 8
	v_and_b32_e32 v9, 0x7fffff, v9
	v_cmp_ne_u32_e32 vcc, s3, v11
	v_cmp_ne_u32_e64 s[0:1], 0, v9
	s_and_b64 vcc, s[0:1], vcc
	v_addc_co_u32_e32 v11, vcc, 0, v11, vcc
	v_lshlrev_b32_e32 v20, 23, v11
	v_div_scale_f32 v22, s[0:1], v20, v20, 1.0
	v_rcp_f32_e32 v23, v22
	v_ashrrev_i32_e32 v9, 31, v8
	v_mov_b32_e32 v21, s11
	v_add_co_u32_e32 v8, vcc, s10, v8
	v_addc_co_u32_e32 v9, vcc, v21, v9, vcc
	global_store_byte v[8:9], v11, off
	v_fma_f32 v8, -v22, v23, 1.0
	v_fmac_f32_e32 v23, v8, v23
	v_div_scale_f32 v8, vcc, 1.0, v20, 1.0
	v_mul_f32_e32 v9, v8, v23
	v_fma_f32 v11, -v22, v9, v8
	v_fmac_f32_e32 v9, v11, v23
	v_fma_f32 v8, -v22, v9, v8
	v_div_fmas_f32 v8, v8, v23, v9
	v_div_fixup_f32 v20, v8, v20, 1.0
	v_cvt_f32_f16_e32 v8, v12
	v_cvt_f32_f16_sdwa v9, v12 dst_sel:DWORD dst_unused:UNUSED_PAD src0_sel:WORD_1
	v_mov_b32_e32 v21, v20
	;;#ASMSTART
	v_pk_mul_f32 v[8:9], v[8:9], v[20:21]
	;;#ASMEND
	v_mov_b32_e32 v27, 0xc3e00000
	v_mov_b32_e32 v28, 0x43e00000
	;;#ASMSTART
	v_med3_f32 v8, v8, v27, v28
v_med3_f32 v9, v9, v27, v28
v_cvt_pk_fp8_f32 v29, v8, v9
	;;#ASMEND
	v_lshlrev_b32_e32 v26, 5, v10
	v_cvt_f32_f16_e32 v10, v13
	v_cvt_f32_f16_sdwa v11, v13 dst_sel:DWORD dst_unused:UNUSED_PAD src0_sel:WORD_1
	;;#ASMSTART
	v_pk_mul_f32 v[8:9], v[10:11], v[20:21]
	;;#ASMEND
	;;#ASMSTART
	v_med3_f32 v8, v8, v27, v28
v_med3_f32 v9, v9, v27, v28
v_cvt_pk_fp8_f32 v10, v8, v9
	;;#ASMEND
	s_mov_b32 s0, 0x5040100
	v_perm_b32 v8, v10, v29, s0
	s_mov_b32 s1, 0x1060504
	v_cvt_f32_f16_e32 v12, v14
	v_cvt_f32_f16_sdwa v13, v14 dst_sel:DWORD dst_unused:UNUSED_PAD src0_sel:WORD_1
	v_perm_b32 v8, v8, v10, s1
	;;#ASMSTART
	v_pk_mul_f32 v[10:11], v[12:13], v[20:21]
	;;#ASMEND
	v_mov_b32_e32 v9, v11
	;;#ASMSTART
	v_med3_f32 v10, v10, v27, v28
v_med3_f32 v9, v9, v27, v28
v_cvt_pk_fp8_f32 v12, v10, v9
	;;#ASMEND
	v_cvt_f32_f16_e32 v14, v15
	v_cvt_f32_f16_sdwa v15, v15 dst_sel:DWORD dst_unused:UNUSED_PAD src0_sel:WORD_1
	;;#ASMSTART
	v_pk_mul_f32 v[10:11], v[14:15], v[20:21]
	;;#ASMEND
	v_mov_b32_e32 v9, v10
	s_waitcnt lgkmcnt(0)
	s_mov_b32 s10, s2
	;;#ASMSTART
	v_med3_f32 v9, v9, v27, v28
v_med3_f32 v11, v11, v27, v28
v_cvt_pk_fp8_f32 v10, v9, v11
	;;#ASMEND
	s_mov_b32 s2, 0x1000504
	v_cvt_f32_f16_e32 v22, v16
	v_cvt_f32_f16_sdwa v23, v16 dst_sel:DWORD dst_unused:UNUSED_PAD src0_sel:WORD_1
	v_perm_b32 v9, v12, v10, s2
	;;#ASMSTART
	v_pk_mul_f32 v[10:11], v[22:23], v[20:21]
	;;#ASMEND
	;;#ASMSTART
	v_med3_f32 v10, v10, v27, v28
v_med3_f32 v11, v11, v27, v28
v_cvt_pk_fp8_f32 v12, v10, v11
	;;#ASMEND
	v_cvt_f32_f16_e32 v16, v17
	v_cvt_f32_f16_sdwa v17, v17 dst_sel:DWORD dst_unused:UNUSED_PAD src0_sel:WORD_1
	;;#ASMSTART
	v_pk_mul_f32 v[10:11], v[16:17], v[20:21]
	;;#ASMEND
	;;#ASMSTART
	v_med3_f32 v10, v10, v27, v28
v_med3_f32 v11, v11, v27, v28
v_cvt_pk_fp8_f32 v13, v10, v11
	;;#ASMEND
	v_cvt_f32_f16_e32 v24, v18
	v_cvt_f32_f16_sdwa v25, v18 dst_sel:DWORD dst_unused:UNUSED_PAD src0_sel:WORD_1
	v_perm_b32 v10, v12, v13, s2
	;;#ASMSTART
	v_pk_mul_f32 v[12:13], v[24:25], v[20:21]
	;;#ASMEND
	v_mov_b32_e32 v11, v13
	;;#ASMSTART
	v_med3_f32 v12, v12, v27, v28
v_med3_f32 v11, v11, v27, v28
v_cvt_pk_fp8_f32 v14, v12, v11
	;;#ASMEND
	v_cvt_f32_f16_e32 v18, v19
	v_cvt_f32_f16_sdwa v19, v19 dst_sel:DWORD dst_unused:UNUSED_PAD src0_sel:WORD_1
	;;#ASMSTART
	v_pk_mul_f32 v[12:13], v[18:19], v[20:21]
	;;#ASMEND
	v_mov_b32_e32 v11, v12
	;;#ASMSTART
	v_med3_f32 v11, v11, v27, v28
v_med3_f32 v13, v13, v27, v28
v_cvt_pk_fp8_f32 v12, v11, v13
	;;#ASMEND
	s_mov_b32 s11, 0x20000
	v_perm_b32 v11, v14, v12, s2
	buffer_store_dwordx4 v[8:11], v26, s[8:11], 0 offen
	;;#ASMSTART
	s_nop 0
	;;#ASMEND
	v_cvt_f32_f16_e32 v12, v0
	v_cvt_f32_f16_e32 v8, v4
	v_cvt_f32_f16_sdwa v9, v4 dst_sel:DWORD dst_unused:UNUSED_PAD src0_sel:WORD_1
	v_cvt_f32_f16_sdwa v13, v0 dst_sel:DWORD dst_unused:UNUSED_PAD src0_sel:WORD_1
	v_cvt_f32_f16_e32 v14, v1
	v_cvt_f32_f16_sdwa v15, v1 dst_sel:DWORD dst_unused:UNUSED_PAD src0_sel:WORD_1
	;;#ASMSTART
	v_pk_mul_f32 v[0:1], v[8:9], v[20:21]
	;;#ASMEND
	v_cvt_f32_f16_e32 v16, v2
	v_cvt_f32_f16_sdwa v17, v2 dst_sel:DWORD dst_unused:UNUSED_PAD src0_sel:WORD_1
	;;#ASMSTART
	v_med3_f32 v0, v0, v27, v28
v_med3_f32 v1, v1, v27, v28
v_cvt_pk_fp8_f32 v2, v0, v1
	;;#ASMEND
	v_cvt_f32_f16_e32 v4, v5
	v_cvt_f32_f16_sdwa v5, v5 dst_sel:DWORD dst_unused:UNUSED_PAD src0_sel:WORD_1
	;;#ASMSTART
	v_pk_mul_f32 v[0:1], v[4:5], v[20:21]
	;;#ASMEND
	v_cvt_f32_f16_e32 v18, v3
	v_cvt_f32_f16_sdwa v19, v3 dst_sel:DWORD dst_unused:UNUSED_PAD src0_sel:WORD_1
	;;#ASMSTART
	v_med3_f32 v0, v0, v27, v28
v_med3_f32 v1, v1, v27, v28
v_cvt_pk_fp8_f32 v3, v0, v1
	;;#ASMEND
	v_perm_b32 v0, v3, v2, s0
	v_cvt_f32_f16_e32 v10, v6
	v_cvt_f32_f16_sdwa v11, v6 dst_sel:DWORD dst_unused:UNUSED_PAD src0_sel:WORD_1
	v_perm_b32 v0, v0, v3, s1
	;;#ASMSTART
	v_pk_mul_f32 v[2:3], v[10:11], v[20:21]
	;;#ASMEND
	v_mov_b32_e32 v1, v3
	;;#ASMSTART
	v_med3_f32 v2, v2, v27, v28
v_med3_f32 v1, v1, v27, v28
v_cvt_pk_fp8_f32 v4, v2, v1
	;;#ASMEND
	v_cvt_f32_f16_e32 v6, v7
	v_cvt_f32_f16_sdwa v7, v7 dst_sel:DWORD dst_unused:UNUSED_PAD src0_sel:WORD_1
	;;#ASMSTART
	v_pk_mul_f32 v[2:3], v[6:7], v[20:21]
	;;#ASMEND
	v_mov_b32_e32 v1, v2
	;;#ASMSTART
	v_med3_f32 v1, v1, v27, v28
v_med3_f32 v3, v3, v27, v28
v_cvt_pk_fp8_f32 v2, v1, v3
	;;#ASMEND
	v_perm_b32 v1, v4, v2, s2
	;;#ASMSTART
	v_pk_mul_f32 v[2:3], v[12:13], v[20:21]
	;;#ASMEND
	;;#ASMSTART
	v_med3_f32 v2, v2, v27, v28
v_med3_f32 v3, v3, v27, v28
v_cvt_pk_fp8_f32 v4, v2, v3
	;;#ASMEND
	;;#ASMSTART
	v_pk_mul_f32 v[2:3], v[14:15], v[20:21]
	;;#ASMEND
	;;#ASMSTART
	v_med3_f32 v2, v2, v27, v28
v_med3_f32 v3, v3, v27, v28
v_cvt_pk_fp8_f32 v5, v2, v3
	;;#ASMEND
	v_perm_b32 v2, v4, v5, s2
	;;#ASMSTART
	v_pk_mul_f32 v[4:5], v[16:17], v[20:21]
	;;#ASMEND
	v_mov_b32_e32 v3, v5
	;;#ASMSTART
	v_med3_f32 v4, v4, v27, v28
v_med3_f32 v3, v3, v27, v28
v_cvt_pk_fp8_f32 v6, v4, v3
	;;#ASMEND
	;;#ASMSTART
	v_pk_mul_f32 v[4:5], v[18:19], v[20:21]
	;;#ASMEND
	v_mov_b32_e32 v3, v4
	;;#ASMSTART
	v_med3_f32 v3, v3, v27, v28
v_med3_f32 v5, v5, v27, v28
v_cvt_pk_fp8_f32 v4, v3, v5
	;;#ASMEND
	v_perm_b32 v3, v6, v4, s2
	buffer_store_dwordx4 v[0:3], v26, s[8:11], 16 offen
	;;#ASMSTART
	s_nop 0
	;;#ASMEND
.LBB50_9:
	s_endpgm
	.section	.rodata,"a",@progbits
	.p2align	6, 0x0
	.amdhsa_kernel _ZN5aiter37dynamic_per_group_scaled_quant_kernelIDF16_DB8_Li32ELi32ELb1ELi64ELb1EEEvPT0_PfPKT_PKfliilPKii
		.amdhsa_group_segment_fixed_size 0
		.amdhsa_private_segment_fixed_size 0
		.amdhsa_kernarg_size 68
		.amdhsa_user_sgpr_count 6
		.amdhsa_user_sgpr_private_segment_buffer 1
		.amdhsa_user_sgpr_dispatch_ptr 0
		.amdhsa_user_sgpr_queue_ptr 0
		.amdhsa_user_sgpr_kernarg_segment_ptr 1
		.amdhsa_user_sgpr_dispatch_id 0
		.amdhsa_user_sgpr_flat_scratch_init 0
		.amdhsa_user_sgpr_kernarg_preload_length 0
		.amdhsa_user_sgpr_kernarg_preload_offset 0
		.amdhsa_user_sgpr_private_segment_size 0
		.amdhsa_uses_dynamic_stack 0
		.amdhsa_system_sgpr_private_segment_wavefront_offset 0
		.amdhsa_system_sgpr_workgroup_id_x 1
		.amdhsa_system_sgpr_workgroup_id_y 0
		.amdhsa_system_sgpr_workgroup_id_z 0
		.amdhsa_system_sgpr_workgroup_info 0
		.amdhsa_system_vgpr_workitem_id 0
		.amdhsa_next_free_vgpr 50
		.amdhsa_next_free_sgpr 20
		.amdhsa_accum_offset 52
		.amdhsa_reserve_vcc 1
		.amdhsa_reserve_flat_scratch 0
		.amdhsa_float_round_mode_32 0
		.amdhsa_float_round_mode_16_64 0
		.amdhsa_float_denorm_mode_32 3
		.amdhsa_float_denorm_mode_16_64 3
		.amdhsa_dx10_clamp 1
		.amdhsa_ieee_mode 1
		.amdhsa_fp16_overflow 0
		.amdhsa_tg_split 0
		.amdhsa_exception_fp_ieee_invalid_op 0
		.amdhsa_exception_fp_denorm_src 0
		.amdhsa_exception_fp_ieee_div_zero 0
		.amdhsa_exception_fp_ieee_overflow 0
		.amdhsa_exception_fp_ieee_underflow 0
		.amdhsa_exception_fp_ieee_inexact 0
		.amdhsa_exception_int_div_zero 0
	.end_amdhsa_kernel
	.section	.text._ZN5aiter37dynamic_per_group_scaled_quant_kernelIDF16_DB8_Li32ELi32ELb1ELi64ELb1EEEvPT0_PfPKT_PKfliilPKii,"axG",@progbits,_ZN5aiter37dynamic_per_group_scaled_quant_kernelIDF16_DB8_Li32ELi32ELb1ELi64ELb1EEEvPT0_PfPKT_PKfliilPKii,comdat
.Lfunc_end50:
	.size	_ZN5aiter37dynamic_per_group_scaled_quant_kernelIDF16_DB8_Li32ELi32ELb1ELi64ELb1EEEvPT0_PfPKT_PKfliilPKii, .Lfunc_end50-_ZN5aiter37dynamic_per_group_scaled_quant_kernelIDF16_DB8_Li32ELi32ELb1ELi64ELb1EEEvPT0_PfPKT_PKfliilPKii
                                        ; -- End function
	.section	.AMDGPU.csdata,"",@progbits
; Kernel info:
; codeLenInByte = 2728
; NumSgprs: 24
; NumVgprs: 50
; NumAgprs: 0
; TotalNumVgprs: 50
; ScratchSize: 0
; MemoryBound: 0
; FloatMode: 240
; IeeeMode: 1
; LDSByteSize: 0 bytes/workgroup (compile time only)
; SGPRBlocks: 2
; VGPRBlocks: 6
; NumSGPRsForWavesPerEU: 24
; NumVGPRsForWavesPerEU: 50
; AccumOffset: 52
; Occupancy: 8
; WaveLimiterHint : 0
; COMPUTE_PGM_RSRC2:SCRATCH_EN: 0
; COMPUTE_PGM_RSRC2:USER_SGPR: 6
; COMPUTE_PGM_RSRC2:TRAP_HANDLER: 0
; COMPUTE_PGM_RSRC2:TGID_X_EN: 1
; COMPUTE_PGM_RSRC2:TGID_Y_EN: 0
; COMPUTE_PGM_RSRC2:TGID_Z_EN: 0
; COMPUTE_PGM_RSRC2:TIDIG_COMP_CNT: 0
; COMPUTE_PGM_RSRC3_GFX90A:ACCUM_OFFSET: 12
; COMPUTE_PGM_RSRC3_GFX90A:TG_SPLIT: 0
	.section	.text._ZN5aiter37dynamic_per_group_scaled_quant_kernelItDB8_Li32ELi32ELb1ELi64ELb1EEEvPT0_PfPKT_PKfliilPKii,"axG",@progbits,_ZN5aiter37dynamic_per_group_scaled_quant_kernelItDB8_Li32ELi32ELb1ELi64ELb1EEEvPT0_PfPKT_PKfliilPKii,comdat
	.protected	_ZN5aiter37dynamic_per_group_scaled_quant_kernelItDB8_Li32ELi32ELb1ELi64ELb1EEEvPT0_PfPKT_PKfliilPKii ; -- Begin function _ZN5aiter37dynamic_per_group_scaled_quant_kernelItDB8_Li32ELi32ELb1ELi64ELb1EEEvPT0_PfPKT_PKfliilPKii
	.globl	_ZN5aiter37dynamic_per_group_scaled_quant_kernelItDB8_Li32ELi32ELb1ELi64ELb1EEEvPT0_PfPKT_PKfliilPKii
	.p2align	8
	.type	_ZN5aiter37dynamic_per_group_scaled_quant_kernelItDB8_Li32ELi32ELb1ELi64ELb1EEEvPT0_PfPKT_PKfliilPKii,@function
_ZN5aiter37dynamic_per_group_scaled_quant_kernelItDB8_Li32ELi32ELb1ELi64ELb1EEEvPT0_PfPKT_PKfliilPKii: ; @_ZN5aiter37dynamic_per_group_scaled_quant_kernelItDB8_Li32ELi32ELb1ELi64ELb1EEEvPT0_PfPKT_PKfliilPKii
; %bb.0:
	s_load_dwordx2 s[0:1], s[4:5], 0x38
	s_waitcnt lgkmcnt(0)
	s_cmp_eq_u64 s[0:1], 0
	s_cbranch_scc1 .LBB51_2
; %bb.1:
	s_load_dword s2, s[4:5], 0x40
	s_load_dword s3, s[0:1], 0x0
	s_waitcnt lgkmcnt(0)
	s_mul_hi_i32 s9, s3, s2
	s_mul_i32 s8, s3, s2
	s_branch .LBB51_3
.LBB51_2:
	s_load_dwordx2 s[8:9], s[4:5], 0x20
.LBB51_3:
	s_load_dwordx2 s[2:3], s[4:5], 0x28
	s_mov_b32 s7, 0
	s_lshl_b64 s[0:1], s[6:7], 6
	v_or_b32_e32 v2, s0, v0
                                        ; implicit-def: $vgpr0_vgpr1
	s_waitcnt lgkmcnt(0)
	s_ashr_i32 s6, s2, 31
	s_lshr_b32 s6, s6, 27
	s_add_i32 s2, s2, s6
	s_ashr_i32 s16, s2, 5
	s_add_i32 s2, s16, 7
	s_lshr_b32 s6, s2, 29
	s_add_i32 s2, s2, s6
	s_and_b32 s10, s2, -8
	s_ashr_i32 s11, s10, 31
	s_or_b64 s[12:13], s[0:1], s[10:11]
	s_mov_b32 s12, s7
	s_cmp_lg_u64 s[12:13], 0
	s_cselect_b64 s[6:7], -1, 0
	s_and_saveexec_b64 s[12:13], s[6:7]
	s_xor_b64 s[6:7], exec, s[12:13]
	s_cbranch_execz .LBB51_5
; %bb.4:
	s_add_u32 s14, s10, s11
	s_mov_b32 s12, s11
	s_mov_b32 s13, s11
	s_addc_u32 s15, s11, s11
	s_xor_b64 s[14:15], s[14:15], s[12:13]
	v_cvt_f32_u32_e32 v0, s14
	v_cvt_f32_u32_e32 v1, s15
	s_sub_u32 s0, 0, s14
	s_subb_u32 s11, 0, s15
	v_madmk_f32 v0, v1, 0x4f800000, v0
	v_rcp_f32_e32 v0, v0
	v_mul_f32_e32 v0, 0x5f7ffffc, v0
	v_mul_f32_e32 v1, 0x2f800000, v0
	v_trunc_f32_e32 v1, v1
	v_madmk_f32 v0, v1, 0xcf800000, v0
	v_cvt_u32_f32_e32 v1, v1
	v_cvt_u32_f32_e32 v0, v0
	v_mul_lo_u32 v3, s0, v1
	v_mul_hi_u32 v5, s0, v0
	v_mul_lo_u32 v4, s11, v0
	v_add_u32_e32 v3, v5, v3
	v_mul_lo_u32 v6, s0, v0
	v_add_u32_e32 v3, v3, v4
	v_mul_lo_u32 v5, v0, v3
	v_mul_hi_u32 v7, v0, v6
	v_mul_hi_u32 v4, v0, v3
	v_add_co_u32_e32 v5, vcc, v7, v5
	v_addc_co_u32_e32 v4, vcc, 0, v4, vcc
	v_mul_hi_u32 v8, v1, v6
	v_mul_lo_u32 v6, v1, v6
	v_add_co_u32_e32 v5, vcc, v5, v6
	v_mul_hi_u32 v7, v1, v3
	v_addc_co_u32_e32 v4, vcc, v4, v8, vcc
	v_addc_co_u32_e32 v5, vcc, 0, v7, vcc
	v_mul_lo_u32 v3, v1, v3
	v_add_co_u32_e32 v3, vcc, v4, v3
	v_addc_co_u32_e32 v4, vcc, 0, v5, vcc
	v_add_co_u32_e32 v0, vcc, v0, v3
	v_addc_co_u32_e32 v1, vcc, v1, v4, vcc
	v_mul_lo_u32 v3, s0, v1
	v_mul_hi_u32 v4, s0, v0
	v_add_u32_e32 v3, v4, v3
	v_mul_lo_u32 v4, s11, v0
	v_add_u32_e32 v3, v3, v4
	v_mul_lo_u32 v5, s0, v0
	v_mul_hi_u32 v6, v1, v5
	v_mul_lo_u32 v7, v1, v5
	v_mul_lo_u32 v9, v0, v3
	v_mul_hi_u32 v5, v0, v5
	v_mul_hi_u32 v8, v0, v3
	v_add_co_u32_e32 v5, vcc, v5, v9
	v_addc_co_u32_e32 v8, vcc, 0, v8, vcc
	v_add_co_u32_e32 v5, vcc, v5, v7
	v_mul_hi_u32 v4, v1, v3
	v_addc_co_u32_e32 v5, vcc, v8, v6, vcc
	v_addc_co_u32_e32 v4, vcc, 0, v4, vcc
	v_mul_lo_u32 v3, v1, v3
	v_add_co_u32_e32 v3, vcc, v5, v3
	v_addc_co_u32_e32 v4, vcc, 0, v4, vcc
	v_add_co_u32_e32 v3, vcc, v0, v3
	v_addc_co_u32_e32 v4, vcc, v1, v4, vcc
	v_mad_u64_u32 v[0:1], s[18:19], v2, v4, 0
	v_mul_hi_u32 v5, v2, v3
	v_add_co_u32_e32 v6, vcc, v5, v0
	v_addc_co_u32_e32 v7, vcc, 0, v1, vcc
	v_mad_u64_u32 v[0:1], s[18:19], s1, v4, 0
	v_mad_u64_u32 v[4:5], s[18:19], s1, v3, 0
	v_add_co_u32_e32 v3, vcc, v6, v4
	v_addc_co_u32_e32 v3, vcc, v7, v5, vcc
	v_addc_co_u32_e32 v1, vcc, 0, v1, vcc
	v_add_co_u32_e32 v3, vcc, v3, v0
	v_addc_co_u32_e32 v4, vcc, 0, v1, vcc
	v_mul_lo_u32 v5, s15, v3
	v_mul_lo_u32 v6, s14, v4
	v_mad_u64_u32 v[0:1], s[18:19], s14, v3, 0
	v_add3_u32 v1, v1, v6, v5
	v_sub_u32_e32 v5, s1, v1
	v_mov_b32_e32 v6, s15
	v_sub_co_u32_e32 v0, vcc, v2, v0
	v_mov_b32_e32 v8, s1
	v_subb_co_u32_e64 v5, s[0:1], v5, v6, vcc
	v_subrev_co_u32_e64 v6, s[0:1], s14, v0
	v_subbrev_co_u32_e64 v5, s[0:1], 0, v5, s[0:1]
	v_cmp_le_u32_e64 s[0:1], s15, v5
	v_cndmask_b32_e64 v7, 0, -1, s[0:1]
	v_cmp_le_u32_e64 s[0:1], s14, v6
	v_cndmask_b32_e64 v6, 0, -1, s[0:1]
	v_cmp_eq_u32_e64 s[0:1], s15, v5
	v_cndmask_b32_e64 v5, v7, v6, s[0:1]
	v_add_co_u32_e64 v6, s[0:1], 2, v3
	v_addc_co_u32_e64 v7, s[0:1], 0, v4, s[0:1]
	v_add_co_u32_e64 v9, s[0:1], 1, v3
	v_addc_co_u32_e64 v10, s[0:1], 0, v4, s[0:1]
	v_subb_co_u32_e32 v1, vcc, v8, v1, vcc
	v_cmp_ne_u32_e64 s[0:1], 0, v5
	v_cmp_le_u32_e32 vcc, s15, v1
	v_cndmask_b32_e64 v5, v10, v7, s[0:1]
	v_cndmask_b32_e64 v7, 0, -1, vcc
	v_cmp_le_u32_e32 vcc, s14, v0
	v_cndmask_b32_e64 v0, 0, -1, vcc
	v_cmp_eq_u32_e32 vcc, s15, v1
	v_cndmask_b32_e32 v0, v7, v0, vcc
	v_cmp_ne_u32_e32 vcc, 0, v0
	v_cndmask_b32_e64 v1, v9, v6, s[0:1]
	v_cndmask_b32_e32 v0, v4, v5, vcc
	v_cndmask_b32_e32 v1, v3, v1, vcc
	v_xor_b32_e32 v3, s13, v0
	v_xor_b32_e32 v0, s12, v1
	v_mov_b32_e32 v1, s13
	v_subrev_co_u32_e32 v0, vcc, s12, v0
	v_subb_co_u32_e32 v1, vcc, v3, v1, vcc
.LBB51_5:
	s_andn2_saveexec_b64 s[0:1], s[6:7]
	s_cbranch_execz .LBB51_7
; %bb.6:
	v_cvt_f32_u32_e32 v0, s10
	s_sub_i32 s6, 0, s10
	v_rcp_iflag_f32_e32 v0, v0
	v_mul_f32_e32 v0, 0x4f7ffffe, v0
	v_cvt_u32_f32_e32 v0, v0
	v_mul_lo_u32 v1, s6, v0
	v_mul_hi_u32 v1, v0, v1
	v_add_u32_e32 v0, v0, v1
	v_mul_hi_u32 v0, v2, v0
	v_mul_lo_u32 v1, v0, s10
	v_sub_u32_e32 v1, v2, v1
	v_add_u32_e32 v3, 1, v0
	v_subrev_u32_e32 v4, s10, v1
	v_cmp_le_u32_e32 vcc, s10, v1
	v_cndmask_b32_e32 v1, v1, v4, vcc
	v_cndmask_b32_e32 v0, v0, v3, vcc
	v_add_u32_e32 v3, 1, v0
	v_cmp_le_u32_e32 vcc, s10, v1
	v_cndmask_b32_e32 v0, v0, v3, vcc
	v_mov_b32_e32 v1, 0
.LBB51_7:
	s_or_b64 exec, exec, s[0:1]
	v_mad_u64_u32 v[4:5], s[0:1], v0, s10, 0
	v_sub_co_u32_e32 v3, vcc, v2, v4
	v_cmp_gt_i64_e32 vcc, s[8:9], v[0:1]
	v_cmp_gt_i32_e64 s[0:1], s16, v3
	s_and_b64 s[0:1], vcc, s[0:1]
	s_and_saveexec_b64 s[6:7], s[0:1]
	s_cbranch_execz .LBB51_9
; %bb.8:
	s_load_dwordx2 s[0:1], s[4:5], 0x10
	s_load_dwordx4 s[8:11], s[4:5], 0x0
	s_ashr_i32 s6, s3, 31
	v_mul_lo_u32 v1, v1, s3
	v_mul_lo_u32 v6, v0, s6
	v_mad_u64_u32 v[4:5], s[6:7], v0, s3, 0
	v_add3_u32 v5, v5, v6, v1
	v_lshlrev_b64 v[4:5], 1, v[4:5]
	v_lshlrev_b32_e32 v6, 5, v3
	v_mov_b32_e32 v7, 0
	s_waitcnt lgkmcnt(0)
	v_mov_b32_e32 v1, s1
	v_add_co_u32_e32 v8, vcc, s0, v4
	v_addc_co_u32_e32 v1, vcc, v1, v5, vcc
	v_lshlrev_b64 v[4:5], 1, v[6:7]
	v_add_co_u32_e32 v20, vcc, v8, v4
	v_addc_co_u32_e32 v21, vcc, v1, v5, vcc
	global_load_dwordx4 v[4:7], v[20:21], off
	global_load_dwordx4 v[8:11], v[20:21], off offset:16
	global_load_dwordx4 v[12:15], v[20:21], off offset:32
	;; [unrolled: 1-line block ×3, first 2 shown]
	v_ashrrev_i32_e32 v1, 31, v0
	v_lshrrev_b32_e32 v24, 27, v1
	v_lshrrev_b32_e32 v1, 28, v1
	v_add_u32_e32 v24, v0, v24
	v_add_u32_e32 v1, v0, v1
	v_lshrrev_b32_e32 v25, 5, v24
	v_and_b32_e32 v1, 0x3ffffff0, v1
	v_and_b32_e32 v24, 0xffe0, v24
	v_mov_b32_e32 v22, 11
	v_sub_u32_e32 v1, v0, v1
	v_sub_u32_e32 v0, v0, v24
	v_lshrrev_b16_sdwa v22, v22, sext(v0) dst_sel:DWORD dst_unused:UNUSED_PAD src0_sel:DWORD src1_sel:BYTE_0
	v_and_b32_e32 v22, 15, v22
	v_mov_b32_e32 v23, 4
	v_add_u16_e32 v0, v0, v22
	s_ashr_i32 s0, s2, 3
	v_lshlrev_b32_e32 v21, 6, v3
	v_ashrrev_i16_sdwa v0, v23, sext(v0) dst_sel:DWORD dst_unused:UNUSED_PAD src0_sel:DWORD src1_sel:BYTE_0
	v_lshrrev_b32_e32 v20, 3, v3
	v_lshrrev_b32_e32 v3, 1, v3
	v_and_b32_e32 v21, 0xc0, v21
	v_mul_lo_u32 v25, v25, s0
	v_lshlrev_b32_e32 v1, 2, v1
	v_bfe_i32 v0, v0, 0, 16
	v_and_b32_e32 v3, 2, v3
	v_add_lshl_u32 v20, v20, v25, 8
	v_add3_u32 v0, v21, v1, v0
	v_add3_u32 v3, v0, v20, v3
	s_mov_b32 s1, 0x2edbe6ff
	s_movk_i32 s3, 0xff
	v_mov_b32_e32 v38, s11
	s_load_dword s2, s[4:5], 0x30
	s_and_b32 s9, s9, 0xffff
	s_mov_b32 s11, 0x20000
	s_waitcnt vmcnt(3)
	v_cvt_f32_u32_sdwa v1, v4 dst_sel:DWORD dst_unused:UNUSED_PAD src0_sel:WORD_1
	v_cvt_f32_u32_sdwa v0, v4 dst_sel:DWORD dst_unused:UNUSED_PAD src0_sel:WORD_0
	v_cvt_f32_u32_sdwa v21, v5 dst_sel:DWORD dst_unused:UNUSED_PAD src0_sel:WORD_1
	v_cvt_f32_u32_sdwa v20, v5 dst_sel:DWORD dst_unused:UNUSED_PAD src0_sel:WORD_0
	v_cvt_f32_u32_sdwa v5, v6 dst_sel:DWORD dst_unused:UNUSED_PAD src0_sel:WORD_1
	v_cvt_f32_u32_sdwa v4, v6 dst_sel:DWORD dst_unused:UNUSED_PAD src0_sel:WORD_0
	v_cvt_f32_u32_sdwa v23, v7 dst_sel:DWORD dst_unused:UNUSED_PAD src0_sel:WORD_1
	v_cvt_f32_u32_sdwa v22, v7 dst_sel:DWORD dst_unused:UNUSED_PAD src0_sel:WORD_0
	s_waitcnt vmcnt(2)
	v_cvt_f32_u32_sdwa v7, v8 dst_sel:DWORD dst_unused:UNUSED_PAD src0_sel:WORD_1
	v_cvt_f32_u32_sdwa v6, v8 dst_sel:DWORD dst_unused:UNUSED_PAD src0_sel:WORD_0
	v_cvt_f32_u32_sdwa v25, v9 dst_sel:DWORD dst_unused:UNUSED_PAD src0_sel:WORD_1
	v_cvt_f32_u32_sdwa v24, v9 dst_sel:DWORD dst_unused:UNUSED_PAD src0_sel:WORD_0
	v_cvt_f32_u32_sdwa v9, v10 dst_sel:DWORD dst_unused:UNUSED_PAD src0_sel:WORD_1
	v_cvt_f32_u32_sdwa v8, v10 dst_sel:DWORD dst_unused:UNUSED_PAD src0_sel:WORD_0
	v_cvt_f32_u32_sdwa v27, v11 dst_sel:DWORD dst_unused:UNUSED_PAD src0_sel:WORD_1
	v_cvt_f32_u32_sdwa v26, v11 dst_sel:DWORD dst_unused:UNUSED_PAD src0_sel:WORD_0
	;; [unrolled: 9-line block ×3, first 2 shown]
	s_waitcnt vmcnt(0)
	v_cvt_f32_u32_sdwa v15, v16 dst_sel:DWORD dst_unused:UNUSED_PAD src0_sel:WORD_1
	v_cvt_f32_u32_sdwa v14, v16 dst_sel:DWORD dst_unused:UNUSED_PAD src0_sel:WORD_0
	v_cvt_f32_u32_sdwa v33, v17 dst_sel:DWORD dst_unused:UNUSED_PAD src0_sel:WORD_1
	v_cvt_f32_u32_sdwa v32, v17 dst_sel:DWORD dst_unused:UNUSED_PAD src0_sel:WORD_0
	;; [unrolled: 2-line block ×3, first 2 shown]
	v_max3_f32 v18, v0, s1, v1
	v_max3_f32 v18, v18, v20, v21
	;; [unrolled: 1-line block ×11, first 2 shown]
	v_cvt_f32_u32_sdwa v35, v19 dst_sel:DWORD dst_unused:UNUSED_PAD src0_sel:WORD_1
	v_cvt_f32_u32_sdwa v34, v19 dst_sel:DWORD dst_unused:UNUSED_PAD src0_sel:WORD_0
	v_max3_f32 v18, v18, v30, v31
	v_max3_f32 v18, v18, v14, v15
	;; [unrolled: 1-line block ×5, first 2 shown]
	v_mul_f32_e32 v18, 0x3b124925, v18
	v_bfe_u32 v19, v18, 23, 8
	v_and_b32_e32 v18, 0x7fffff, v18
	v_cmp_ne_u32_e32 vcc, s3, v19
	v_cmp_ne_u32_e64 s[0:1], 0, v18
	s_and_b64 vcc, s[0:1], vcc
	v_addc_co_u32_e32 v36, vcc, 0, v19, vcc
	v_lshlrev_b32_e32 v37, 23, v36
	v_div_scale_f32 v39, s[0:1], v37, v37, 1.0
	v_rcp_f32_e32 v40, v39
	v_ashrrev_i32_e32 v19, 31, v3
	v_add_co_u32_e32 v18, vcc, s10, v3
	v_addc_co_u32_e32 v19, vcc, v38, v19, vcc
	v_fma_f32 v3, -v39, v40, 1.0
	v_fmac_f32_e32 v40, v3, v40
	v_div_scale_f32 v3, vcc, 1.0, v37, 1.0
	global_store_byte v[18:19], v36, off
	v_mul_f32_e32 v18, v3, v40
	v_fma_f32 v19, -v39, v18, v3
	v_fmac_f32_e32 v18, v19, v40
	v_fma_f32 v3, -v39, v18, v3
	v_div_fmas_f32 v3, v3, v40, v18
	v_div_fixup_f32 v18, v3, v37, 1.0
	v_mov_b32_e32 v19, v18
	;;#ASMSTART
	v_pk_mul_f32 v[0:1], v[0:1], v[18:19]
	;;#ASMEND
	v_lshlrev_b32_e32 v36, 5, v2
	v_mov_b32_e32 v37, 0xc3e00000
	v_mov_b32_e32 v38, 0x43e00000
	;;#ASMSTART
	v_med3_f32 v0, v0, v37, v38
v_med3_f32 v1, v1, v37, v38
v_cvt_pk_fp8_f32 v2, v0, v1
	;;#ASMEND
	;;#ASMSTART
	v_pk_mul_f32 v[0:1], v[20:21], v[18:19]
	;;#ASMEND
	;;#ASMSTART
	v_med3_f32 v0, v0, v37, v38
v_med3_f32 v1, v1, v37, v38
v_cvt_pk_fp8_f32 v3, v0, v1
	;;#ASMEND
	s_mov_b32 s0, 0x5040100
	v_perm_b32 v0, v3, v2, s0
	s_mov_b32 s1, 0x1060504
	v_perm_b32 v0, v0, v3, s1
	;;#ASMSTART
	v_pk_mul_f32 v[2:3], v[4:5], v[18:19]
	;;#ASMEND
	v_mov_b32_e32 v1, v3
	;;#ASMSTART
	v_med3_f32 v2, v2, v37, v38
v_med3_f32 v1, v1, v37, v38
v_cvt_pk_fp8_f32 v4, v2, v1
	;;#ASMEND
	;;#ASMSTART
	v_pk_mul_f32 v[2:3], v[22:23], v[18:19]
	;;#ASMEND
	v_mov_b32_e32 v1, v2
	s_waitcnt lgkmcnt(0)
	s_mov_b32 s10, s2
	;;#ASMSTART
	v_med3_f32 v1, v1, v37, v38
v_med3_f32 v3, v3, v37, v38
v_cvt_pk_fp8_f32 v2, v1, v3
	;;#ASMEND
	s_mov_b32 s2, 0x1000504
	v_perm_b32 v1, v4, v2, s2
	;;#ASMSTART
	v_pk_mul_f32 v[2:3], v[6:7], v[18:19]
	;;#ASMEND
	;;#ASMSTART
	v_med3_f32 v2, v2, v37, v38
v_med3_f32 v3, v3, v37, v38
v_cvt_pk_fp8_f32 v4, v2, v3
	;;#ASMEND
	;;#ASMSTART
	v_pk_mul_f32 v[2:3], v[24:25], v[18:19]
	;;#ASMEND
	;;#ASMSTART
	v_med3_f32 v2, v2, v37, v38
v_med3_f32 v3, v3, v37, v38
v_cvt_pk_fp8_f32 v5, v2, v3
	;;#ASMEND
	v_perm_b32 v2, v4, v5, s2
	;;#ASMSTART
	v_pk_mul_f32 v[4:5], v[8:9], v[18:19]
	;;#ASMEND
	v_mov_b32_e32 v3, v5
	;;#ASMSTART
	v_med3_f32 v4, v4, v37, v38
v_med3_f32 v3, v3, v37, v38
v_cvt_pk_fp8_f32 v6, v4, v3
	;;#ASMEND
	;;#ASMSTART
	v_pk_mul_f32 v[4:5], v[26:27], v[18:19]
	;;#ASMEND
	v_mov_b32_e32 v3, v4
	;;#ASMSTART
	v_med3_f32 v3, v3, v37, v38
v_med3_f32 v5, v5, v37, v38
v_cvt_pk_fp8_f32 v4, v3, v5
	;;#ASMEND
	v_perm_b32 v3, v6, v4, s2
	buffer_store_dwordx4 v[0:3], v36, s[8:11], 0 offen
	;;#ASMSTART
	s_nop 0
	;;#ASMEND
	s_nop 0
	;;#ASMSTART
	v_pk_mul_f32 v[0:1], v[10:11], v[18:19]
	;;#ASMEND
	;;#ASMSTART
	v_med3_f32 v0, v0, v37, v38
v_med3_f32 v1, v1, v37, v38
v_cvt_pk_fp8_f32 v2, v0, v1
	;;#ASMEND
	;;#ASMSTART
	v_pk_mul_f32 v[0:1], v[28:29], v[18:19]
	;;#ASMEND
	;;#ASMSTART
	v_med3_f32 v0, v0, v37, v38
v_med3_f32 v1, v1, v37, v38
v_cvt_pk_fp8_f32 v3, v0, v1
	;;#ASMEND
	v_perm_b32 v0, v3, v2, s0
	v_perm_b32 v0, v0, v3, s1
	;;#ASMSTART
	v_pk_mul_f32 v[2:3], v[12:13], v[18:19]
	;;#ASMEND
	v_mov_b32_e32 v1, v3
	;;#ASMSTART
	v_med3_f32 v2, v2, v37, v38
v_med3_f32 v1, v1, v37, v38
v_cvt_pk_fp8_f32 v4, v2, v1
	;;#ASMEND
	;;#ASMSTART
	v_pk_mul_f32 v[2:3], v[30:31], v[18:19]
	;;#ASMEND
	v_mov_b32_e32 v1, v2
	;;#ASMSTART
	v_med3_f32 v1, v1, v37, v38
v_med3_f32 v3, v3, v37, v38
v_cvt_pk_fp8_f32 v2, v1, v3
	;;#ASMEND
	v_perm_b32 v1, v4, v2, s2
	;;#ASMSTART
	v_pk_mul_f32 v[2:3], v[14:15], v[18:19]
	;;#ASMEND
	;;#ASMSTART
	v_med3_f32 v2, v2, v37, v38
v_med3_f32 v3, v3, v37, v38
v_cvt_pk_fp8_f32 v4, v2, v3
	;;#ASMEND
	;;#ASMSTART
	v_pk_mul_f32 v[2:3], v[32:33], v[18:19]
	;;#ASMEND
	;;#ASMSTART
	v_med3_f32 v2, v2, v37, v38
v_med3_f32 v3, v3, v37, v38
v_cvt_pk_fp8_f32 v5, v2, v3
	;;#ASMEND
	v_perm_b32 v2, v4, v5, s2
	;;#ASMSTART
	v_pk_mul_f32 v[4:5], v[16:17], v[18:19]
	;;#ASMEND
	v_mov_b32_e32 v3, v5
	;;#ASMSTART
	v_med3_f32 v4, v4, v37, v38
v_med3_f32 v3, v3, v37, v38
v_cvt_pk_fp8_f32 v6, v4, v3
	;;#ASMEND
	;;#ASMSTART
	v_pk_mul_f32 v[4:5], v[34:35], v[18:19]
	;;#ASMEND
	v_mov_b32_e32 v3, v4
	;;#ASMSTART
	v_med3_f32 v3, v3, v37, v38
v_med3_f32 v5, v5, v37, v38
v_cvt_pk_fp8_f32 v4, v3, v5
	;;#ASMEND
	v_perm_b32 v3, v6, v4, s2
	buffer_store_dwordx4 v[0:3], v36, s[8:11], 16 offen
	;;#ASMSTART
	s_nop 0
	;;#ASMEND
.LBB51_9:
	s_endpgm
	.section	.rodata,"a",@progbits
	.p2align	6, 0x0
	.amdhsa_kernel _ZN5aiter37dynamic_per_group_scaled_quant_kernelItDB8_Li32ELi32ELb1ELi64ELb1EEEvPT0_PfPKT_PKfliilPKii
		.amdhsa_group_segment_fixed_size 0
		.amdhsa_private_segment_fixed_size 0
		.amdhsa_kernarg_size 68
		.amdhsa_user_sgpr_count 6
		.amdhsa_user_sgpr_private_segment_buffer 1
		.amdhsa_user_sgpr_dispatch_ptr 0
		.amdhsa_user_sgpr_queue_ptr 0
		.amdhsa_user_sgpr_kernarg_segment_ptr 1
		.amdhsa_user_sgpr_dispatch_id 0
		.amdhsa_user_sgpr_flat_scratch_init 0
		.amdhsa_user_sgpr_kernarg_preload_length 0
		.amdhsa_user_sgpr_kernarg_preload_offset 0
		.amdhsa_user_sgpr_private_segment_size 0
		.amdhsa_uses_dynamic_stack 0
		.amdhsa_system_sgpr_private_segment_wavefront_offset 0
		.amdhsa_system_sgpr_workgroup_id_x 1
		.amdhsa_system_sgpr_workgroup_id_y 0
		.amdhsa_system_sgpr_workgroup_id_z 0
		.amdhsa_system_sgpr_workgroup_info 0
		.amdhsa_system_vgpr_workitem_id 0
		.amdhsa_next_free_vgpr 41
		.amdhsa_next_free_sgpr 20
		.amdhsa_accum_offset 44
		.amdhsa_reserve_vcc 1
		.amdhsa_reserve_flat_scratch 0
		.amdhsa_float_round_mode_32 0
		.amdhsa_float_round_mode_16_64 0
		.amdhsa_float_denorm_mode_32 3
		.amdhsa_float_denorm_mode_16_64 3
		.amdhsa_dx10_clamp 1
		.amdhsa_ieee_mode 1
		.amdhsa_fp16_overflow 0
		.amdhsa_tg_split 0
		.amdhsa_exception_fp_ieee_invalid_op 0
		.amdhsa_exception_fp_denorm_src 0
		.amdhsa_exception_fp_ieee_div_zero 0
		.amdhsa_exception_fp_ieee_overflow 0
		.amdhsa_exception_fp_ieee_underflow 0
		.amdhsa_exception_fp_ieee_inexact 0
		.amdhsa_exception_int_div_zero 0
	.end_amdhsa_kernel
	.section	.text._ZN5aiter37dynamic_per_group_scaled_quant_kernelItDB8_Li32ELi32ELb1ELi64ELb1EEEvPT0_PfPKT_PKfliilPKii,"axG",@progbits,_ZN5aiter37dynamic_per_group_scaled_quant_kernelItDB8_Li32ELi32ELb1ELi64ELb1EEEvPT0_PfPKT_PKfliilPKii,comdat
.Lfunc_end51:
	.size	_ZN5aiter37dynamic_per_group_scaled_quant_kernelItDB8_Li32ELi32ELb1ELi64ELb1EEEvPT0_PfPKT_PKfliilPKii, .Lfunc_end51-_ZN5aiter37dynamic_per_group_scaled_quant_kernelItDB8_Li32ELi32ELb1ELi64ELb1EEEvPT0_PfPKT_PKfliilPKii
                                        ; -- End function
	.section	.AMDGPU.csdata,"",@progbits
; Kernel info:
; codeLenInByte = 2540
; NumSgprs: 24
; NumVgprs: 41
; NumAgprs: 0
; TotalNumVgprs: 41
; ScratchSize: 0
; MemoryBound: 0
; FloatMode: 240
; IeeeMode: 1
; LDSByteSize: 0 bytes/workgroup (compile time only)
; SGPRBlocks: 2
; VGPRBlocks: 5
; NumSGPRsForWavesPerEU: 24
; NumVGPRsForWavesPerEU: 41
; AccumOffset: 44
; Occupancy: 8
; WaveLimiterHint : 0
; COMPUTE_PGM_RSRC2:SCRATCH_EN: 0
; COMPUTE_PGM_RSRC2:USER_SGPR: 6
; COMPUTE_PGM_RSRC2:TRAP_HANDLER: 0
; COMPUTE_PGM_RSRC2:TGID_X_EN: 1
; COMPUTE_PGM_RSRC2:TGID_Y_EN: 0
; COMPUTE_PGM_RSRC2:TGID_Z_EN: 0
; COMPUTE_PGM_RSRC2:TIDIG_COMP_CNT: 0
; COMPUTE_PGM_RSRC3_GFX90A:ACCUM_OFFSET: 10
; COMPUTE_PGM_RSRC3_GFX90A:TG_SPLIT: 0
	.section	.text._ZN5aiter37dynamic_per_group_scaled_quant_kernelIDF16_DB8_Li32ELi32ELb0ELi64ELb1EEEvPT0_PfPKT_PKfliilPKii,"axG",@progbits,_ZN5aiter37dynamic_per_group_scaled_quant_kernelIDF16_DB8_Li32ELi32ELb0ELi64ELb1EEEvPT0_PfPKT_PKfliilPKii,comdat
	.protected	_ZN5aiter37dynamic_per_group_scaled_quant_kernelIDF16_DB8_Li32ELi32ELb0ELi64ELb1EEEvPT0_PfPKT_PKfliilPKii ; -- Begin function _ZN5aiter37dynamic_per_group_scaled_quant_kernelIDF16_DB8_Li32ELi32ELb0ELi64ELb1EEEvPT0_PfPKT_PKfliilPKii
	.globl	_ZN5aiter37dynamic_per_group_scaled_quant_kernelIDF16_DB8_Li32ELi32ELb0ELi64ELb1EEEvPT0_PfPKT_PKfliilPKii
	.p2align	8
	.type	_ZN5aiter37dynamic_per_group_scaled_quant_kernelIDF16_DB8_Li32ELi32ELb0ELi64ELb1EEEvPT0_PfPKT_PKfliilPKii,@function
_ZN5aiter37dynamic_per_group_scaled_quant_kernelIDF16_DB8_Li32ELi32ELb0ELi64ELb1EEEvPT0_PfPKT_PKfliilPKii: ; @_ZN5aiter37dynamic_per_group_scaled_quant_kernelIDF16_DB8_Li32ELi32ELb0ELi64ELb1EEEvPT0_PfPKT_PKfliilPKii
; %bb.0:
	s_load_dwordx2 s[0:1], s[4:5], 0x38
	s_waitcnt lgkmcnt(0)
	s_cmp_eq_u64 s[0:1], 0
	s_cbranch_scc1 .LBB52_2
; %bb.1:
	s_load_dword s2, s[4:5], 0x40
	s_load_dword s3, s[0:1], 0x0
	s_waitcnt lgkmcnt(0)
	s_mul_hi_i32 s11, s3, s2
	s_mul_i32 s10, s3, s2
	s_branch .LBB52_3
.LBB52_2:
	s_load_dwordx2 s[10:11], s[4:5], 0x20
.LBB52_3:
	s_load_dwordx2 s[8:9], s[4:5], 0x28
	s_mov_b32 s7, 0
	s_lshl_b64 s[2:3], s[6:7], 6
	v_or_b32_e32 v8, s2, v0
                                        ; implicit-def: $vgpr0_vgpr1
	s_waitcnt lgkmcnt(0)
	s_ashr_i32 s0, s8, 31
	s_lshr_b32 s0, s0, 27
	s_add_i32 s0, s8, s0
	s_ashr_i32 s12, s0, 5
	s_ashr_i32 s13, s12, 31
	s_or_b64 s[0:1], s[2:3], s[12:13]
	s_mov_b32 s0, s7
	s_cmp_lg_u64 s[0:1], 0
	s_cselect_b64 s[0:1], -1, 0
	s_and_saveexec_b64 s[6:7], s[0:1]
	s_xor_b64 s[6:7], exec, s[6:7]
	s_cbranch_execz .LBB52_5
; %bb.4:
	s_add_u32 s0, s12, s13
	s_mov_b32 s14, s13
	s_mov_b32 s15, s13
	s_addc_u32 s1, s13, s13
	s_xor_b64 s[16:17], s[0:1], s[14:15]
	v_cvt_f32_u32_e32 v0, s16
	v_cvt_f32_u32_e32 v1, s17
	s_sub_u32 s0, 0, s16
	s_subb_u32 s1, 0, s17
	v_madmk_f32 v0, v1, 0x4f800000, v0
	v_rcp_f32_e32 v0, v0
	v_mul_f32_e32 v0, 0x5f7ffffc, v0
	v_mul_f32_e32 v1, 0x2f800000, v0
	v_trunc_f32_e32 v1, v1
	v_madmk_f32 v0, v1, 0xcf800000, v0
	v_cvt_u32_f32_e32 v1, v1
	v_cvt_u32_f32_e32 v0, v0
	v_mul_lo_u32 v2, s0, v1
	v_mul_hi_u32 v4, s0, v0
	v_mul_lo_u32 v3, s1, v0
	v_add_u32_e32 v2, v4, v2
	v_mul_lo_u32 v5, s0, v0
	v_add_u32_e32 v2, v2, v3
	v_mul_lo_u32 v4, v0, v2
	v_mul_hi_u32 v6, v0, v5
	v_mul_hi_u32 v3, v0, v2
	v_add_co_u32_e32 v4, vcc, v6, v4
	v_addc_co_u32_e32 v3, vcc, 0, v3, vcc
	v_mul_hi_u32 v7, v1, v5
	v_mul_lo_u32 v5, v1, v5
	v_add_co_u32_e32 v4, vcc, v4, v5
	v_mul_hi_u32 v6, v1, v2
	v_addc_co_u32_e32 v3, vcc, v3, v7, vcc
	v_addc_co_u32_e32 v4, vcc, 0, v6, vcc
	v_mul_lo_u32 v2, v1, v2
	v_add_co_u32_e32 v2, vcc, v3, v2
	v_addc_co_u32_e32 v3, vcc, 0, v4, vcc
	v_add_co_u32_e32 v0, vcc, v0, v2
	v_addc_co_u32_e32 v1, vcc, v1, v3, vcc
	v_mul_lo_u32 v2, s0, v1
	v_mul_hi_u32 v3, s0, v0
	v_add_u32_e32 v2, v3, v2
	v_mul_lo_u32 v3, s1, v0
	v_add_u32_e32 v2, v2, v3
	v_mul_lo_u32 v4, s0, v0
	v_mul_hi_u32 v5, v1, v4
	v_mul_lo_u32 v6, v1, v4
	v_mul_lo_u32 v9, v0, v2
	v_mul_hi_u32 v4, v0, v4
	v_mul_hi_u32 v7, v0, v2
	v_add_co_u32_e32 v4, vcc, v4, v9
	v_addc_co_u32_e32 v7, vcc, 0, v7, vcc
	v_add_co_u32_e32 v4, vcc, v4, v6
	v_mul_hi_u32 v3, v1, v2
	v_addc_co_u32_e32 v4, vcc, v7, v5, vcc
	v_addc_co_u32_e32 v3, vcc, 0, v3, vcc
	v_mul_lo_u32 v2, v1, v2
	v_add_co_u32_e32 v2, vcc, v4, v2
	v_addc_co_u32_e32 v3, vcc, 0, v3, vcc
	v_add_co_u32_e32 v2, vcc, v0, v2
	v_addc_co_u32_e32 v3, vcc, v1, v3, vcc
	v_mad_u64_u32 v[0:1], s[0:1], v8, v3, 0
	v_mul_hi_u32 v4, v8, v2
	v_add_co_u32_e32 v4, vcc, v4, v0
	v_addc_co_u32_e32 v5, vcc, 0, v1, vcc
	v_mad_u64_u32 v[0:1], s[0:1], s3, v3, 0
	v_mad_u64_u32 v[2:3], s[0:1], s3, v2, 0
	v_add_co_u32_e32 v2, vcc, v4, v2
	v_addc_co_u32_e32 v2, vcc, v5, v3, vcc
	v_addc_co_u32_e32 v1, vcc, 0, v1, vcc
	v_add_co_u32_e32 v2, vcc, v2, v0
	v_addc_co_u32_e32 v3, vcc, 0, v1, vcc
	v_mul_lo_u32 v4, s17, v2
	v_mul_lo_u32 v5, s16, v3
	v_mad_u64_u32 v[0:1], s[0:1], s16, v2, 0
	v_add3_u32 v1, v1, v5, v4
	v_sub_u32_e32 v4, s3, v1
	v_mov_b32_e32 v5, s17
	v_sub_co_u32_e32 v0, vcc, v8, v0
	v_subb_co_u32_e64 v4, s[0:1], v4, v5, vcc
	v_subrev_co_u32_e64 v5, s[0:1], s16, v0
	v_subbrev_co_u32_e64 v4, s[0:1], 0, v4, s[0:1]
	v_cmp_le_u32_e64 s[0:1], s17, v4
	v_cndmask_b32_e64 v7, 0, -1, s[0:1]
	v_cmp_le_u32_e64 s[0:1], s16, v5
	v_mov_b32_e32 v6, s3
	v_cndmask_b32_e64 v5, 0, -1, s[0:1]
	v_cmp_eq_u32_e64 s[0:1], s17, v4
	v_cndmask_b32_e64 v4, v7, v5, s[0:1]
	v_add_co_u32_e64 v5, s[0:1], 2, v2
	v_subb_co_u32_e32 v1, vcc, v6, v1, vcc
	v_addc_co_u32_e64 v7, s[0:1], 0, v3, s[0:1]
	v_cmp_le_u32_e32 vcc, s17, v1
	v_add_co_u32_e64 v9, s[0:1], 1, v2
	v_cndmask_b32_e64 v6, 0, -1, vcc
	v_cmp_le_u32_e32 vcc, s16, v0
	v_addc_co_u32_e64 v10, s[0:1], 0, v3, s[0:1]
	v_cndmask_b32_e64 v0, 0, -1, vcc
	v_cmp_eq_u32_e32 vcc, s17, v1
	v_cmp_ne_u32_e64 s[0:1], 0, v4
	v_cndmask_b32_e32 v0, v6, v0, vcc
	v_cndmask_b32_e64 v4, v10, v7, s[0:1]
	v_cmp_ne_u32_e32 vcc, 0, v0
	v_cndmask_b32_e64 v1, v9, v5, s[0:1]
	v_cndmask_b32_e32 v0, v3, v4, vcc
	v_cndmask_b32_e32 v1, v2, v1, vcc
	v_xor_b32_e32 v2, s15, v0
	v_xor_b32_e32 v0, s14, v1
	v_mov_b32_e32 v1, s13
	v_subrev_co_u32_e32 v0, vcc, s14, v0
	v_subb_co_u32_e32 v1, vcc, v2, v1, vcc
.LBB52_5:
	s_andn2_saveexec_b64 s[0:1], s[6:7]
	s_cbranch_execz .LBB52_7
; %bb.6:
	v_cvt_f32_u32_e32 v0, s12
	s_sub_i32 s2, 0, s12
	v_rcp_iflag_f32_e32 v0, v0
	v_mul_f32_e32 v0, 0x4f7ffffe, v0
	v_cvt_u32_f32_e32 v0, v0
	v_mul_lo_u32 v1, s2, v0
	v_mul_hi_u32 v1, v0, v1
	v_add_u32_e32 v0, v0, v1
	v_mul_hi_u32 v0, v8, v0
	v_mul_lo_u32 v1, v0, s12
	v_sub_u32_e32 v1, v8, v1
	v_add_u32_e32 v2, 1, v0
	v_subrev_u32_e32 v3, s12, v1
	v_cmp_le_u32_e32 vcc, s12, v1
	v_cndmask_b32_e32 v1, v1, v3, vcc
	v_cndmask_b32_e32 v0, v0, v2, vcc
	v_add_u32_e32 v2, 1, v0
	v_cmp_le_u32_e32 vcc, s12, v1
	v_cndmask_b32_e32 v0, v0, v2, vcc
	v_mov_b32_e32 v1, 0
.LBB52_7:
	s_or_b64 exec, exec, s[0:1]
	v_mad_u64_u32 v[2:3], s[0:1], v0, s12, 0
	v_sub_co_u32_e32 v2, vcc, v8, v2
	v_cmp_gt_i64_e32 vcc, s[10:11], v[0:1]
	v_cmp_gt_i32_e64 s[0:1], s12, v2
	s_and_b64 s[0:1], vcc, s[0:1]
	s_and_saveexec_b64 s[6:7], s[0:1]
	s_cbranch_execz .LBB52_9
; %bb.8:
	s_load_dwordx2 s[0:1], s[4:5], 0x10
	s_ashr_i32 s2, s9, 31
	v_mul_lo_u32 v3, v1, s9
	v_mul_lo_u32 v4, v0, s2
	v_mad_u64_u32 v[0:1], s[6:7], v0, s9, 0
	v_add3_u32 v1, v1, v4, v3
	v_lshlrev_b64 v[0:1], 1, v[0:1]
	v_lshlrev_b32_e32 v2, 5, v2
	v_mov_b32_e32 v3, 0
	s_waitcnt lgkmcnt(0)
	v_mov_b32_e32 v4, s1
	v_add_co_u32_e32 v5, vcc, s0, v0
	v_addc_co_u32_e32 v4, vcc, v4, v1, vcc
	v_lshlrev_b64 v[0:1], 1, v[2:3]
	v_add_co_u32_e32 v18, vcc, v5, v0
	v_addc_co_u32_e32 v19, vcc, v4, v1, vcc
	global_load_dwordx4 v[10:13], v[18:19], off
	global_load_dwordx4 v[14:17], v[18:19], off offset:16
	global_load_dwordx4 v[4:7], v[18:19], off offset:32
	;; [unrolled: 1-line block ×3, first 2 shown]
	s_mov_b32 s1, 0x2edbe6ff
	s_load_dwordx4 s[8:11], s[4:5], 0x0
	s_load_dword s0, s[4:5], 0x30
	v_mov_b32_e32 v9, s3
	v_lshlrev_b32_e32 v28, 5, v8
	s_movk_i32 s2, 0xff
	s_waitcnt lgkmcnt(0)
	v_mov_b32_e32 v18, s11
	v_add_co_u32_e32 v8, vcc, s10, v8
	v_addc_co_u32_e32 v9, vcc, v18, v9, vcc
	s_mov_b32 s10, s0
	s_and_b32 s9, s9, 0xffff
	s_mov_b32 s11, 0x20000
	s_waitcnt vmcnt(3)
	v_cvt_f32_f16_e64 v26, |v10|
	v_cvt_f32_f16_sdwa v27, |v10| dst_sel:DWORD dst_unused:UNUSED_PAD src0_sel:WORD_1
	v_cvt_f32_f16_e64 v29, |v11|
	v_cvt_f32_f16_sdwa v30, |v11| dst_sel:DWORD dst_unused:UNUSED_PAD src0_sel:WORD_1
	;; [unrolled: 2-line block ×4, first 2 shown]
	s_waitcnt vmcnt(2)
	v_cvt_f32_f16_e64 v35, |v14|
	v_cvt_f32_f16_sdwa v36, |v14| dst_sel:DWORD dst_unused:UNUSED_PAD src0_sel:WORD_1
	v_max3_f32 v26, v26, s1, v27
	v_cvt_f32_f16_e64 v37, |v15|
	v_cvt_f32_f16_sdwa v38, |v15| dst_sel:DWORD dst_unused:UNUSED_PAD src0_sel:WORD_1
	v_max3_f32 v26, v26, v29, v30
	v_cvt_f32_f16_e64 v39, |v16|
	v_cvt_f32_f16_sdwa v40, |v16| dst_sel:DWORD dst_unused:UNUSED_PAD src0_sel:WORD_1
	v_max3_f32 v26, v26, v31, v32
	v_cvt_f32_f16_e64 v41, |v17|
	v_cvt_f32_f16_sdwa v42, |v17| dst_sel:DWORD dst_unused:UNUSED_PAD src0_sel:WORD_1
	v_max3_f32 v26, v26, v33, v34
	s_waitcnt vmcnt(1)
	v_cvt_f32_f16_e64 v43, |v4|
	v_cvt_f32_f16_sdwa v44, |v4| dst_sel:DWORD dst_unused:UNUSED_PAD src0_sel:WORD_1
	v_max3_f32 v26, v26, v35, v36
	v_cvt_f32_f16_e64 v45, |v5|
	v_cvt_f32_f16_sdwa v46, |v5| dst_sel:DWORD dst_unused:UNUSED_PAD src0_sel:WORD_1
	v_max3_f32 v26, v26, v37, v38
	v_cvt_f32_f16_e64 v47, |v6|
	v_cvt_f32_f16_sdwa v48, |v6| dst_sel:DWORD dst_unused:UNUSED_PAD src0_sel:WORD_1
	v_max3_f32 v26, v26, v39, v40
	v_cvt_f32_f16_e64 v49, |v7|
	v_cvt_f32_f16_sdwa v50, |v7| dst_sel:DWORD dst_unused:UNUSED_PAD src0_sel:WORD_1
	v_max3_f32 v26, v26, v41, v42
	;; [unrolled: 13-line block ×3, first 2 shown]
	v_max3_f32 v26, v26, v51, v52
	v_max3_f32 v26, v26, v53, v54
	;; [unrolled: 1-line block ×4, first 2 shown]
	v_mul_f32_e32 v26, 0x3b124925, v26
	v_bfe_u32 v27, v26, 23, 8
	v_and_b32_e32 v26, 0x7fffff, v26
	v_cmp_ne_u32_e32 vcc, s2, v27
	v_cmp_ne_u32_e64 s[0:1], 0, v26
	s_and_b64 vcc, s[0:1], vcc
	v_addc_co_u32_e32 v26, vcc, 0, v27, vcc
	v_lshlrev_b32_e32 v27, 23, v26
	v_div_scale_f32 v29, s[0:1], v27, v27, 1.0
	v_rcp_f32_e32 v30, v29
	global_store_byte v[8:9], v26, off
	v_div_scale_f32 v8, vcc, 1.0, v27, 1.0
	v_fma_f32 v9, -v29, v30, 1.0
	v_fmac_f32_e32 v30, v9, v30
	v_mul_f32_e32 v9, v8, v30
	v_fma_f32 v26, -v29, v9, v8
	v_fmac_f32_e32 v9, v26, v30
	v_fma_f32 v8, -v29, v9, v8
	v_div_fmas_f32 v8, v8, v30, v9
	v_div_fixup_f32 v26, v8, v27, 1.0
	v_cvt_f32_f16_e32 v18, v10
	v_cvt_f32_f16_sdwa v19, v10 dst_sel:DWORD dst_unused:UNUSED_PAD src0_sel:WORD_1
	v_mov_b32_e32 v27, v26
	;;#ASMSTART
	v_pk_mul_f32 v[8:9], v[18:19], v[26:27]
	;;#ASMEND
	v_mov_b32_e32 v29, 0xc3e00000
	v_mov_b32_e32 v30, 0x43e00000
	;;#ASMSTART
	v_med3_f32 v8, v8, v29, v30
v_med3_f32 v9, v9, v29, v30
v_cvt_pk_fp8_f32 v18, v8, v9
	;;#ASMEND
	v_cvt_f32_f16_e32 v10, v11
	v_cvt_f32_f16_sdwa v11, v11 dst_sel:DWORD dst_unused:UNUSED_PAD src0_sel:WORD_1
	;;#ASMSTART
	v_pk_mul_f32 v[8:9], v[10:11], v[26:27]
	;;#ASMEND
	;;#ASMSTART
	v_med3_f32 v8, v8, v29, v30
v_med3_f32 v9, v9, v29, v30
v_cvt_pk_fp8_f32 v10, v8, v9
	;;#ASMEND
	s_mov_b32 s0, 0x5040100
	v_perm_b32 v8, v10, v18, s0
	s_mov_b32 s1, 0x1060504
	v_cvt_f32_f16_e32 v20, v12
	v_cvt_f32_f16_sdwa v21, v12 dst_sel:DWORD dst_unused:UNUSED_PAD src0_sel:WORD_1
	v_perm_b32 v8, v8, v10, s1
	;;#ASMSTART
	v_pk_mul_f32 v[10:11], v[20:21], v[26:27]
	;;#ASMEND
	v_mov_b32_e32 v9, v11
	;;#ASMSTART
	v_med3_f32 v10, v10, v29, v30
v_med3_f32 v9, v9, v29, v30
v_cvt_pk_fp8_f32 v18, v10, v9
	;;#ASMEND
	v_cvt_f32_f16_e32 v12, v13
	v_cvt_f32_f16_sdwa v13, v13 dst_sel:DWORD dst_unused:UNUSED_PAD src0_sel:WORD_1
	;;#ASMSTART
	v_pk_mul_f32 v[10:11], v[12:13], v[26:27]
	;;#ASMEND
	v_mov_b32_e32 v9, v11
	;;#ASMSTART
	v_med3_f32 v10, v10, v29, v30
v_med3_f32 v9, v9, v29, v30
v_cvt_pk_fp8_f32 v11, v10, v9
	;;#ASMEND
	s_mov_b32 s2, 0x1000504
	v_cvt_f32_f16_e32 v22, v14
	v_cvt_f32_f16_sdwa v23, v14 dst_sel:DWORD dst_unused:UNUSED_PAD src0_sel:WORD_1
	v_perm_b32 v9, v18, v11, s2
	;;#ASMSTART
	v_pk_mul_f32 v[10:11], v[22:23], v[26:27]
	;;#ASMEND
	;;#ASMSTART
	v_med3_f32 v10, v10, v29, v30
v_med3_f32 v11, v11, v29, v30
v_cvt_pk_fp8_f32 v12, v10, v11
	;;#ASMEND
	v_cvt_f32_f16_e32 v14, v15
	v_cvt_f32_f16_sdwa v15, v15 dst_sel:DWORD dst_unused:UNUSED_PAD src0_sel:WORD_1
	;;#ASMSTART
	v_pk_mul_f32 v[10:11], v[14:15], v[26:27]
	;;#ASMEND
	;;#ASMSTART
	v_med3_f32 v10, v10, v29, v30
v_med3_f32 v11, v11, v29, v30
v_cvt_pk_fp8_f32 v13, v10, v11
	;;#ASMEND
	v_cvt_f32_f16_e32 v24, v16
	v_cvt_f32_f16_sdwa v25, v16 dst_sel:DWORD dst_unused:UNUSED_PAD src0_sel:WORD_1
	v_perm_b32 v10, v12, v13, s2
	;;#ASMSTART
	v_pk_mul_f32 v[12:13], v[24:25], v[26:27]
	;;#ASMEND
	v_mov_b32_e32 v11, v13
	;;#ASMSTART
	v_med3_f32 v12, v12, v29, v30
v_med3_f32 v11, v11, v29, v30
v_cvt_pk_fp8_f32 v14, v12, v11
	;;#ASMEND
	v_cvt_f32_f16_e32 v16, v17
	v_cvt_f32_f16_sdwa v17, v17 dst_sel:DWORD dst_unused:UNUSED_PAD src0_sel:WORD_1
	;;#ASMSTART
	v_pk_mul_f32 v[12:13], v[16:17], v[26:27]
	;;#ASMEND
	v_mov_b32_e32 v11, v13
	;;#ASMSTART
	v_med3_f32 v12, v12, v29, v30
v_med3_f32 v11, v11, v29, v30
v_cvt_pk_fp8_f32 v13, v12, v11
	;;#ASMEND
	v_perm_b32 v11, v14, v13, s2
	buffer_store_dwordx4 v[8:11], v28, s[8:11], 0 offen
	;;#ASMSTART
	s_nop 0
	;;#ASMEND
	v_cvt_f32_f16_e32 v12, v0
	v_cvt_f32_f16_e32 v8, v4
	v_cvt_f32_f16_sdwa v9, v4 dst_sel:DWORD dst_unused:UNUSED_PAD src0_sel:WORD_1
	v_cvt_f32_f16_sdwa v13, v0 dst_sel:DWORD dst_unused:UNUSED_PAD src0_sel:WORD_1
	v_cvt_f32_f16_e32 v14, v1
	v_cvt_f32_f16_sdwa v15, v1 dst_sel:DWORD dst_unused:UNUSED_PAD src0_sel:WORD_1
	;;#ASMSTART
	v_pk_mul_f32 v[0:1], v[8:9], v[26:27]
	;;#ASMEND
	v_cvt_f32_f16_e32 v16, v2
	v_cvt_f32_f16_sdwa v17, v2 dst_sel:DWORD dst_unused:UNUSED_PAD src0_sel:WORD_1
	;;#ASMSTART
	v_med3_f32 v0, v0, v29, v30
v_med3_f32 v1, v1, v29, v30
v_cvt_pk_fp8_f32 v2, v0, v1
	;;#ASMEND
	v_cvt_f32_f16_e32 v4, v5
	v_cvt_f32_f16_sdwa v5, v5 dst_sel:DWORD dst_unused:UNUSED_PAD src0_sel:WORD_1
	;;#ASMSTART
	v_pk_mul_f32 v[0:1], v[4:5], v[26:27]
	;;#ASMEND
	v_cvt_f32_f16_e32 v18, v3
	v_cvt_f32_f16_sdwa v19, v3 dst_sel:DWORD dst_unused:UNUSED_PAD src0_sel:WORD_1
	;;#ASMSTART
	v_med3_f32 v0, v0, v29, v30
v_med3_f32 v1, v1, v29, v30
v_cvt_pk_fp8_f32 v3, v0, v1
	;;#ASMEND
	v_perm_b32 v0, v3, v2, s0
	v_cvt_f32_f16_e32 v10, v6
	v_cvt_f32_f16_sdwa v11, v6 dst_sel:DWORD dst_unused:UNUSED_PAD src0_sel:WORD_1
	v_perm_b32 v0, v0, v3, s1
	;;#ASMSTART
	v_pk_mul_f32 v[2:3], v[10:11], v[26:27]
	;;#ASMEND
	v_mov_b32_e32 v1, v3
	;;#ASMSTART
	v_med3_f32 v2, v2, v29, v30
v_med3_f32 v1, v1, v29, v30
v_cvt_pk_fp8_f32 v4, v2, v1
	;;#ASMEND
	v_cvt_f32_f16_e32 v6, v7
	v_cvt_f32_f16_sdwa v7, v7 dst_sel:DWORD dst_unused:UNUSED_PAD src0_sel:WORD_1
	;;#ASMSTART
	v_pk_mul_f32 v[2:3], v[6:7], v[26:27]
	;;#ASMEND
	v_mov_b32_e32 v1, v3
	;;#ASMSTART
	v_med3_f32 v2, v2, v29, v30
v_med3_f32 v1, v1, v29, v30
v_cvt_pk_fp8_f32 v3, v2, v1
	;;#ASMEND
	v_perm_b32 v1, v4, v3, s2
	;;#ASMSTART
	v_pk_mul_f32 v[2:3], v[12:13], v[26:27]
	;;#ASMEND
	;;#ASMSTART
	v_med3_f32 v2, v2, v29, v30
v_med3_f32 v3, v3, v29, v30
v_cvt_pk_fp8_f32 v4, v2, v3
	;;#ASMEND
	;;#ASMSTART
	v_pk_mul_f32 v[2:3], v[14:15], v[26:27]
	;;#ASMEND
	;;#ASMSTART
	v_med3_f32 v2, v2, v29, v30
v_med3_f32 v3, v3, v29, v30
v_cvt_pk_fp8_f32 v5, v2, v3
	;;#ASMEND
	v_perm_b32 v2, v4, v5, s2
	;;#ASMSTART
	v_pk_mul_f32 v[4:5], v[16:17], v[26:27]
	;;#ASMEND
	v_mov_b32_e32 v3, v5
	;;#ASMSTART
	v_med3_f32 v4, v4, v29, v30
v_med3_f32 v3, v3, v29, v30
v_cvt_pk_fp8_f32 v6, v4, v3
	;;#ASMEND
	;;#ASMSTART
	v_pk_mul_f32 v[4:5], v[18:19], v[26:27]
	;;#ASMEND
	v_mov_b32_e32 v3, v5
	;;#ASMSTART
	v_med3_f32 v4, v4, v29, v30
v_med3_f32 v3, v3, v29, v30
v_cvt_pk_fp8_f32 v5, v4, v3
	;;#ASMEND
	v_perm_b32 v3, v6, v5, s2
	buffer_store_dwordx4 v[0:3], v28, s[8:11], 16 offen
	;;#ASMSTART
	s_nop 0
	;;#ASMEND
.LBB52_9:
	s_endpgm
	.section	.rodata,"a",@progbits
	.p2align	6, 0x0
	.amdhsa_kernel _ZN5aiter37dynamic_per_group_scaled_quant_kernelIDF16_DB8_Li32ELi32ELb0ELi64ELb1EEEvPT0_PfPKT_PKfliilPKii
		.amdhsa_group_segment_fixed_size 0
		.amdhsa_private_segment_fixed_size 0
		.amdhsa_kernarg_size 68
		.amdhsa_user_sgpr_count 6
		.amdhsa_user_sgpr_private_segment_buffer 1
		.amdhsa_user_sgpr_dispatch_ptr 0
		.amdhsa_user_sgpr_queue_ptr 0
		.amdhsa_user_sgpr_kernarg_segment_ptr 1
		.amdhsa_user_sgpr_dispatch_id 0
		.amdhsa_user_sgpr_flat_scratch_init 0
		.amdhsa_user_sgpr_kernarg_preload_length 0
		.amdhsa_user_sgpr_kernarg_preload_offset 0
		.amdhsa_user_sgpr_private_segment_size 0
		.amdhsa_uses_dynamic_stack 0
		.amdhsa_system_sgpr_private_segment_wavefront_offset 0
		.amdhsa_system_sgpr_workgroup_id_x 1
		.amdhsa_system_sgpr_workgroup_id_y 0
		.amdhsa_system_sgpr_workgroup_id_z 0
		.amdhsa_system_sgpr_workgroup_info 0
		.amdhsa_system_vgpr_workitem_id 0
		.amdhsa_next_free_vgpr 59
		.amdhsa_next_free_sgpr 18
		.amdhsa_accum_offset 60
		.amdhsa_reserve_vcc 1
		.amdhsa_reserve_flat_scratch 0
		.amdhsa_float_round_mode_32 0
		.amdhsa_float_round_mode_16_64 0
		.amdhsa_float_denorm_mode_32 3
		.amdhsa_float_denorm_mode_16_64 3
		.amdhsa_dx10_clamp 1
		.amdhsa_ieee_mode 1
		.amdhsa_fp16_overflow 0
		.amdhsa_tg_split 0
		.amdhsa_exception_fp_ieee_invalid_op 0
		.amdhsa_exception_fp_denorm_src 0
		.amdhsa_exception_fp_ieee_div_zero 0
		.amdhsa_exception_fp_ieee_overflow 0
		.amdhsa_exception_fp_ieee_underflow 0
		.amdhsa_exception_fp_ieee_inexact 0
		.amdhsa_exception_int_div_zero 0
	.end_amdhsa_kernel
	.section	.text._ZN5aiter37dynamic_per_group_scaled_quant_kernelIDF16_DB8_Li32ELi32ELb0ELi64ELb1EEEvPT0_PfPKT_PKfliilPKii,"axG",@progbits,_ZN5aiter37dynamic_per_group_scaled_quant_kernelIDF16_DB8_Li32ELi32ELb0ELi64ELb1EEEvPT0_PfPKT_PKfliilPKii,comdat
.Lfunc_end52:
	.size	_ZN5aiter37dynamic_per_group_scaled_quant_kernelIDF16_DB8_Li32ELi32ELb0ELi64ELb1EEEvPT0_PfPKT_PKfliilPKii, .Lfunc_end52-_ZN5aiter37dynamic_per_group_scaled_quant_kernelIDF16_DB8_Li32ELi32ELb0ELi64ELb1EEEvPT0_PfPKT_PKfliilPKii
                                        ; -- End function
	.section	.AMDGPU.csdata,"",@progbits
; Kernel info:
; codeLenInByte = 2560
; NumSgprs: 22
; NumVgprs: 59
; NumAgprs: 0
; TotalNumVgprs: 59
; ScratchSize: 0
; MemoryBound: 0
; FloatMode: 240
; IeeeMode: 1
; LDSByteSize: 0 bytes/workgroup (compile time only)
; SGPRBlocks: 2
; VGPRBlocks: 7
; NumSGPRsForWavesPerEU: 22
; NumVGPRsForWavesPerEU: 59
; AccumOffset: 60
; Occupancy: 8
; WaveLimiterHint : 0
; COMPUTE_PGM_RSRC2:SCRATCH_EN: 0
; COMPUTE_PGM_RSRC2:USER_SGPR: 6
; COMPUTE_PGM_RSRC2:TRAP_HANDLER: 0
; COMPUTE_PGM_RSRC2:TGID_X_EN: 1
; COMPUTE_PGM_RSRC2:TGID_Y_EN: 0
; COMPUTE_PGM_RSRC2:TGID_Z_EN: 0
; COMPUTE_PGM_RSRC2:TIDIG_COMP_CNT: 0
; COMPUTE_PGM_RSRC3_GFX90A:ACCUM_OFFSET: 14
; COMPUTE_PGM_RSRC3_GFX90A:TG_SPLIT: 0
	.section	.text._ZN5aiter37dynamic_per_group_scaled_quant_kernelItDB8_Li32ELi32ELb0ELi64ELb1EEEvPT0_PfPKT_PKfliilPKii,"axG",@progbits,_ZN5aiter37dynamic_per_group_scaled_quant_kernelItDB8_Li32ELi32ELb0ELi64ELb1EEEvPT0_PfPKT_PKfliilPKii,comdat
	.protected	_ZN5aiter37dynamic_per_group_scaled_quant_kernelItDB8_Li32ELi32ELb0ELi64ELb1EEEvPT0_PfPKT_PKfliilPKii ; -- Begin function _ZN5aiter37dynamic_per_group_scaled_quant_kernelItDB8_Li32ELi32ELb0ELi64ELb1EEEvPT0_PfPKT_PKfliilPKii
	.globl	_ZN5aiter37dynamic_per_group_scaled_quant_kernelItDB8_Li32ELi32ELb0ELi64ELb1EEEvPT0_PfPKT_PKfliilPKii
	.p2align	8
	.type	_ZN5aiter37dynamic_per_group_scaled_quant_kernelItDB8_Li32ELi32ELb0ELi64ELb1EEEvPT0_PfPKT_PKfliilPKii,@function
_ZN5aiter37dynamic_per_group_scaled_quant_kernelItDB8_Li32ELi32ELb0ELi64ELb1EEEvPT0_PfPKT_PKfliilPKii: ; @_ZN5aiter37dynamic_per_group_scaled_quant_kernelItDB8_Li32ELi32ELb0ELi64ELb1EEEvPT0_PfPKT_PKfliilPKii
; %bb.0:
	s_load_dwordx2 s[0:1], s[4:5], 0x38
	s_waitcnt lgkmcnt(0)
	s_cmp_eq_u64 s[0:1], 0
	s_cbranch_scc1 .LBB53_2
; %bb.1:
	s_load_dword s2, s[4:5], 0x40
	s_load_dword s3, s[0:1], 0x0
	s_waitcnt lgkmcnt(0)
	s_mul_hi_i32 s11, s3, s2
	s_mul_i32 s10, s3, s2
	s_branch .LBB53_3
.LBB53_2:
	s_load_dwordx2 s[10:11], s[4:5], 0x20
.LBB53_3:
	s_load_dwordx2 s[8:9], s[4:5], 0x28
	s_mov_b32 s7, 0
	s_lshl_b64 s[2:3], s[6:7], 6
	v_or_b32_e32 v0, s2, v0
                                        ; implicit-def: $vgpr2_vgpr3
	s_waitcnt lgkmcnt(0)
	s_ashr_i32 s0, s8, 31
	s_lshr_b32 s0, s0, 27
	s_add_i32 s0, s8, s0
	s_ashr_i32 s12, s0, 5
	s_ashr_i32 s13, s12, 31
	s_or_b64 s[0:1], s[2:3], s[12:13]
	s_mov_b32 s0, s7
	s_cmp_lg_u64 s[0:1], 0
	s_cselect_b64 s[0:1], -1, 0
	s_and_saveexec_b64 s[6:7], s[0:1]
	s_xor_b64 s[6:7], exec, s[6:7]
	s_cbranch_execz .LBB53_5
; %bb.4:
	s_add_u32 s0, s12, s13
	s_mov_b32 s14, s13
	s_mov_b32 s15, s13
	s_addc_u32 s1, s13, s13
	s_xor_b64 s[16:17], s[0:1], s[14:15]
	v_cvt_f32_u32_e32 v1, s16
	v_cvt_f32_u32_e32 v2, s17
	s_sub_u32 s0, 0, s16
	s_subb_u32 s1, 0, s17
	v_madmk_f32 v1, v2, 0x4f800000, v1
	v_rcp_f32_e32 v1, v1
	v_mul_f32_e32 v1, 0x5f7ffffc, v1
	v_mul_f32_e32 v2, 0x2f800000, v1
	v_trunc_f32_e32 v2, v2
	v_madmk_f32 v1, v2, 0xcf800000, v1
	v_cvt_u32_f32_e32 v2, v2
	v_cvt_u32_f32_e32 v1, v1
	v_mul_lo_u32 v3, s0, v2
	v_mul_hi_u32 v5, s0, v1
	v_mul_lo_u32 v4, s1, v1
	v_add_u32_e32 v3, v5, v3
	v_mul_lo_u32 v6, s0, v1
	v_add_u32_e32 v3, v3, v4
	v_mul_lo_u32 v5, v1, v3
	v_mul_hi_u32 v7, v1, v6
	v_mul_hi_u32 v4, v1, v3
	v_add_co_u32_e32 v5, vcc, v7, v5
	v_addc_co_u32_e32 v4, vcc, 0, v4, vcc
	v_mul_hi_u32 v8, v2, v6
	v_mul_lo_u32 v6, v2, v6
	v_add_co_u32_e32 v5, vcc, v5, v6
	v_mul_hi_u32 v7, v2, v3
	v_addc_co_u32_e32 v4, vcc, v4, v8, vcc
	v_addc_co_u32_e32 v5, vcc, 0, v7, vcc
	v_mul_lo_u32 v3, v2, v3
	v_add_co_u32_e32 v3, vcc, v4, v3
	v_addc_co_u32_e32 v4, vcc, 0, v5, vcc
	v_add_co_u32_e32 v1, vcc, v1, v3
	v_addc_co_u32_e32 v2, vcc, v2, v4, vcc
	v_mul_lo_u32 v3, s0, v2
	v_mul_hi_u32 v4, s0, v1
	v_add_u32_e32 v3, v4, v3
	v_mul_lo_u32 v4, s1, v1
	v_add_u32_e32 v3, v3, v4
	v_mul_lo_u32 v5, s0, v1
	v_mul_hi_u32 v6, v2, v5
	v_mul_lo_u32 v7, v2, v5
	v_mul_lo_u32 v9, v1, v3
	v_mul_hi_u32 v5, v1, v5
	v_mul_hi_u32 v8, v1, v3
	v_add_co_u32_e32 v5, vcc, v5, v9
	v_addc_co_u32_e32 v8, vcc, 0, v8, vcc
	v_add_co_u32_e32 v5, vcc, v5, v7
	v_mul_hi_u32 v4, v2, v3
	v_addc_co_u32_e32 v5, vcc, v8, v6, vcc
	v_addc_co_u32_e32 v4, vcc, 0, v4, vcc
	v_mul_lo_u32 v3, v2, v3
	v_add_co_u32_e32 v3, vcc, v5, v3
	v_addc_co_u32_e32 v4, vcc, 0, v4, vcc
	v_add_co_u32_e32 v1, vcc, v1, v3
	v_addc_co_u32_e32 v4, vcc, v2, v4, vcc
	v_mad_u64_u32 v[2:3], s[0:1], v0, v4, 0
	v_mul_hi_u32 v5, v0, v1
	v_add_co_u32_e32 v6, vcc, v5, v2
	v_addc_co_u32_e32 v7, vcc, 0, v3, vcc
	v_mad_u64_u32 v[2:3], s[0:1], s3, v4, 0
	v_mad_u64_u32 v[4:5], s[0:1], s3, v1, 0
	v_add_co_u32_e32 v1, vcc, v6, v4
	v_addc_co_u32_e32 v1, vcc, v7, v5, vcc
	v_addc_co_u32_e32 v3, vcc, 0, v3, vcc
	v_add_co_u32_e32 v1, vcc, v1, v2
	v_addc_co_u32_e32 v4, vcc, 0, v3, vcc
	v_mul_lo_u32 v5, s17, v1
	v_mul_lo_u32 v6, s16, v4
	v_mad_u64_u32 v[2:3], s[0:1], s16, v1, 0
	v_add3_u32 v3, v3, v6, v5
	v_sub_u32_e32 v5, s3, v3
	v_mov_b32_e32 v6, s17
	v_sub_co_u32_e32 v2, vcc, v0, v2
	v_subb_co_u32_e64 v5, s[0:1], v5, v6, vcc
	v_subrev_co_u32_e64 v6, s[0:1], s16, v2
	v_subbrev_co_u32_e64 v5, s[0:1], 0, v5, s[0:1]
	v_cmp_le_u32_e64 s[0:1], s17, v5
	v_cndmask_b32_e64 v7, 0, -1, s[0:1]
	v_cmp_le_u32_e64 s[0:1], s16, v6
	v_cndmask_b32_e64 v6, 0, -1, s[0:1]
	v_cmp_eq_u32_e64 s[0:1], s17, v5
	v_cndmask_b32_e64 v5, v7, v6, s[0:1]
	v_add_co_u32_e64 v6, s[0:1], 2, v1
	v_addc_co_u32_e64 v7, s[0:1], 0, v4, s[0:1]
	v_mov_b32_e32 v8, s3
	v_add_co_u32_e64 v9, s[0:1], 1, v1
	v_addc_co_u32_e64 v10, s[0:1], 0, v4, s[0:1]
	v_subb_co_u32_e32 v3, vcc, v8, v3, vcc
	v_cmp_ne_u32_e64 s[0:1], 0, v5
	v_cmp_le_u32_e32 vcc, s17, v3
	v_cndmask_b32_e64 v5, v10, v7, s[0:1]
	v_cndmask_b32_e64 v7, 0, -1, vcc
	v_cmp_le_u32_e32 vcc, s16, v2
	v_cndmask_b32_e64 v2, 0, -1, vcc
	v_cmp_eq_u32_e32 vcc, s17, v3
	v_cndmask_b32_e32 v2, v7, v2, vcc
	v_cmp_ne_u32_e32 vcc, 0, v2
	v_cndmask_b32_e64 v3, v9, v6, s[0:1]
	v_cndmask_b32_e32 v1, v1, v3, vcc
	v_cndmask_b32_e32 v2, v4, v5, vcc
	v_xor_b32_e32 v1, s14, v1
	v_xor_b32_e32 v3, s15, v2
	v_mov_b32_e32 v4, s13
	v_subrev_co_u32_e32 v2, vcc, s14, v1
	v_subb_co_u32_e32 v3, vcc, v3, v4, vcc
.LBB53_5:
	s_andn2_saveexec_b64 s[0:1], s[6:7]
	s_cbranch_execz .LBB53_7
; %bb.6:
	v_cvt_f32_u32_e32 v1, s12
	s_sub_i32 s2, 0, s12
	v_rcp_iflag_f32_e32 v1, v1
	v_mul_f32_e32 v1, 0x4f7ffffe, v1
	v_cvt_u32_f32_e32 v1, v1
	v_mul_lo_u32 v2, s2, v1
	v_mul_hi_u32 v2, v1, v2
	v_add_u32_e32 v1, v1, v2
	v_mul_hi_u32 v1, v0, v1
	v_mul_lo_u32 v2, v1, s12
	v_sub_u32_e32 v2, v0, v2
	v_add_u32_e32 v3, 1, v1
	v_subrev_u32_e32 v4, s12, v2
	v_cmp_le_u32_e32 vcc, s12, v2
	v_cndmask_b32_e32 v2, v2, v4, vcc
	v_cndmask_b32_e32 v1, v1, v3, vcc
	v_add_u32_e32 v3, 1, v1
	v_cmp_le_u32_e32 vcc, s12, v2
	v_cndmask_b32_e32 v2, v1, v3, vcc
	v_mov_b32_e32 v3, 0
.LBB53_7:
	s_or_b64 exec, exec, s[0:1]
	v_mad_u64_u32 v[4:5], s[0:1], v2, s12, 0
	v_sub_co_u32_e32 v1, vcc, v0, v4
	v_cmp_gt_i64_e32 vcc, s[10:11], v[2:3]
	v_cmp_gt_i32_e64 s[0:1], s12, v1
	s_and_b64 s[0:1], vcc, s[0:1]
	s_and_saveexec_b64 s[6:7], s[0:1]
	s_cbranch_execz .LBB53_9
; %bb.8:
	s_load_dwordx2 s[0:1], s[4:5], 0x10
	s_ashr_i32 s2, s9, 31
	v_mul_lo_u32 v4, v3, s9
	v_mul_lo_u32 v5, v2, s2
	v_mad_u64_u32 v[2:3], s[6:7], v2, s9, 0
	v_add3_u32 v3, v3, v5, v4
	v_lshlrev_b64 v[2:3], 1, v[2:3]
	v_lshlrev_b32_e32 v4, 5, v1
	v_mov_b32_e32 v5, 0
	s_waitcnt lgkmcnt(0)
	v_mov_b32_e32 v1, s1
	v_add_co_u32_e32 v6, vcc, s0, v2
	v_addc_co_u32_e32 v1, vcc, v1, v3, vcc
	v_lshlrev_b64 v[2:3], 1, v[4:5]
	v_add_co_u32_e32 v18, vcc, v6, v2
	v_addc_co_u32_e32 v19, vcc, v1, v3, vcc
	global_load_dwordx4 v[2:5], v[18:19], off
	global_load_dwordx4 v[6:9], v[18:19], off offset:16
	global_load_dwordx4 v[10:13], v[18:19], off offset:32
	;; [unrolled: 1-line block ×3, first 2 shown]
	s_load_dwordx4 s[8:11], s[4:5], 0x0
	s_load_dword s1, s[4:5], 0x30
	v_mov_b32_e32 v1, s3
	v_lshlrev_b32_e32 v36, 5, v0
	s_mov_b32 s0, 0x2edbe6ff
	s_waitcnt lgkmcnt(0)
	v_mov_b32_e32 v18, s11
	v_add_co_u32_e32 v0, vcc, s10, v0
	v_addc_co_u32_e32 v1, vcc, v18, v1, vcc
	s_movk_i32 s2, 0xff
	s_mov_b32 s10, s1
	v_mov_b32_e32 v37, 0xc3e00000
	v_mov_b32_e32 v38, 0x43e00000
	s_mov_b32 s3, 0x5040100
	s_mov_b32 s4, 0x1060504
	;; [unrolled: 1-line block ×3, first 2 shown]
	s_and_b32 s9, s9, 0xffff
	s_mov_b32 s11, 0x20000
	s_waitcnt vmcnt(3)
	v_cvt_f32_u32_sdwa v19, v2 dst_sel:DWORD dst_unused:UNUSED_PAD src0_sel:WORD_1
	v_cvt_f32_u32_sdwa v18, v2 dst_sel:DWORD dst_unused:UNUSED_PAD src0_sel:WORD_0
	v_cvt_f32_u32_sdwa v21, v3 dst_sel:DWORD dst_unused:UNUSED_PAD src0_sel:WORD_1
	v_cvt_f32_u32_sdwa v20, v3 dst_sel:DWORD dst_unused:UNUSED_PAD src0_sel:WORD_0
	v_cvt_f32_u32_sdwa v3, v4 dst_sel:DWORD dst_unused:UNUSED_PAD src0_sel:WORD_1
	v_cvt_f32_u32_sdwa v2, v4 dst_sel:DWORD dst_unused:UNUSED_PAD src0_sel:WORD_0
	v_cvt_f32_u32_sdwa v23, v5 dst_sel:DWORD dst_unused:UNUSED_PAD src0_sel:WORD_1
	v_cvt_f32_u32_sdwa v22, v5 dst_sel:DWORD dst_unused:UNUSED_PAD src0_sel:WORD_0
	s_waitcnt vmcnt(2)
	v_cvt_f32_u32_sdwa v5, v6 dst_sel:DWORD dst_unused:UNUSED_PAD src0_sel:WORD_1
	v_cvt_f32_u32_sdwa v4, v6 dst_sel:DWORD dst_unused:UNUSED_PAD src0_sel:WORD_0
	v_cvt_f32_u32_sdwa v25, v7 dst_sel:DWORD dst_unused:UNUSED_PAD src0_sel:WORD_1
	v_cvt_f32_u32_sdwa v24, v7 dst_sel:DWORD dst_unused:UNUSED_PAD src0_sel:WORD_0
	v_cvt_f32_u32_sdwa v7, v8 dst_sel:DWORD dst_unused:UNUSED_PAD src0_sel:WORD_1
	v_cvt_f32_u32_sdwa v6, v8 dst_sel:DWORD dst_unused:UNUSED_PAD src0_sel:WORD_0
	v_cvt_f32_u32_sdwa v27, v9 dst_sel:DWORD dst_unused:UNUSED_PAD src0_sel:WORD_1
	v_cvt_f32_u32_sdwa v26, v9 dst_sel:DWORD dst_unused:UNUSED_PAD src0_sel:WORD_0
	;; [unrolled: 9-line block ×3, first 2 shown]
	s_waitcnt vmcnt(0)
	v_cvt_f32_u32_sdwa v13, v14 dst_sel:DWORD dst_unused:UNUSED_PAD src0_sel:WORD_1
	v_cvt_f32_u32_sdwa v12, v14 dst_sel:DWORD dst_unused:UNUSED_PAD src0_sel:WORD_0
	v_cvt_f32_u32_sdwa v33, v15 dst_sel:DWORD dst_unused:UNUSED_PAD src0_sel:WORD_1
	v_cvt_f32_u32_sdwa v32, v15 dst_sel:DWORD dst_unused:UNUSED_PAD src0_sel:WORD_0
	;; [unrolled: 2-line block ×3, first 2 shown]
	v_max3_f32 v16, v18, s0, v19
	v_max3_f32 v16, v16, v20, v21
	;; [unrolled: 1-line block ×11, first 2 shown]
	v_cvt_f32_u32_sdwa v35, v17 dst_sel:DWORD dst_unused:UNUSED_PAD src0_sel:WORD_1
	v_cvt_f32_u32_sdwa v34, v17 dst_sel:DWORD dst_unused:UNUSED_PAD src0_sel:WORD_0
	v_max3_f32 v16, v16, v30, v31
	v_max3_f32 v16, v16, v12, v13
	;; [unrolled: 1-line block ×5, first 2 shown]
	v_mul_f32_e32 v16, 0x3b124925, v16
	v_bfe_u32 v17, v16, 23, 8
	v_and_b32_e32 v16, 0x7fffff, v16
	v_cmp_ne_u32_e32 vcc, s2, v17
	v_cmp_ne_u32_e64 s[0:1], 0, v16
	s_and_b64 vcc, s[0:1], vcc
	v_addc_co_u32_e32 v16, vcc, 0, v17, vcc
	v_lshlrev_b32_e32 v17, 23, v16
	v_div_scale_f32 v39, s[0:1], v17, v17, 1.0
	v_rcp_f32_e32 v40, v39
	global_store_byte v[0:1], v16, off
	v_div_scale_f32 v0, vcc, 1.0, v17, 1.0
	v_fma_f32 v1, -v39, v40, 1.0
	v_fmac_f32_e32 v40, v1, v40
	v_mul_f32_e32 v1, v0, v40
	v_fma_f32 v16, -v39, v1, v0
	v_fmac_f32_e32 v1, v16, v40
	v_fma_f32 v0, -v39, v1, v0
	v_div_fmas_f32 v0, v0, v40, v1
	v_div_fixup_f32 v16, v0, v17, 1.0
	v_mov_b32_e32 v17, v16
	;;#ASMSTART
	v_pk_mul_f32 v[0:1], v[18:19], v[16:17]
	;;#ASMEND
	;;#ASMSTART
	v_med3_f32 v0, v0, v37, v38
v_med3_f32 v1, v1, v37, v38
v_cvt_pk_fp8_f32 v18, v0, v1
	;;#ASMEND
	;;#ASMSTART
	v_pk_mul_f32 v[0:1], v[20:21], v[16:17]
	;;#ASMEND
	;;#ASMSTART
	v_med3_f32 v0, v0, v37, v38
v_med3_f32 v1, v1, v37, v38
v_cvt_pk_fp8_f32 v19, v0, v1
	;;#ASMEND
	;;#ASMSTART
	v_pk_mul_f32 v[2:3], v[2:3], v[16:17]
	;;#ASMEND
	v_mov_b32_e32 v1, v3
	v_perm_b32 v0, v19, v18, s3
	;;#ASMSTART
	v_med3_f32 v2, v2, v37, v38
v_med3_f32 v1, v1, v37, v38
v_cvt_pk_fp8_f32 v18, v2, v1
	;;#ASMEND
	;;#ASMSTART
	v_pk_mul_f32 v[2:3], v[22:23], v[16:17]
	;;#ASMEND
	v_mov_b32_e32 v1, v3
	v_perm_b32 v0, v0, v19, s4
	;;#ASMSTART
	v_med3_f32 v2, v2, v37, v38
v_med3_f32 v1, v1, v37, v38
v_cvt_pk_fp8_f32 v19, v2, v1
	;;#ASMEND
	;;#ASMSTART
	v_pk_mul_f32 v[2:3], v[4:5], v[16:17]
	;;#ASMEND
	v_perm_b32 v1, v18, v19, s5
	;;#ASMSTART
	v_med3_f32 v2, v2, v37, v38
v_med3_f32 v3, v3, v37, v38
v_cvt_pk_fp8_f32 v18, v2, v3
	;;#ASMEND
	;;#ASMSTART
	v_pk_mul_f32 v[2:3], v[24:25], v[16:17]
	;;#ASMEND
	;;#ASMSTART
	v_med3_f32 v2, v2, v37, v38
v_med3_f32 v3, v3, v37, v38
v_cvt_pk_fp8_f32 v19, v2, v3
	;;#ASMEND
	;;#ASMSTART
	v_pk_mul_f32 v[4:5], v[6:7], v[16:17]
	;;#ASMEND
	v_mov_b32_e32 v3, v5
	;;#ASMSTART
	v_med3_f32 v4, v4, v37, v38
v_med3_f32 v3, v3, v37, v38
v_cvt_pk_fp8_f32 v6, v4, v3
	;;#ASMEND
	;;#ASMSTART
	v_pk_mul_f32 v[4:5], v[26:27], v[16:17]
	;;#ASMEND
	v_mov_b32_e32 v3, v5
	;;#ASMSTART
	v_med3_f32 v4, v4, v37, v38
v_med3_f32 v3, v3, v37, v38
v_cvt_pk_fp8_f32 v5, v4, v3
	;;#ASMEND
	v_perm_b32 v2, v18, v19, s5
	v_perm_b32 v3, v6, v5, s5
	buffer_store_dwordx4 v[0:3], v36, s[8:11], 0 offen
	;;#ASMSTART
	s_nop 0
	;;#ASMEND
	s_nop 0
	;;#ASMSTART
	v_pk_mul_f32 v[0:1], v[8:9], v[16:17]
	;;#ASMEND
	;;#ASMSTART
	v_med3_f32 v0, v0, v37, v38
v_med3_f32 v1, v1, v37, v38
v_cvt_pk_fp8_f32 v2, v0, v1
	;;#ASMEND
	;;#ASMSTART
	v_pk_mul_f32 v[0:1], v[28:29], v[16:17]
	;;#ASMEND
	;;#ASMSTART
	v_med3_f32 v0, v0, v37, v38
v_med3_f32 v1, v1, v37, v38
v_cvt_pk_fp8_f32 v3, v0, v1
	;;#ASMEND
	v_perm_b32 v0, v3, v2, s3
	v_perm_b32 v0, v0, v3, s4
	;;#ASMSTART
	v_pk_mul_f32 v[2:3], v[10:11], v[16:17]
	;;#ASMEND
	v_mov_b32_e32 v1, v3
	;;#ASMSTART
	v_med3_f32 v2, v2, v37, v38
v_med3_f32 v1, v1, v37, v38
v_cvt_pk_fp8_f32 v4, v2, v1
	;;#ASMEND
	;;#ASMSTART
	v_pk_mul_f32 v[2:3], v[30:31], v[16:17]
	;;#ASMEND
	v_mov_b32_e32 v1, v3
	;;#ASMSTART
	v_med3_f32 v2, v2, v37, v38
v_med3_f32 v1, v1, v37, v38
v_cvt_pk_fp8_f32 v3, v2, v1
	;;#ASMEND
	v_perm_b32 v1, v4, v3, s5
	;;#ASMSTART
	v_pk_mul_f32 v[2:3], v[12:13], v[16:17]
	;;#ASMEND
	;;#ASMSTART
	v_med3_f32 v2, v2, v37, v38
v_med3_f32 v3, v3, v37, v38
v_cvt_pk_fp8_f32 v4, v2, v3
	;;#ASMEND
	;;#ASMSTART
	v_pk_mul_f32 v[2:3], v[32:33], v[16:17]
	;;#ASMEND
	;;#ASMSTART
	v_med3_f32 v2, v2, v37, v38
v_med3_f32 v3, v3, v37, v38
v_cvt_pk_fp8_f32 v5, v2, v3
	;;#ASMEND
	v_perm_b32 v2, v4, v5, s5
	;;#ASMSTART
	v_pk_mul_f32 v[4:5], v[14:15], v[16:17]
	;;#ASMEND
	v_mov_b32_e32 v3, v5
	;;#ASMSTART
	v_med3_f32 v4, v4, v37, v38
v_med3_f32 v3, v3, v37, v38
v_cvt_pk_fp8_f32 v6, v4, v3
	;;#ASMEND
	;;#ASMSTART
	v_pk_mul_f32 v[4:5], v[34:35], v[16:17]
	;;#ASMEND
	v_mov_b32_e32 v3, v5
	;;#ASMSTART
	v_med3_f32 v4, v4, v37, v38
v_med3_f32 v3, v3, v37, v38
v_cvt_pk_fp8_f32 v5, v4, v3
	;;#ASMEND
	v_perm_b32 v3, v6, v5, s5
	buffer_store_dwordx4 v[0:3], v36, s[8:11], 16 offen
	;;#ASMSTART
	s_nop 0
	;;#ASMEND
.LBB53_9:
	s_endpgm
	.section	.rodata,"a",@progbits
	.p2align	6, 0x0
	.amdhsa_kernel _ZN5aiter37dynamic_per_group_scaled_quant_kernelItDB8_Li32ELi32ELb0ELi64ELb1EEEvPT0_PfPKT_PKfliilPKii
		.amdhsa_group_segment_fixed_size 0
		.amdhsa_private_segment_fixed_size 0
		.amdhsa_kernarg_size 68
		.amdhsa_user_sgpr_count 6
		.amdhsa_user_sgpr_private_segment_buffer 1
		.amdhsa_user_sgpr_dispatch_ptr 0
		.amdhsa_user_sgpr_queue_ptr 0
		.amdhsa_user_sgpr_kernarg_segment_ptr 1
		.amdhsa_user_sgpr_dispatch_id 0
		.amdhsa_user_sgpr_flat_scratch_init 0
		.amdhsa_user_sgpr_kernarg_preload_length 0
		.amdhsa_user_sgpr_kernarg_preload_offset 0
		.amdhsa_user_sgpr_private_segment_size 0
		.amdhsa_uses_dynamic_stack 0
		.amdhsa_system_sgpr_private_segment_wavefront_offset 0
		.amdhsa_system_sgpr_workgroup_id_x 1
		.amdhsa_system_sgpr_workgroup_id_y 0
		.amdhsa_system_sgpr_workgroup_id_z 0
		.amdhsa_system_sgpr_workgroup_info 0
		.amdhsa_system_vgpr_workitem_id 0
		.amdhsa_next_free_vgpr 41
		.amdhsa_next_free_sgpr 18
		.amdhsa_accum_offset 44
		.amdhsa_reserve_vcc 1
		.amdhsa_reserve_flat_scratch 0
		.amdhsa_float_round_mode_32 0
		.amdhsa_float_round_mode_16_64 0
		.amdhsa_float_denorm_mode_32 3
		.amdhsa_float_denorm_mode_16_64 3
		.amdhsa_dx10_clamp 1
		.amdhsa_ieee_mode 1
		.amdhsa_fp16_overflow 0
		.amdhsa_tg_split 0
		.amdhsa_exception_fp_ieee_invalid_op 0
		.amdhsa_exception_fp_denorm_src 0
		.amdhsa_exception_fp_ieee_div_zero 0
		.amdhsa_exception_fp_ieee_overflow 0
		.amdhsa_exception_fp_ieee_underflow 0
		.amdhsa_exception_fp_ieee_inexact 0
		.amdhsa_exception_int_div_zero 0
	.end_amdhsa_kernel
	.section	.text._ZN5aiter37dynamic_per_group_scaled_quant_kernelItDB8_Li32ELi32ELb0ELi64ELb1EEEvPT0_PfPKT_PKfliilPKii,"axG",@progbits,_ZN5aiter37dynamic_per_group_scaled_quant_kernelItDB8_Li32ELi32ELb0ELi64ELb1EEEvPT0_PfPKT_PKfliilPKii,comdat
.Lfunc_end53:
	.size	_ZN5aiter37dynamic_per_group_scaled_quant_kernelItDB8_Li32ELi32ELb0ELi64ELb1EEEvPT0_PfPKT_PKfliilPKii, .Lfunc_end53-_ZN5aiter37dynamic_per_group_scaled_quant_kernelItDB8_Li32ELi32ELb0ELi64ELb1EEEvPT0_PfPKT_PKfliilPKii
                                        ; -- End function
	.section	.AMDGPU.csdata,"",@progbits
; Kernel info:
; codeLenInByte = 2372
; NumSgprs: 22
; NumVgprs: 41
; NumAgprs: 0
; TotalNumVgprs: 41
; ScratchSize: 0
; MemoryBound: 0
; FloatMode: 240
; IeeeMode: 1
; LDSByteSize: 0 bytes/workgroup (compile time only)
; SGPRBlocks: 2
; VGPRBlocks: 5
; NumSGPRsForWavesPerEU: 22
; NumVGPRsForWavesPerEU: 41
; AccumOffset: 44
; Occupancy: 8
; WaveLimiterHint : 0
; COMPUTE_PGM_RSRC2:SCRATCH_EN: 0
; COMPUTE_PGM_RSRC2:USER_SGPR: 6
; COMPUTE_PGM_RSRC2:TRAP_HANDLER: 0
; COMPUTE_PGM_RSRC2:TGID_X_EN: 1
; COMPUTE_PGM_RSRC2:TGID_Y_EN: 0
; COMPUTE_PGM_RSRC2:TGID_Z_EN: 0
; COMPUTE_PGM_RSRC2:TIDIG_COMP_CNT: 0
; COMPUTE_PGM_RSRC3_GFX90A:ACCUM_OFFSET: 10
; COMPUTE_PGM_RSRC3_GFX90A:TG_SPLIT: 0
	.section	.text._ZN5aiter37dynamic_per_group_scaled_quant_kernelIDF16_DB8_Li32ELi64ELb1ELi64ELb1EEEvPT0_PfPKT_PKfliilPKii,"axG",@progbits,_ZN5aiter37dynamic_per_group_scaled_quant_kernelIDF16_DB8_Li32ELi64ELb1ELi64ELb1EEEvPT0_PfPKT_PKfliilPKii,comdat
	.protected	_ZN5aiter37dynamic_per_group_scaled_quant_kernelIDF16_DB8_Li32ELi64ELb1ELi64ELb1EEEvPT0_PfPKT_PKfliilPKii ; -- Begin function _ZN5aiter37dynamic_per_group_scaled_quant_kernelIDF16_DB8_Li32ELi64ELb1ELi64ELb1EEEvPT0_PfPKT_PKfliilPKii
	.globl	_ZN5aiter37dynamic_per_group_scaled_quant_kernelIDF16_DB8_Li32ELi64ELb1ELi64ELb1EEEvPT0_PfPKT_PKfliilPKii
	.p2align	8
	.type	_ZN5aiter37dynamic_per_group_scaled_quant_kernelIDF16_DB8_Li32ELi64ELb1ELi64ELb1EEEvPT0_PfPKT_PKfliilPKii,@function
_ZN5aiter37dynamic_per_group_scaled_quant_kernelIDF16_DB8_Li32ELi64ELb1ELi64ELb1EEEvPT0_PfPKT_PKfliilPKii: ; @_ZN5aiter37dynamic_per_group_scaled_quant_kernelIDF16_DB8_Li32ELi64ELb1ELi64ELb1EEEvPT0_PfPKT_PKfliilPKii
; %bb.0:
	s_load_dwordx2 s[0:1], s[4:5], 0x38
	s_waitcnt lgkmcnt(0)
	s_cmp_eq_u64 s[0:1], 0
	s_cbranch_scc1 .LBB54_2
; %bb.1:
	s_load_dword s2, s[4:5], 0x40
	s_load_dword s3, s[0:1], 0x0
	s_waitcnt lgkmcnt(0)
	s_mul_hi_i32 s9, s3, s2
	s_mul_i32 s8, s3, s2
	s_branch .LBB54_3
.LBB54_2:
	s_load_dwordx2 s[8:9], s[4:5], 0x20
.LBB54_3:
	s_load_dwordx2 s[2:3], s[4:5], 0x28
	s_mov_b32 s7, 0
	s_lshl_b64 s[0:1], s[6:7], 6
	v_or_b32_e32 v2, s0, v0
	v_mov_b32_e32 v3, s1
	s_waitcnt lgkmcnt(0)
	s_ashr_i32 s0, s2, 31
	s_lshr_b32 s0, s0, 26
	s_add_i32 s0, s2, s0
	s_ashr_i32 s14, s0, 6
	s_add_i32 s2, s14, 7
	s_lshr_b32 s0, s2, 29
	s_add_i32 s2, s2, s0
	s_and_b32 s15, s2, -8
	v_lshrrev_b64 v[18:19], 1, v[2:3]
	s_ashr_i32 s0, s15, 31
	v_or_b32_e32 v5, s0, v19
	v_mov_b32_e32 v4, 0
	v_cmp_ne_u64_e32 vcc, 0, v[4:5]
                                        ; implicit-def: $vgpr20_vgpr21
	s_and_saveexec_b64 s[6:7], vcc
	s_xor_b64 s[6:7], exec, s[6:7]
	s_cbranch_execz .LBB54_5
; %bb.4:
	s_add_u32 s12, s15, s0
	s_mov_b32 s10, s0
	s_mov_b32 s11, s0
	s_addc_u32 s13, s0, s0
	s_xor_b64 s[12:13], s[12:13], s[10:11]
	v_cvt_f32_u32_e32 v1, s12
	v_cvt_f32_u32_e32 v2, s13
	s_sub_u32 s0, 0, s12
	s_subb_u32 s1, 0, s13
	v_madmk_f32 v1, v2, 0x4f800000, v1
	v_rcp_f32_e32 v1, v1
	v_mul_f32_e32 v1, 0x5f7ffffc, v1
	v_mul_f32_e32 v2, 0x2f800000, v1
	v_trunc_f32_e32 v2, v2
	v_madmk_f32 v1, v2, 0xcf800000, v1
	v_cvt_u32_f32_e32 v2, v2
	v_cvt_u32_f32_e32 v1, v1
	v_mul_lo_u32 v3, s0, v2
	v_mul_hi_u32 v5, s0, v1
	v_mul_lo_u32 v4, s1, v1
	v_add_u32_e32 v3, v5, v3
	v_mul_lo_u32 v6, s0, v1
	v_add_u32_e32 v3, v3, v4
	v_mul_lo_u32 v5, v1, v3
	v_mul_hi_u32 v7, v1, v6
	v_mul_hi_u32 v4, v1, v3
	v_add_co_u32_e32 v5, vcc, v7, v5
	v_addc_co_u32_e32 v4, vcc, 0, v4, vcc
	v_mul_hi_u32 v8, v2, v6
	v_mul_lo_u32 v6, v2, v6
	v_add_co_u32_e32 v5, vcc, v5, v6
	v_mul_hi_u32 v7, v2, v3
	v_addc_co_u32_e32 v4, vcc, v4, v8, vcc
	v_addc_co_u32_e32 v5, vcc, 0, v7, vcc
	v_mul_lo_u32 v3, v2, v3
	v_add_co_u32_e32 v3, vcc, v4, v3
	v_addc_co_u32_e32 v4, vcc, 0, v5, vcc
	v_add_co_u32_e32 v1, vcc, v1, v3
	v_addc_co_u32_e32 v2, vcc, v2, v4, vcc
	v_mul_lo_u32 v3, s0, v2
	v_mul_hi_u32 v4, s0, v1
	v_add_u32_e32 v3, v4, v3
	v_mul_lo_u32 v4, s1, v1
	v_add_u32_e32 v3, v3, v4
	v_mul_lo_u32 v5, s0, v1
	v_mul_hi_u32 v6, v2, v5
	v_mul_lo_u32 v7, v2, v5
	v_mul_lo_u32 v9, v1, v3
	v_mul_hi_u32 v5, v1, v5
	v_mul_hi_u32 v8, v1, v3
	v_add_co_u32_e32 v5, vcc, v5, v9
	v_addc_co_u32_e32 v8, vcc, 0, v8, vcc
	v_add_co_u32_e32 v5, vcc, v5, v7
	v_mul_hi_u32 v4, v2, v3
	v_addc_co_u32_e32 v5, vcc, v8, v6, vcc
	v_addc_co_u32_e32 v4, vcc, 0, v4, vcc
	v_mul_lo_u32 v3, v2, v3
	v_add_co_u32_e32 v3, vcc, v5, v3
	v_addc_co_u32_e32 v4, vcc, 0, v4, vcc
	v_add_co_u32_e32 v1, vcc, v1, v3
	v_addc_co_u32_e32 v4, vcc, v2, v4, vcc
	v_mad_u64_u32 v[2:3], s[0:1], v18, v4, 0
	v_mul_hi_u32 v5, v18, v1
	v_add_co_u32_e32 v6, vcc, v5, v2
	v_addc_co_u32_e32 v7, vcc, 0, v3, vcc
	v_mad_u64_u32 v[2:3], s[0:1], v19, v4, 0
	v_mad_u64_u32 v[4:5], s[0:1], v19, v1, 0
	v_add_co_u32_e32 v1, vcc, v6, v4
	v_addc_co_u32_e32 v1, vcc, v7, v5, vcc
	v_addc_co_u32_e32 v3, vcc, 0, v3, vcc
	v_add_co_u32_e32 v1, vcc, v1, v2
	v_addc_co_u32_e32 v4, vcc, 0, v3, vcc
	v_mul_lo_u32 v5, s13, v1
	v_mul_lo_u32 v6, s12, v4
	v_mad_u64_u32 v[2:3], s[0:1], s12, v1, 0
	v_add3_u32 v3, v3, v6, v5
	v_sub_u32_e32 v5, v19, v3
	v_mov_b32_e32 v6, s13
	v_sub_co_u32_e32 v2, vcc, v18, v2
	v_subb_co_u32_e64 v5, s[0:1], v5, v6, vcc
	v_subrev_co_u32_e64 v6, s[0:1], s12, v2
	v_subbrev_co_u32_e64 v5, s[0:1], 0, v5, s[0:1]
	v_cmp_le_u32_e64 s[0:1], s13, v5
	v_cndmask_b32_e64 v7, 0, -1, s[0:1]
	v_cmp_le_u32_e64 s[0:1], s12, v6
	v_cndmask_b32_e64 v6, 0, -1, s[0:1]
	v_cmp_eq_u32_e64 s[0:1], s13, v5
	v_cndmask_b32_e64 v5, v7, v6, s[0:1]
	v_add_co_u32_e64 v6, s[0:1], 2, v1
	v_addc_co_u32_e64 v7, s[0:1], 0, v4, s[0:1]
	v_add_co_u32_e64 v8, s[0:1], 1, v1
	v_addc_co_u32_e64 v9, s[0:1], 0, v4, s[0:1]
	v_subb_co_u32_e32 v3, vcc, v19, v3, vcc
	v_cmp_ne_u32_e64 s[0:1], 0, v5
	v_cmp_le_u32_e32 vcc, s13, v3
	v_cndmask_b32_e64 v5, v9, v7, s[0:1]
	v_cndmask_b32_e64 v7, 0, -1, vcc
	v_cmp_le_u32_e32 vcc, s12, v2
	v_cndmask_b32_e64 v2, 0, -1, vcc
	v_cmp_eq_u32_e32 vcc, s13, v3
	v_cndmask_b32_e32 v2, v7, v2, vcc
	v_cmp_ne_u32_e32 vcc, 0, v2
	v_cndmask_b32_e64 v3, v8, v6, s[0:1]
	v_cndmask_b32_e32 v1, v1, v3, vcc
	v_cndmask_b32_e32 v2, v4, v5, vcc
	v_xor_b32_e32 v1, s10, v1
	v_xor_b32_e32 v2, s11, v2
	v_mov_b32_e32 v3, s11
	v_subrev_co_u32_e32 v20, vcc, s10, v1
	v_subb_co_u32_e32 v21, vcc, v2, v3, vcc
                                        ; implicit-def: $vgpr2_vgpr3
.LBB54_5:
	s_andn2_saveexec_b64 s[0:1], s[6:7]
	s_cbranch_execz .LBB54_7
; %bb.6:
	v_cvt_f32_u32_e32 v1, s15
	s_sub_i32 s6, 0, s15
	v_alignbit_b32 v2, v3, v2, 1
	v_mov_b32_e32 v21, 0
	v_rcp_iflag_f32_e32 v1, v1
	v_mul_f32_e32 v1, 0x4f7ffffe, v1
	v_cvt_u32_f32_e32 v1, v1
	v_mul_lo_u32 v3, s6, v1
	v_mul_hi_u32 v3, v1, v3
	v_add_u32_e32 v1, v1, v3
	v_mul_hi_u32 v1, v2, v1
	v_mul_lo_u32 v3, v1, s15
	v_sub_u32_e32 v2, v2, v3
	v_add_u32_e32 v4, 1, v1
	v_subrev_u32_e32 v3, s15, v2
	v_cmp_le_u32_e32 vcc, s15, v2
	v_cndmask_b32_e32 v2, v2, v3, vcc
	v_cndmask_b32_e32 v1, v1, v4, vcc
	v_add_u32_e32 v3, 1, v1
	v_cmp_le_u32_e32 vcc, s15, v2
	v_cndmask_b32_e32 v20, v1, v3, vcc
.LBB54_7:
	s_or_b64 exec, exec, s[0:1]
	v_mad_u64_u32 v[2:3], s[0:1], v20, s15, 0
	v_sub_co_u32_e32 v1, vcc, v18, v2
	v_cmp_gt_i64_e32 vcc, s[8:9], v[20:21]
	v_cmp_gt_i32_e64 s[0:1], s14, v1
	s_and_b64 s[0:1], vcc, s[0:1]
	s_and_saveexec_b64 s[6:7], s[0:1]
	s_cbranch_execz .LBB54_11
; %bb.8:
	s_load_dwordx2 s[0:1], s[4:5], 0x10
	s_load_dwordx2 s[8:9], s[4:5], 0x0
	s_ashr_i32 s6, s3, 31
	v_mul_lo_u32 v4, v21, s3
	v_mul_lo_u32 v5, v20, s6
	v_mad_u64_u32 v[2:3], s[6:7], v20, s3, 0
	v_add3_u32 v3, v3, v5, v4
	v_lshlrev_b64 v[2:3], 1, v[2:3]
	v_lshlrev_b32_e32 v22, 6, v1
	v_mov_b32_e32 v23, 0
	s_waitcnt lgkmcnt(0)
	v_mov_b32_e32 v4, s1
	v_add_co_u32_e32 v5, vcc, s0, v2
	v_addc_co_u32_e32 v4, vcc, v4, v3, vcc
	v_lshlrev_b64 v[2:3], 1, v[22:23]
	v_add_co_u32_e32 v2, vcc, v5, v2
	v_and_b32_e32 v21, 1, v0
	v_addc_co_u32_e32 v3, vcc, v4, v3, vcc
	v_lshlrev_b32_e32 v4, 6, v21
	v_add_co_u32_e32 v24, vcc, v2, v4
	v_addc_co_u32_e32 v25, vcc, 0, v3, vcc
	global_load_dwordx4 v[14:17], v[24:25], off
	global_load_dwordx4 v[10:13], v[24:25], off offset:16
	global_load_dwordx4 v[6:9], v[24:25], off offset:32
	global_load_dwordx4 v[2:5], v[24:25], off offset:48
	s_mov_b32 s0, 0x2edbe6ff
	s_movk_i32 s1, 0xff
	s_waitcnt vmcnt(3)
	v_cvt_f32_f16_e64 v19, |v14|
	v_cvt_f32_f16_sdwa v23, |v14| dst_sel:DWORD dst_unused:UNUSED_PAD src0_sel:WORD_1
	v_cvt_f32_f16_e64 v24, |v15|
	v_cvt_f32_f16_sdwa v25, |v15| dst_sel:DWORD dst_unused:UNUSED_PAD src0_sel:WORD_1
	;; [unrolled: 2-line block ×4, first 2 shown]
	s_waitcnt vmcnt(2)
	v_cvt_f32_f16_e64 v30, |v10|
	v_cvt_f32_f16_sdwa v31, |v10| dst_sel:DWORD dst_unused:UNUSED_PAD src0_sel:WORD_1
	v_max3_f32 v19, v19, s0, v23
	v_cvt_f32_f16_e64 v32, |v11|
	v_cvt_f32_f16_sdwa v33, |v11| dst_sel:DWORD dst_unused:UNUSED_PAD src0_sel:WORD_1
	v_max3_f32 v19, v19, v24, v25
	v_cvt_f32_f16_e64 v34, |v12|
	v_cvt_f32_f16_sdwa v35, |v12| dst_sel:DWORD dst_unused:UNUSED_PAD src0_sel:WORD_1
	v_max3_f32 v19, v19, v26, v27
	v_cvt_f32_f16_e64 v36, |v13|
	v_cvt_f32_f16_sdwa v37, |v13| dst_sel:DWORD dst_unused:UNUSED_PAD src0_sel:WORD_1
	v_max3_f32 v19, v19, v28, v29
	s_waitcnt vmcnt(1)
	v_cvt_f32_f16_e64 v38, |v6|
	v_cvt_f32_f16_sdwa v39, |v6| dst_sel:DWORD dst_unused:UNUSED_PAD src0_sel:WORD_1
	v_max3_f32 v19, v19, v30, v31
	v_cvt_f32_f16_e64 v40, |v7|
	v_cvt_f32_f16_sdwa v41, |v7| dst_sel:DWORD dst_unused:UNUSED_PAD src0_sel:WORD_1
	v_max3_f32 v19, v19, v32, v33
	v_cvt_f32_f16_e64 v42, |v8|
	v_cvt_f32_f16_sdwa v43, |v8| dst_sel:DWORD dst_unused:UNUSED_PAD src0_sel:WORD_1
	v_max3_f32 v19, v19, v34, v35
	v_cvt_f32_f16_e64 v44, |v9|
	v_cvt_f32_f16_sdwa v45, |v9| dst_sel:DWORD dst_unused:UNUSED_PAD src0_sel:WORD_1
	v_max3_f32 v19, v19, v36, v37
	;; [unrolled: 13-line block ×3, first 2 shown]
	v_max3_f32 v19, v19, v46, v47
	v_max3_f32 v19, v19, v48, v49
	;; [unrolled: 1-line block ×4, first 2 shown]
	s_nop 1
	v_mov_b32_dpp v23, v19 quad_perm:[1,0,3,2] row_mask:0xf bank_mask:0xf
	v_cmp_gt_f32_e32 vcc, v19, v23
	v_cndmask_b32_e32 v19, v23, v19, vcc
	v_mul_f32_e32 v19, 0x3b124925, v19
	v_bfe_u32 v23, v19, 23, 8
	v_and_b32_e32 v19, 0x7fffff, v19
	v_cmp_ne_u32_e32 vcc, s1, v23
	v_cmp_ne_u32_e64 s[0:1], 0, v19
	s_and_b64 vcc, s[0:1], vcc
	v_addc_co_u32_e32 v19, vcc, 0, v23, vcc
	v_cmp_eq_u32_e32 vcc, 0, v21
	s_and_saveexec_b64 s[0:1], vcc
	s_cbranch_execz .LBB54_10
; %bb.9:
	v_ashrrev_i32_e32 v21, 31, v20
	v_lshrrev_b32_e32 v23, 27, v21
	v_lshrrev_b32_e32 v21, 28, v21
	v_add_u32_e32 v23, v20, v23
	v_add_u32_e32 v21, v20, v21
	v_lshrrev_b32_e32 v24, 5, v23
	v_and_b32_e32 v21, 0x3ffffff0, v21
	v_and_b32_e32 v23, 0xffe0, v23
	v_sub_u32_e32 v21, v20, v21
	v_sub_u32_e32 v20, v20, v23
	v_mov_b32_e32 v23, 11
	v_lshrrev_b16_sdwa v23, v23, sext(v20) dst_sel:DWORD dst_unused:UNUSED_PAD src0_sel:DWORD src1_sel:BYTE_0
	v_and_b32_e32 v23, 15, v23
	s_load_dwordx2 s[6:7], s[4:5], 0x8
	v_add_u16_e32 v20, v20, v23
	v_mov_b32_e32 v23, 4
	s_ashr_i32 s2, s2, 3
	v_ashrrev_i16_sdwa v20, v23, sext(v20) dst_sel:DWORD dst_unused:UNUSED_PAD src0_sel:DWORD src1_sel:BYTE_0
	v_mul_lo_u32 v24, v24, s2
	v_lshrrev_b32_e32 v25, 3, v1
	v_and_b32_e32 v22, 0xc0, v22
	v_lshlrev_b32_e32 v21, 2, v21
	v_lshrrev_b32_e32 v1, 1, v1
	v_bfe_i32 v20, v20, 0, 16
	v_and_b32_e32 v1, 2, v1
	v_add_lshl_u32 v23, v25, v24, 8
	v_add3_u32 v20, v22, v21, v20
	v_add3_u32 v1, v20, v23, v1
	v_ashrrev_i32_e32 v21, 31, v1
	s_waitcnt lgkmcnt(0)
	v_mov_b32_e32 v22, s7
	v_add_co_u32_e32 v20, vcc, s6, v1
	v_addc_co_u32_e32 v21, vcc, v22, v21, vcc
	global_store_byte v[20:21], v19, off
.LBB54_10:
	s_or_b64 exec, exec, s[0:1]
	v_lshlrev_b32_e32 v1, 23, v19
	v_div_scale_f32 v19, s[0:1], v1, v1, 1.0
	v_rcp_f32_e32 v20, v19
	v_lshlrev_b32_e32 v21, 6, v18
	v_lshlrev_b32_e32 v0, 5, v0
	v_and_or_b32 v30, v0, 32, v21
	v_fma_f32 v18, -v19, v20, 1.0
	v_fmac_f32_e32 v20, v18, v20
	v_div_scale_f32 v18, vcc, 1.0, v1, 1.0
	v_mul_f32_e32 v22, v18, v20
	v_fma_f32 v23, -v19, v22, v18
	v_fmac_f32_e32 v22, v23, v20
	v_fma_f32 v18, -v19, v22, v18
	v_div_fmas_f32 v18, v18, v20, v22
	v_div_fixup_f32 v18, v18, v1, 1.0
	v_cvt_f32_f16_e32 v0, v14
	v_cvt_f32_f16_sdwa v1, v14 dst_sel:DWORD dst_unused:UNUSED_PAD src0_sel:WORD_1
	v_mov_b32_e32 v19, v18
	;;#ASMSTART
	v_pk_mul_f32 v[0:1], v[0:1], v[18:19]
	;;#ASMEND
	v_cvt_f32_f16_e32 v22, v10
	v_cvt_f32_f16_sdwa v23, v10 dst_sel:DWORD dst_unused:UNUSED_PAD src0_sel:WORD_1
	v_mov_b32_e32 v31, 0xc3e00000
	v_mov_b32_e32 v32, 0x43e00000
	;;#ASMSTART
	v_med3_f32 v0, v0, v31, v32
v_med3_f32 v1, v1, v31, v32
v_cvt_pk_fp8_f32 v10, v0, v1
	;;#ASMEND
	v_cvt_f32_f16_e32 v14, v15
	v_cvt_f32_f16_sdwa v15, v15 dst_sel:DWORD dst_unused:UNUSED_PAD src0_sel:WORD_1
	;;#ASMSTART
	v_pk_mul_f32 v[0:1], v[14:15], v[18:19]
	;;#ASMEND
	v_cvt_f32_f16_e32 v24, v11
	v_cvt_f32_f16_sdwa v25, v11 dst_sel:DWORD dst_unused:UNUSED_PAD src0_sel:WORD_1
	;;#ASMSTART
	v_med3_f32 v0, v0, v31, v32
v_med3_f32 v1, v1, v31, v32
v_cvt_pk_fp8_f32 v11, v0, v1
	;;#ASMEND
	s_mov_b32 s0, 0x5040100
	v_perm_b32 v0, v11, v10, s0
	s_mov_b32 s1, 0x1060504
	v_cvt_f32_f16_e32 v20, v16
	v_cvt_f32_f16_sdwa v21, v16 dst_sel:DWORD dst_unused:UNUSED_PAD src0_sel:WORD_1
	v_perm_b32 v10, v0, v11, s1
	;;#ASMSTART
	v_pk_mul_f32 v[0:1], v[20:21], v[18:19]
	;;#ASMEND
	;;#ASMSTART
	v_med3_f32 v0, v0, v31, v32
v_med3_f32 v1, v1, v31, v32
v_cvt_pk_fp8_f32 v11, v0, v1
	;;#ASMEND
	v_cvt_f32_f16_e32 v16, v17
	v_cvt_f32_f16_sdwa v17, v17 dst_sel:DWORD dst_unused:UNUSED_PAD src0_sel:WORD_1
	;;#ASMSTART
	v_pk_mul_f32 v[0:1], v[16:17], v[18:19]
	;;#ASMEND
	v_cvt_f32_f16_e32 v26, v12
	v_cvt_f32_f16_sdwa v27, v12 dst_sel:DWORD dst_unused:UNUSED_PAD src0_sel:WORD_1
	;;#ASMSTART
	v_med3_f32 v0, v0, v31, v32
v_med3_f32 v1, v1, v31, v32
v_cvt_pk_fp8_f32 v12, v0, v1
	;;#ASMEND
	s_mov_b32 s2, 0x1000504
	;;#ASMSTART
	v_pk_mul_f32 v[0:1], v[22:23], v[18:19]
	;;#ASMEND
	v_perm_b32 v11, v11, v12, s2
	;;#ASMSTART
	v_med3_f32 v0, v0, v31, v32
v_med3_f32 v1, v1, v31, v32
v_cvt_pk_fp8_f32 v12, v0, v1
	;;#ASMEND
	;;#ASMSTART
	v_pk_mul_f32 v[0:1], v[24:25], v[18:19]
	;;#ASMEND
	v_cvt_f32_f16_e32 v28, v13
	v_cvt_f32_f16_sdwa v29, v13 dst_sel:DWORD dst_unused:UNUSED_PAD src0_sel:WORD_1
	;;#ASMSTART
	v_med3_f32 v0, v0, v31, v32
v_med3_f32 v1, v1, v31, v32
v_cvt_pk_fp8_f32 v13, v0, v1
	;;#ASMEND
	s_load_dword s10, s[4:5], 0x30
	;;#ASMSTART
	v_pk_mul_f32 v[0:1], v[26:27], v[18:19]
	;;#ASMEND
	v_perm_b32 v12, v12, v13, s2
	;;#ASMSTART
	v_med3_f32 v0, v0, v31, v32
v_med3_f32 v1, v1, v31, v32
v_cvt_pk_fp8_f32 v13, v0, v1
	;;#ASMEND
	;;#ASMSTART
	v_pk_mul_f32 v[0:1], v[28:29], v[18:19]
	;;#ASMEND
	;;#ASMSTART
	v_med3_f32 v0, v0, v31, v32
v_med3_f32 v1, v1, v31, v32
v_cvt_pk_fp8_f32 v14, v0, v1
	;;#ASMEND
	s_and_b32 s9, s9, 0xffff
	s_mov_b32 s11, 0x20000
	v_perm_b32 v13, v13, v14, s2
	v_cvt_f32_f16_e32 v0, v6
	v_cvt_f32_f16_sdwa v1, v6 dst_sel:DWORD dst_unused:UNUSED_PAD src0_sel:WORD_1
	s_waitcnt lgkmcnt(0)
	buffer_store_dwordx4 v[10:13], v30, s[8:11], 0 offen
	;;#ASMSTART
	s_nop 0
	;;#ASMEND
	;;#ASMSTART
	v_pk_mul_f32 v[0:1], v[0:1], v[18:19]
	;;#ASMEND
	;;#ASMSTART
	v_med3_f32 v0, v0, v31, v32
v_med3_f32 v1, v1, v31, v32
v_cvt_pk_fp8_f32 v16, v0, v1
	;;#ASMEND
	v_cvt_f32_f16_e32 v6, v7
	v_cvt_f32_f16_sdwa v7, v7 dst_sel:DWORD dst_unused:UNUSED_PAD src0_sel:WORD_1
	;;#ASMSTART
	v_pk_mul_f32 v[0:1], v[6:7], v[18:19]
	;;#ASMEND
	;;#ASMSTART
	v_med3_f32 v0, v0, v31, v32
v_med3_f32 v1, v1, v31, v32
v_cvt_pk_fp8_f32 v6, v0, v1
	;;#ASMEND
	v_perm_b32 v0, v6, v16, s0
	v_cvt_f32_f16_e32 v10, v8
	v_cvt_f32_f16_sdwa v11, v8 dst_sel:DWORD dst_unused:UNUSED_PAD src0_sel:WORD_1
	v_perm_b32 v0, v0, v6, s1
	;;#ASMSTART
	v_pk_mul_f32 v[6:7], v[10:11], v[18:19]
	;;#ASMEND
	v_mov_b32_e32 v1, v7
	;;#ASMSTART
	v_med3_f32 v6, v6, v31, v32
v_med3_f32 v1, v1, v31, v32
v_cvt_pk_fp8_f32 v10, v6, v1
	;;#ASMEND
	v_cvt_f32_f16_e32 v8, v9
	v_cvt_f32_f16_sdwa v9, v9 dst_sel:DWORD dst_unused:UNUSED_PAD src0_sel:WORD_1
	;;#ASMSTART
	v_pk_mul_f32 v[6:7], v[8:9], v[18:19]
	;;#ASMEND
	v_mov_b32_e32 v1, v7
	;;#ASMSTART
	v_med3_f32 v6, v6, v31, v32
v_med3_f32 v1, v1, v31, v32
v_cvt_pk_fp8_f32 v7, v6, v1
	;;#ASMEND
	v_cvt_f32_f16_e32 v12, v2
	v_cvt_f32_f16_sdwa v13, v2 dst_sel:DWORD dst_unused:UNUSED_PAD src0_sel:WORD_1
	v_cvt_f32_f16_e32 v2, v3
	v_cvt_f32_f16_sdwa v3, v3 dst_sel:DWORD dst_unused:UNUSED_PAD src0_sel:WORD_1
	v_perm_b32 v1, v10, v7, s2
	;;#ASMSTART
	v_pk_mul_f32 v[6:7], v[12:13], v[18:19]
	;;#ASMEND
	;;#ASMSTART
	v_med3_f32 v6, v6, v31, v32
v_med3_f32 v7, v7, v31, v32
v_cvt_pk_fp8_f32 v8, v6, v7
	;;#ASMEND
	;;#ASMSTART
	v_pk_mul_f32 v[2:3], v[2:3], v[18:19]
	;;#ASMEND
	;;#ASMSTART
	v_med3_f32 v2, v2, v31, v32
v_med3_f32 v3, v3, v31, v32
v_cvt_pk_fp8_f32 v6, v2, v3
	;;#ASMEND
	v_cvt_f32_f16_e32 v14, v4
	v_cvt_f32_f16_sdwa v15, v4 dst_sel:DWORD dst_unused:UNUSED_PAD src0_sel:WORD_1
	v_perm_b32 v2, v8, v6, s2
	;;#ASMSTART
	v_pk_mul_f32 v[6:7], v[14:15], v[18:19]
	;;#ASMEND
	v_mov_b32_e32 v3, v7
	v_cvt_f32_f16_e32 v4, v5
	v_cvt_f32_f16_sdwa v5, v5 dst_sel:DWORD dst_unused:UNUSED_PAD src0_sel:WORD_1
	;;#ASMSTART
	v_med3_f32 v6, v6, v31, v32
v_med3_f32 v3, v3, v31, v32
v_cvt_pk_fp8_f32 v7, v6, v3
	;;#ASMEND
	;;#ASMSTART
	v_pk_mul_f32 v[4:5], v[4:5], v[18:19]
	;;#ASMEND
	v_mov_b32_e32 v3, v5
	;;#ASMSTART
	v_med3_f32 v4, v4, v31, v32
v_med3_f32 v3, v3, v31, v32
v_cvt_pk_fp8_f32 v5, v4, v3
	;;#ASMEND
	v_perm_b32 v3, v7, v5, s2
	buffer_store_dwordx4 v[0:3], v30, s[8:11], 16 offen
	;;#ASMSTART
	s_nop 0
	;;#ASMEND
.LBB54_11:
	s_endpgm
	.section	.rodata,"a",@progbits
	.p2align	6, 0x0
	.amdhsa_kernel _ZN5aiter37dynamic_per_group_scaled_quant_kernelIDF16_DB8_Li32ELi64ELb1ELi64ELb1EEEvPT0_PfPKT_PKfliilPKii
		.amdhsa_group_segment_fixed_size 0
		.amdhsa_private_segment_fixed_size 0
		.amdhsa_kernarg_size 68
		.amdhsa_user_sgpr_count 6
		.amdhsa_user_sgpr_private_segment_buffer 1
		.amdhsa_user_sgpr_dispatch_ptr 0
		.amdhsa_user_sgpr_queue_ptr 0
		.amdhsa_user_sgpr_kernarg_segment_ptr 1
		.amdhsa_user_sgpr_dispatch_id 0
		.amdhsa_user_sgpr_flat_scratch_init 0
		.amdhsa_user_sgpr_kernarg_preload_length 0
		.amdhsa_user_sgpr_kernarg_preload_offset 0
		.amdhsa_user_sgpr_private_segment_size 0
		.amdhsa_uses_dynamic_stack 0
		.amdhsa_system_sgpr_private_segment_wavefront_offset 0
		.amdhsa_system_sgpr_workgroup_id_x 1
		.amdhsa_system_sgpr_workgroup_id_y 0
		.amdhsa_system_sgpr_workgroup_id_z 0
		.amdhsa_system_sgpr_workgroup_info 0
		.amdhsa_system_vgpr_workitem_id 0
		.amdhsa_next_free_vgpr 54
		.amdhsa_next_free_sgpr 16
		.amdhsa_accum_offset 56
		.amdhsa_reserve_vcc 1
		.amdhsa_reserve_flat_scratch 0
		.amdhsa_float_round_mode_32 0
		.amdhsa_float_round_mode_16_64 0
		.amdhsa_float_denorm_mode_32 3
		.amdhsa_float_denorm_mode_16_64 3
		.amdhsa_dx10_clamp 1
		.amdhsa_ieee_mode 1
		.amdhsa_fp16_overflow 0
		.amdhsa_tg_split 0
		.amdhsa_exception_fp_ieee_invalid_op 0
		.amdhsa_exception_fp_denorm_src 0
		.amdhsa_exception_fp_ieee_div_zero 0
		.amdhsa_exception_fp_ieee_overflow 0
		.amdhsa_exception_fp_ieee_underflow 0
		.amdhsa_exception_fp_ieee_inexact 0
		.amdhsa_exception_int_div_zero 0
	.end_amdhsa_kernel
	.section	.text._ZN5aiter37dynamic_per_group_scaled_quant_kernelIDF16_DB8_Li32ELi64ELb1ELi64ELb1EEEvPT0_PfPKT_PKfliilPKii,"axG",@progbits,_ZN5aiter37dynamic_per_group_scaled_quant_kernelIDF16_DB8_Li32ELi64ELb1ELi64ELb1EEEvPT0_PfPKT_PKfliilPKii,comdat
.Lfunc_end54:
	.size	_ZN5aiter37dynamic_per_group_scaled_quant_kernelIDF16_DB8_Li32ELi64ELb1ELi64ELb1EEEvPT0_PfPKT_PKfliilPKii, .Lfunc_end54-_ZN5aiter37dynamic_per_group_scaled_quant_kernelIDF16_DB8_Li32ELi64ELb1ELi64ELb1EEEvPT0_PfPKT_PKfliilPKii
                                        ; -- End function
	.section	.AMDGPU.csdata,"",@progbits
; Kernel info:
; codeLenInByte = 2792
; NumSgprs: 20
; NumVgprs: 54
; NumAgprs: 0
; TotalNumVgprs: 54
; ScratchSize: 0
; MemoryBound: 0
; FloatMode: 240
; IeeeMode: 1
; LDSByteSize: 0 bytes/workgroup (compile time only)
; SGPRBlocks: 2
; VGPRBlocks: 6
; NumSGPRsForWavesPerEU: 20
; NumVGPRsForWavesPerEU: 54
; AccumOffset: 56
; Occupancy: 8
; WaveLimiterHint : 0
; COMPUTE_PGM_RSRC2:SCRATCH_EN: 0
; COMPUTE_PGM_RSRC2:USER_SGPR: 6
; COMPUTE_PGM_RSRC2:TRAP_HANDLER: 0
; COMPUTE_PGM_RSRC2:TGID_X_EN: 1
; COMPUTE_PGM_RSRC2:TGID_Y_EN: 0
; COMPUTE_PGM_RSRC2:TGID_Z_EN: 0
; COMPUTE_PGM_RSRC2:TIDIG_COMP_CNT: 0
; COMPUTE_PGM_RSRC3_GFX90A:ACCUM_OFFSET: 13
; COMPUTE_PGM_RSRC3_GFX90A:TG_SPLIT: 0
	.section	.text._ZN5aiter37dynamic_per_group_scaled_quant_kernelItDB8_Li32ELi64ELb1ELi64ELb1EEEvPT0_PfPKT_PKfliilPKii,"axG",@progbits,_ZN5aiter37dynamic_per_group_scaled_quant_kernelItDB8_Li32ELi64ELb1ELi64ELb1EEEvPT0_PfPKT_PKfliilPKii,comdat
	.protected	_ZN5aiter37dynamic_per_group_scaled_quant_kernelItDB8_Li32ELi64ELb1ELi64ELb1EEEvPT0_PfPKT_PKfliilPKii ; -- Begin function _ZN5aiter37dynamic_per_group_scaled_quant_kernelItDB8_Li32ELi64ELb1ELi64ELb1EEEvPT0_PfPKT_PKfliilPKii
	.globl	_ZN5aiter37dynamic_per_group_scaled_quant_kernelItDB8_Li32ELi64ELb1ELi64ELb1EEEvPT0_PfPKT_PKfliilPKii
	.p2align	8
	.type	_ZN5aiter37dynamic_per_group_scaled_quant_kernelItDB8_Li32ELi64ELb1ELi64ELb1EEEvPT0_PfPKT_PKfliilPKii,@function
_ZN5aiter37dynamic_per_group_scaled_quant_kernelItDB8_Li32ELi64ELb1ELi64ELb1EEEvPT0_PfPKT_PKfliilPKii: ; @_ZN5aiter37dynamic_per_group_scaled_quant_kernelItDB8_Li32ELi64ELb1ELi64ELb1EEEvPT0_PfPKT_PKfliilPKii
; %bb.0:
	s_load_dwordx2 s[0:1], s[4:5], 0x38
	s_waitcnt lgkmcnt(0)
	s_cmp_eq_u64 s[0:1], 0
	s_cbranch_scc1 .LBB55_2
; %bb.1:
	s_load_dword s2, s[4:5], 0x40
	s_load_dword s3, s[0:1], 0x0
	s_waitcnt lgkmcnt(0)
	s_mul_hi_i32 s9, s3, s2
	s_mul_i32 s8, s3, s2
	s_branch .LBB55_3
.LBB55_2:
	s_load_dwordx2 s[8:9], s[4:5], 0x20
.LBB55_3:
	s_load_dwordx2 s[2:3], s[4:5], 0x28
	s_mov_b32 s7, 0
	s_lshl_b64 s[0:1], s[6:7], 6
	v_or_b32_e32 v6, s0, v0
	v_mov_b32_e32 v7, s1
	s_waitcnt lgkmcnt(0)
	s_ashr_i32 s0, s2, 31
	s_lshr_b32 s0, s0, 26
	s_add_i32 s0, s2, s0
	s_ashr_i32 s14, s0, 6
	s_add_i32 s2, s14, 7
	s_lshr_b32 s0, s2, 29
	s_add_i32 s2, s2, s0
	s_and_b32 s15, s2, -8
	v_lshrrev_b64 v[2:3], 1, v[6:7]
	s_ashr_i32 s0, s15, 31
	v_or_b32_e32 v5, s0, v3
	v_mov_b32_e32 v4, 0
	v_cmp_ne_u64_e32 vcc, 0, v[4:5]
                                        ; implicit-def: $vgpr4_vgpr5
	s_and_saveexec_b64 s[6:7], vcc
	s_xor_b64 s[6:7], exec, s[6:7]
	s_cbranch_execz .LBB55_5
; %bb.4:
	s_add_u32 s12, s15, s0
	s_mov_b32 s10, s0
	s_mov_b32 s11, s0
	s_addc_u32 s13, s0, s0
	s_xor_b64 s[12:13], s[12:13], s[10:11]
	v_cvt_f32_u32_e32 v1, s12
	v_cvt_f32_u32_e32 v4, s13
	s_sub_u32 s0, 0, s12
	s_subb_u32 s1, 0, s13
	v_madmk_f32 v1, v4, 0x4f800000, v1
	v_rcp_f32_e32 v1, v1
	v_mul_f32_e32 v1, 0x5f7ffffc, v1
	v_mul_f32_e32 v4, 0x2f800000, v1
	v_trunc_f32_e32 v4, v4
	v_madmk_f32 v1, v4, 0xcf800000, v1
	v_cvt_u32_f32_e32 v4, v4
	v_cvt_u32_f32_e32 v1, v1
	v_mul_lo_u32 v5, s0, v4
	v_mul_hi_u32 v7, s0, v1
	v_mul_lo_u32 v6, s1, v1
	v_add_u32_e32 v5, v7, v5
	v_mul_lo_u32 v8, s0, v1
	v_add_u32_e32 v5, v5, v6
	v_mul_lo_u32 v7, v1, v5
	v_mul_hi_u32 v9, v1, v8
	v_mul_hi_u32 v6, v1, v5
	v_add_co_u32_e32 v7, vcc, v9, v7
	v_addc_co_u32_e32 v6, vcc, 0, v6, vcc
	v_mul_hi_u32 v10, v4, v8
	v_mul_lo_u32 v8, v4, v8
	v_add_co_u32_e32 v7, vcc, v7, v8
	v_mul_hi_u32 v9, v4, v5
	v_addc_co_u32_e32 v6, vcc, v6, v10, vcc
	v_addc_co_u32_e32 v7, vcc, 0, v9, vcc
	v_mul_lo_u32 v5, v4, v5
	v_add_co_u32_e32 v5, vcc, v6, v5
	v_addc_co_u32_e32 v6, vcc, 0, v7, vcc
	v_add_co_u32_e32 v1, vcc, v1, v5
	v_addc_co_u32_e32 v4, vcc, v4, v6, vcc
	v_mul_lo_u32 v5, s0, v4
	v_mul_hi_u32 v6, s0, v1
	v_add_u32_e32 v5, v6, v5
	v_mul_lo_u32 v6, s1, v1
	v_add_u32_e32 v5, v5, v6
	v_mul_lo_u32 v7, s0, v1
	v_mul_hi_u32 v8, v4, v7
	v_mul_lo_u32 v9, v4, v7
	v_mul_lo_u32 v11, v1, v5
	v_mul_hi_u32 v7, v1, v7
	v_mul_hi_u32 v10, v1, v5
	v_add_co_u32_e32 v7, vcc, v7, v11
	v_addc_co_u32_e32 v10, vcc, 0, v10, vcc
	v_add_co_u32_e32 v7, vcc, v7, v9
	v_mul_hi_u32 v6, v4, v5
	v_addc_co_u32_e32 v7, vcc, v10, v8, vcc
	v_addc_co_u32_e32 v6, vcc, 0, v6, vcc
	v_mul_lo_u32 v5, v4, v5
	v_add_co_u32_e32 v5, vcc, v7, v5
	v_addc_co_u32_e32 v6, vcc, 0, v6, vcc
	v_add_co_u32_e32 v1, vcc, v1, v5
	v_addc_co_u32_e32 v6, vcc, v4, v6, vcc
	v_mad_u64_u32 v[4:5], s[0:1], v2, v6, 0
	v_mul_hi_u32 v7, v2, v1
	v_add_co_u32_e32 v8, vcc, v7, v4
	v_addc_co_u32_e32 v9, vcc, 0, v5, vcc
	v_mad_u64_u32 v[4:5], s[0:1], v3, v6, 0
	v_mad_u64_u32 v[6:7], s[0:1], v3, v1, 0
	v_add_co_u32_e32 v1, vcc, v8, v6
	v_addc_co_u32_e32 v1, vcc, v9, v7, vcc
	v_addc_co_u32_e32 v5, vcc, 0, v5, vcc
	v_add_co_u32_e32 v1, vcc, v1, v4
	v_addc_co_u32_e32 v6, vcc, 0, v5, vcc
	v_mul_lo_u32 v7, s13, v1
	v_mul_lo_u32 v8, s12, v6
	v_mad_u64_u32 v[4:5], s[0:1], s12, v1, 0
	v_add3_u32 v5, v5, v8, v7
	v_sub_u32_e32 v7, v3, v5
	v_mov_b32_e32 v8, s13
	v_sub_co_u32_e32 v4, vcc, v2, v4
	v_subb_co_u32_e64 v7, s[0:1], v7, v8, vcc
	v_subrev_co_u32_e64 v8, s[0:1], s12, v4
	v_subbrev_co_u32_e64 v7, s[0:1], 0, v7, s[0:1]
	v_cmp_le_u32_e64 s[0:1], s13, v7
	v_cndmask_b32_e64 v9, 0, -1, s[0:1]
	v_cmp_le_u32_e64 s[0:1], s12, v8
	v_cndmask_b32_e64 v8, 0, -1, s[0:1]
	v_cmp_eq_u32_e64 s[0:1], s13, v7
	v_cndmask_b32_e64 v7, v9, v8, s[0:1]
	v_add_co_u32_e64 v8, s[0:1], 2, v1
	v_subb_co_u32_e32 v3, vcc, v3, v5, vcc
	v_addc_co_u32_e64 v9, s[0:1], 0, v6, s[0:1]
	v_cmp_le_u32_e32 vcc, s13, v3
	v_add_co_u32_e64 v10, s[0:1], 1, v1
	v_cndmask_b32_e64 v5, 0, -1, vcc
	v_cmp_le_u32_e32 vcc, s12, v4
	v_addc_co_u32_e64 v11, s[0:1], 0, v6, s[0:1]
	v_cndmask_b32_e64 v4, 0, -1, vcc
	v_cmp_eq_u32_e32 vcc, s13, v3
	v_cmp_ne_u32_e64 s[0:1], 0, v7
	v_cndmask_b32_e32 v3, v5, v4, vcc
	v_cmp_ne_u32_e32 vcc, 0, v3
	v_cndmask_b32_e64 v4, v10, v8, s[0:1]
	v_cndmask_b32_e64 v7, v11, v9, s[0:1]
	v_cndmask_b32_e32 v1, v1, v4, vcc
	v_cndmask_b32_e32 v3, v6, v7, vcc
	v_xor_b32_e32 v1, s10, v1
	v_xor_b32_e32 v3, s11, v3
	v_mov_b32_e32 v5, s11
	v_subrev_co_u32_e32 v4, vcc, s10, v1
	v_subb_co_u32_e32 v5, vcc, v3, v5, vcc
                                        ; implicit-def: $vgpr6_vgpr7
.LBB55_5:
	s_andn2_saveexec_b64 s[0:1], s[6:7]
	s_cbranch_execz .LBB55_7
; %bb.6:
	v_cvt_f32_u32_e32 v1, s15
	s_sub_i32 s6, 0, s15
	v_alignbit_b32 v3, v7, v6, 1
	v_rcp_iflag_f32_e32 v1, v1
	v_mul_f32_e32 v1, 0x4f7ffffe, v1
	v_cvt_u32_f32_e32 v1, v1
	v_mul_lo_u32 v4, s6, v1
	v_mul_hi_u32 v4, v1, v4
	v_add_u32_e32 v1, v1, v4
	v_mul_hi_u32 v1, v3, v1
	v_mul_lo_u32 v4, v1, s15
	v_sub_u32_e32 v3, v3, v4
	v_add_u32_e32 v5, 1, v1
	v_subrev_u32_e32 v4, s15, v3
	v_cmp_le_u32_e32 vcc, s15, v3
	v_cndmask_b32_e32 v3, v3, v4, vcc
	v_cndmask_b32_e32 v1, v1, v5, vcc
	v_add_u32_e32 v4, 1, v1
	v_cmp_le_u32_e32 vcc, s15, v3
	v_cndmask_b32_e32 v4, v1, v4, vcc
	v_mov_b32_e32 v5, 0
.LBB55_7:
	s_or_b64 exec, exec, s[0:1]
	v_mad_u64_u32 v[6:7], s[0:1], v4, s15, 0
	v_sub_co_u32_e32 v1, vcc, v2, v6
	v_cmp_gt_i64_e32 vcc, s[8:9], v[4:5]
	v_cmp_gt_i32_e64 s[0:1], s14, v1
	s_and_b64 s[0:1], vcc, s[0:1]
	s_and_saveexec_b64 s[6:7], s[0:1]
	s_cbranch_execz .LBB55_11
; %bb.8:
	s_load_dwordx2 s[0:1], s[4:5], 0x10
	s_load_dwordx2 s[8:9], s[4:5], 0x0
	s_ashr_i32 s6, s3, 31
	v_mul_lo_u32 v3, v5, s3
	v_mul_lo_u32 v5, v4, s6
	v_mad_u64_u32 v[6:7], s[6:7], v4, s3, 0
	v_add3_u32 v7, v7, v5, v3
	v_lshlrev_b64 v[6:7], 1, v[6:7]
	v_lshlrev_b32_e32 v22, 6, v1
	v_mov_b32_e32 v23, 0
	s_waitcnt lgkmcnt(0)
	v_mov_b32_e32 v3, s1
	v_add_co_u32_e32 v5, vcc, s0, v6
	v_addc_co_u32_e32 v3, vcc, v3, v7, vcc
	v_lshlrev_b64 v[6:7], 1, v[22:23]
	v_add_co_u32_e32 v5, vcc, v5, v6
	v_and_b32_e32 v23, 1, v0
	v_addc_co_u32_e32 v3, vcc, v3, v7, vcc
	v_lshlrev_b32_e32 v6, 6, v23
	v_add_co_u32_e32 v14, vcc, v5, v6
	v_addc_co_u32_e32 v15, vcc, 0, v3, vcc
	global_load_dwordx4 v[6:9], v[14:15], off
	global_load_dwordx4 v[10:13], v[14:15], off offset:16
	global_load_dwordx4 v[40:43], v[14:15], off offset:32
	;; [unrolled: 1-line block ×3, first 2 shown]
	s_mov_b32 s0, 0x2edbe6ff
	s_movk_i32 s1, 0xff
	s_waitcnt vmcnt(3)
	v_cvt_f32_u32_sdwa v39, v6 dst_sel:DWORD dst_unused:UNUSED_PAD src0_sel:WORD_1
	v_cvt_f32_u32_sdwa v38, v6 dst_sel:DWORD dst_unused:UNUSED_PAD src0_sel:WORD_0
	v_cvt_f32_u32_sdwa v37, v7 dst_sel:DWORD dst_unused:UNUSED_PAD src0_sel:WORD_1
	v_cvt_f32_u32_sdwa v36, v7 dst_sel:DWORD dst_unused:UNUSED_PAD src0_sel:WORD_0
	v_cvt_f32_u32_sdwa v35, v8 dst_sel:DWORD dst_unused:UNUSED_PAD src0_sel:WORD_1
	v_cvt_f32_u32_sdwa v34, v8 dst_sel:DWORD dst_unused:UNUSED_PAD src0_sel:WORD_0
	v_cvt_f32_u32_sdwa v33, v9 dst_sel:DWORD dst_unused:UNUSED_PAD src0_sel:WORD_1
	v_cvt_f32_u32_sdwa v32, v9 dst_sel:DWORD dst_unused:UNUSED_PAD src0_sel:WORD_0
	s_waitcnt vmcnt(2)
	v_cvt_f32_u32_sdwa v31, v10 dst_sel:DWORD dst_unused:UNUSED_PAD src0_sel:WORD_1
	v_cvt_f32_u32_sdwa v30, v10 dst_sel:DWORD dst_unused:UNUSED_PAD src0_sel:WORD_0
	v_max3_f32 v3, v38, s0, v39
	v_cvt_f32_u32_sdwa v29, v11 dst_sel:DWORD dst_unused:UNUSED_PAD src0_sel:WORD_1
	v_cvt_f32_u32_sdwa v28, v11 dst_sel:DWORD dst_unused:UNUSED_PAD src0_sel:WORD_0
	v_max3_f32 v3, v3, v36, v37
	v_cvt_f32_u32_sdwa v27, v12 dst_sel:DWORD dst_unused:UNUSED_PAD src0_sel:WORD_1
	v_cvt_f32_u32_sdwa v26, v12 dst_sel:DWORD dst_unused:UNUSED_PAD src0_sel:WORD_0
	v_max3_f32 v3, v3, v34, v35
	v_cvt_f32_u32_sdwa v25, v13 dst_sel:DWORD dst_unused:UNUSED_PAD src0_sel:WORD_1
	v_cvt_f32_u32_sdwa v24, v13 dst_sel:DWORD dst_unused:UNUSED_PAD src0_sel:WORD_0
	v_max3_f32 v3, v3, v32, v33
	s_waitcnt vmcnt(1)
	v_cvt_f32_u32_sdwa v21, v40 dst_sel:DWORD dst_unused:UNUSED_PAD src0_sel:WORD_1
	v_cvt_f32_u32_sdwa v20, v40 dst_sel:DWORD dst_unused:UNUSED_PAD src0_sel:WORD_0
	v_max3_f32 v3, v3, v30, v31
	v_cvt_f32_u32_sdwa v19, v41 dst_sel:DWORD dst_unused:UNUSED_PAD src0_sel:WORD_1
	v_cvt_f32_u32_sdwa v18, v41 dst_sel:DWORD dst_unused:UNUSED_PAD src0_sel:WORD_0
	v_max3_f32 v3, v3, v28, v29
	v_cvt_f32_u32_sdwa v17, v42 dst_sel:DWORD dst_unused:UNUSED_PAD src0_sel:WORD_1
	v_cvt_f32_u32_sdwa v16, v42 dst_sel:DWORD dst_unused:UNUSED_PAD src0_sel:WORD_0
	v_max3_f32 v3, v3, v26, v27
	v_cvt_f32_u32_sdwa v15, v43 dst_sel:DWORD dst_unused:UNUSED_PAD src0_sel:WORD_1
	v_cvt_f32_u32_sdwa v14, v43 dst_sel:DWORD dst_unused:UNUSED_PAD src0_sel:WORD_0
	v_max3_f32 v3, v3, v24, v25
	;; [unrolled: 13-line block ×3, first 2 shown]
	v_max3_f32 v3, v3, v12, v13
	v_max3_f32 v3, v3, v10, v11
	;; [unrolled: 1-line block ×4, first 2 shown]
	s_nop 1
	v_mov_b32_dpp v5, v3 quad_perm:[1,0,3,2] row_mask:0xf bank_mask:0xf
	v_cmp_gt_f32_e32 vcc, v3, v5
	v_cndmask_b32_e32 v3, v5, v3, vcc
	v_mul_f32_e32 v3, 0x3b124925, v3
	v_bfe_u32 v5, v3, 23, 8
	v_and_b32_e32 v3, 0x7fffff, v3
	v_cmp_ne_u32_e32 vcc, s1, v5
	v_cmp_ne_u32_e64 s[0:1], 0, v3
	s_and_b64 vcc, s[0:1], vcc
	v_addc_co_u32_e32 v3, vcc, 0, v5, vcc
	v_cmp_eq_u32_e32 vcc, 0, v23
	s_and_saveexec_b64 s[0:1], vcc
	s_cbranch_execz .LBB55_10
; %bb.9:
	v_ashrrev_i32_e32 v5, 31, v4
	v_lshrrev_b32_e32 v23, 27, v5
	v_lshrrev_b32_e32 v5, 28, v5
	v_add_u32_e32 v23, v4, v23
	v_add_u32_e32 v5, v4, v5
	v_lshrrev_b32_e32 v40, 5, v23
	v_and_b32_e32 v5, 0x3ffffff0, v5
	v_and_b32_e32 v23, 0xffe0, v23
	v_sub_u32_e32 v5, v4, v5
	v_sub_u32_e32 v4, v4, v23
	v_mov_b32_e32 v23, 11
	v_lshrrev_b16_sdwa v23, v23, sext(v4) dst_sel:DWORD dst_unused:UNUSED_PAD src0_sel:DWORD src1_sel:BYTE_0
	v_and_b32_e32 v23, 15, v23
	s_load_dwordx2 s[6:7], s[4:5], 0x8
	v_add_u16_e32 v4, v4, v23
	v_mov_b32_e32 v23, 4
	s_ashr_i32 s2, s2, 3
	v_ashrrev_i16_sdwa v4, v23, sext(v4) dst_sel:DWORD dst_unused:UNUSED_PAD src0_sel:DWORD src1_sel:BYTE_0
	v_mul_lo_u32 v40, v40, s2
	v_lshrrev_b32_e32 v41, 3, v1
	v_and_b32_e32 v22, 0xc0, v22
	v_lshlrev_b32_e32 v5, 2, v5
	v_lshrrev_b32_e32 v1, 1, v1
	v_bfe_i32 v4, v4, 0, 16
	v_and_b32_e32 v1, 2, v1
	v_add_lshl_u32 v23, v41, v40, 8
	v_add3_u32 v4, v22, v5, v4
	v_add3_u32 v1, v4, v23, v1
	v_ashrrev_i32_e32 v5, 31, v1
	s_waitcnt lgkmcnt(0)
	v_mov_b32_e32 v22, s7
	v_add_co_u32_e32 v4, vcc, s6, v1
	v_addc_co_u32_e32 v5, vcc, v22, v5, vcc
	global_store_byte v[4:5], v3, off
.LBB55_10:
	s_or_b64 exec, exec, s[0:1]
	v_lshlrev_b32_e32 v1, 23, v3
	v_div_scale_f32 v3, s[0:1], v1, v1, 1.0
	v_rcp_f32_e32 v4, v3
	v_lshlrev_b32_e32 v2, 6, v2
	v_lshlrev_b32_e32 v0, 5, v0
	v_and_or_b32 v40, v0, 32, v2
	v_fma_f32 v5, -v3, v4, 1.0
	v_fmac_f32_e32 v4, v5, v4
	v_div_scale_f32 v5, vcc, 1.0, v1, 1.0
	v_mul_f32_e32 v22, v5, v4
	v_fma_f32 v23, -v3, v22, v5
	v_fmac_f32_e32 v22, v23, v4
	v_fma_f32 v3, -v3, v22, v5
	v_div_fmas_f32 v3, v3, v4, v22
	v_div_fixup_f32 v4, v3, v1, 1.0
	v_mov_b32_e32 v5, v4
	;;#ASMSTART
	v_pk_mul_f32 v[0:1], v[38:39], v[4:5]
	;;#ASMEND
	v_mov_b32_e32 v38, 0xc3e00000
	v_mov_b32_e32 v39, 0x43e00000
	;;#ASMSTART
	v_med3_f32 v0, v0, v38, v39
v_med3_f32 v1, v1, v38, v39
v_cvt_pk_fp8_f32 v2, v0, v1
	;;#ASMEND
	;;#ASMSTART
	v_pk_mul_f32 v[0:1], v[36:37], v[4:5]
	;;#ASMEND
	;;#ASMSTART
	v_med3_f32 v0, v0, v38, v39
v_med3_f32 v1, v1, v38, v39
v_cvt_pk_fp8_f32 v3, v0, v1
	;;#ASMEND
	s_mov_b32 s0, 0x5040100
	v_perm_b32 v0, v3, v2, s0
	s_mov_b32 s1, 0x1060504
	v_perm_b32 v0, v0, v3, s1
	;;#ASMSTART
	v_pk_mul_f32 v[2:3], v[34:35], v[4:5]
	;;#ASMEND
	v_mov_b32_e32 v1, v2
	;;#ASMSTART
	v_med3_f32 v1, v1, v38, v39
v_med3_f32 v3, v3, v38, v39
v_cvt_pk_fp8_f32 v22, v1, v3
	;;#ASMEND
	;;#ASMSTART
	v_pk_mul_f32 v[2:3], v[32:33], v[4:5]
	;;#ASMEND
	v_mov_b32_e32 v1, v3
	;;#ASMSTART
	v_med3_f32 v2, v2, v38, v39
v_med3_f32 v1, v1, v38, v39
v_cvt_pk_fp8_f32 v3, v2, v1
	;;#ASMEND
	s_mov_b32 s2, 0x1000504
	v_perm_b32 v1, v22, v3, s2
	;;#ASMSTART
	v_pk_mul_f32 v[2:3], v[30:31], v[4:5]
	;;#ASMEND
	;;#ASMSTART
	v_med3_f32 v2, v2, v38, v39
v_med3_f32 v3, v3, v38, v39
v_cvt_pk_fp8_f32 v22, v2, v3
	;;#ASMEND
	;;#ASMSTART
	v_pk_mul_f32 v[2:3], v[28:29], v[4:5]
	;;#ASMEND
	;;#ASMSTART
	v_med3_f32 v2, v2, v38, v39
v_med3_f32 v3, v3, v38, v39
v_cvt_pk_fp8_f32 v23, v2, v3
	;;#ASMEND
	s_load_dword s10, s[4:5], 0x30
	v_perm_b32 v2, v22, v23, s2
	;;#ASMSTART
	v_pk_mul_f32 v[22:23], v[26:27], v[4:5]
	;;#ASMEND
	v_mov_b32_e32 v3, v22
	;;#ASMSTART
	v_med3_f32 v3, v3, v38, v39
v_med3_f32 v23, v23, v38, v39
v_cvt_pk_fp8_f32 v26, v3, v23
	;;#ASMEND
	;;#ASMSTART
	v_pk_mul_f32 v[22:23], v[24:25], v[4:5]
	;;#ASMEND
	v_mov_b32_e32 v3, v23
	;;#ASMSTART
	v_med3_f32 v22, v22, v38, v39
v_med3_f32 v3, v3, v38, v39
v_cvt_pk_fp8_f32 v23, v22, v3
	;;#ASMEND
	s_and_b32 s9, s9, 0xffff
	s_mov_b32 s11, 0x20000
	v_perm_b32 v3, v26, v23, s2
	s_waitcnt lgkmcnt(0)
	buffer_store_dwordx4 v[0:3], v40, s[8:11], 0 offen
	;;#ASMSTART
	s_nop 0
	;;#ASMEND
	s_nop 0
	;;#ASMSTART
	v_pk_mul_f32 v[0:1], v[20:21], v[4:5]
	;;#ASMEND
	;;#ASMSTART
	v_med3_f32 v0, v0, v38, v39
v_med3_f32 v1, v1, v38, v39
v_cvt_pk_fp8_f32 v2, v0, v1
	;;#ASMEND
	;;#ASMSTART
	v_pk_mul_f32 v[0:1], v[18:19], v[4:5]
	;;#ASMEND
	;;#ASMSTART
	v_med3_f32 v0, v0, v38, v39
v_med3_f32 v1, v1, v38, v39
v_cvt_pk_fp8_f32 v3, v0, v1
	;;#ASMEND
	v_perm_b32 v0, v3, v2, s0
	v_perm_b32 v0, v0, v3, s1
	;;#ASMSTART
	v_pk_mul_f32 v[2:3], v[16:17], v[4:5]
	;;#ASMEND
	v_mov_b32_e32 v1, v2
	;;#ASMSTART
	v_med3_f32 v1, v1, v38, v39
v_med3_f32 v3, v3, v38, v39
v_cvt_pk_fp8_f32 v16, v1, v3
	;;#ASMEND
	;;#ASMSTART
	v_pk_mul_f32 v[2:3], v[14:15], v[4:5]
	;;#ASMEND
	v_mov_b32_e32 v1, v3
	;;#ASMSTART
	v_med3_f32 v2, v2, v38, v39
v_med3_f32 v1, v1, v38, v39
v_cvt_pk_fp8_f32 v3, v2, v1
	;;#ASMEND
	v_perm_b32 v1, v16, v3, s2
	;;#ASMSTART
	v_pk_mul_f32 v[2:3], v[12:13], v[4:5]
	;;#ASMEND
	;;#ASMSTART
	v_med3_f32 v2, v2, v38, v39
v_med3_f32 v3, v3, v38, v39
v_cvt_pk_fp8_f32 v12, v2, v3
	;;#ASMEND
	;;#ASMSTART
	v_pk_mul_f32 v[2:3], v[10:11], v[4:5]
	;;#ASMEND
	;;#ASMSTART
	v_med3_f32 v2, v2, v38, v39
v_med3_f32 v3, v3, v38, v39
v_cvt_pk_fp8_f32 v10, v2, v3
	;;#ASMEND
	;;#ASMSTART
	v_pk_mul_f32 v[8:9], v[8:9], v[4:5]
	;;#ASMEND
	v_mov_b32_e32 v3, v8
	;;#ASMSTART
	v_med3_f32 v3, v3, v38, v39
v_med3_f32 v9, v9, v38, v39
v_cvt_pk_fp8_f32 v8, v3, v9
	;;#ASMEND
	;;#ASMSTART
	v_pk_mul_f32 v[4:5], v[6:7], v[4:5]
	;;#ASMEND
	v_mov_b32_e32 v3, v5
	;;#ASMSTART
	v_med3_f32 v4, v4, v38, v39
v_med3_f32 v3, v3, v38, v39
v_cvt_pk_fp8_f32 v5, v4, v3
	;;#ASMEND
	v_perm_b32 v2, v12, v10, s2
	v_perm_b32 v3, v8, v5, s2
	buffer_store_dwordx4 v[0:3], v40, s[8:11], 16 offen
	;;#ASMSTART
	s_nop 0
	;;#ASMEND
.LBB55_11:
	s_endpgm
	.section	.rodata,"a",@progbits
	.p2align	6, 0x0
	.amdhsa_kernel _ZN5aiter37dynamic_per_group_scaled_quant_kernelItDB8_Li32ELi64ELb1ELi64ELb1EEEvPT0_PfPKT_PKfliilPKii
		.amdhsa_group_segment_fixed_size 0
		.amdhsa_private_segment_fixed_size 0
		.amdhsa_kernarg_size 68
		.amdhsa_user_sgpr_count 6
		.amdhsa_user_sgpr_private_segment_buffer 1
		.amdhsa_user_sgpr_dispatch_ptr 0
		.amdhsa_user_sgpr_queue_ptr 0
		.amdhsa_user_sgpr_kernarg_segment_ptr 1
		.amdhsa_user_sgpr_dispatch_id 0
		.amdhsa_user_sgpr_flat_scratch_init 0
		.amdhsa_user_sgpr_kernarg_preload_length 0
		.amdhsa_user_sgpr_kernarg_preload_offset 0
		.amdhsa_user_sgpr_private_segment_size 0
		.amdhsa_uses_dynamic_stack 0
		.amdhsa_system_sgpr_private_segment_wavefront_offset 0
		.amdhsa_system_sgpr_workgroup_id_x 1
		.amdhsa_system_sgpr_workgroup_id_y 0
		.amdhsa_system_sgpr_workgroup_id_z 0
		.amdhsa_system_sgpr_workgroup_info 0
		.amdhsa_system_vgpr_workitem_id 0
		.amdhsa_next_free_vgpr 48
		.amdhsa_next_free_sgpr 16
		.amdhsa_accum_offset 48
		.amdhsa_reserve_vcc 1
		.amdhsa_reserve_flat_scratch 0
		.amdhsa_float_round_mode_32 0
		.amdhsa_float_round_mode_16_64 0
		.amdhsa_float_denorm_mode_32 3
		.amdhsa_float_denorm_mode_16_64 3
		.amdhsa_dx10_clamp 1
		.amdhsa_ieee_mode 1
		.amdhsa_fp16_overflow 0
		.amdhsa_tg_split 0
		.amdhsa_exception_fp_ieee_invalid_op 0
		.amdhsa_exception_fp_denorm_src 0
		.amdhsa_exception_fp_ieee_div_zero 0
		.amdhsa_exception_fp_ieee_overflow 0
		.amdhsa_exception_fp_ieee_underflow 0
		.amdhsa_exception_fp_ieee_inexact 0
		.amdhsa_exception_int_div_zero 0
	.end_amdhsa_kernel
	.section	.text._ZN5aiter37dynamic_per_group_scaled_quant_kernelItDB8_Li32ELi64ELb1ELi64ELb1EEEvPT0_PfPKT_PKfliilPKii,"axG",@progbits,_ZN5aiter37dynamic_per_group_scaled_quant_kernelItDB8_Li32ELi64ELb1ELi64ELb1EEEvPT0_PfPKT_PKfliilPKii,comdat
.Lfunc_end55:
	.size	_ZN5aiter37dynamic_per_group_scaled_quant_kernelItDB8_Li32ELi64ELb1ELi64ELb1EEEvPT0_PfPKT_PKfliilPKii, .Lfunc_end55-_ZN5aiter37dynamic_per_group_scaled_quant_kernelItDB8_Li32ELi64ELb1ELi64ELb1EEEvPT0_PfPKT_PKfliilPKii
                                        ; -- End function
	.section	.AMDGPU.csdata,"",@progbits
; Kernel info:
; codeLenInByte = 2620
; NumSgprs: 20
; NumVgprs: 48
; NumAgprs: 0
; TotalNumVgprs: 48
; ScratchSize: 0
; MemoryBound: 0
; FloatMode: 240
; IeeeMode: 1
; LDSByteSize: 0 bytes/workgroup (compile time only)
; SGPRBlocks: 2
; VGPRBlocks: 5
; NumSGPRsForWavesPerEU: 20
; NumVGPRsForWavesPerEU: 48
; AccumOffset: 48
; Occupancy: 8
; WaveLimiterHint : 0
; COMPUTE_PGM_RSRC2:SCRATCH_EN: 0
; COMPUTE_PGM_RSRC2:USER_SGPR: 6
; COMPUTE_PGM_RSRC2:TRAP_HANDLER: 0
; COMPUTE_PGM_RSRC2:TGID_X_EN: 1
; COMPUTE_PGM_RSRC2:TGID_Y_EN: 0
; COMPUTE_PGM_RSRC2:TGID_Z_EN: 0
; COMPUTE_PGM_RSRC2:TIDIG_COMP_CNT: 0
; COMPUTE_PGM_RSRC3_GFX90A:ACCUM_OFFSET: 11
; COMPUTE_PGM_RSRC3_GFX90A:TG_SPLIT: 0
	.section	.text._ZN5aiter37dynamic_per_group_scaled_quant_kernelIDF16_DB8_Li32ELi64ELb0ELi64ELb1EEEvPT0_PfPKT_PKfliilPKii,"axG",@progbits,_ZN5aiter37dynamic_per_group_scaled_quant_kernelIDF16_DB8_Li32ELi64ELb0ELi64ELb1EEEvPT0_PfPKT_PKfliilPKii,comdat
	.protected	_ZN5aiter37dynamic_per_group_scaled_quant_kernelIDF16_DB8_Li32ELi64ELb0ELi64ELb1EEEvPT0_PfPKT_PKfliilPKii ; -- Begin function _ZN5aiter37dynamic_per_group_scaled_quant_kernelIDF16_DB8_Li32ELi64ELb0ELi64ELb1EEEvPT0_PfPKT_PKfliilPKii
	.globl	_ZN5aiter37dynamic_per_group_scaled_quant_kernelIDF16_DB8_Li32ELi64ELb0ELi64ELb1EEEvPT0_PfPKT_PKfliilPKii
	.p2align	8
	.type	_ZN5aiter37dynamic_per_group_scaled_quant_kernelIDF16_DB8_Li32ELi64ELb0ELi64ELb1EEEvPT0_PfPKT_PKfliilPKii,@function
_ZN5aiter37dynamic_per_group_scaled_quant_kernelIDF16_DB8_Li32ELi64ELb0ELi64ELb1EEEvPT0_PfPKT_PKfliilPKii: ; @_ZN5aiter37dynamic_per_group_scaled_quant_kernelIDF16_DB8_Li32ELi64ELb0ELi64ELb1EEEvPT0_PfPKT_PKfliilPKii
; %bb.0:
	s_load_dwordx2 s[0:1], s[4:5], 0x38
	s_waitcnt lgkmcnt(0)
	s_cmp_eq_u64 s[0:1], 0
	s_cbranch_scc1 .LBB56_2
; %bb.1:
	s_load_dword s2, s[4:5], 0x40
	s_load_dword s3, s[0:1], 0x0
	s_waitcnt lgkmcnt(0)
	s_mul_hi_i32 s9, s3, s2
	s_mul_i32 s8, s3, s2
	s_branch .LBB56_3
.LBB56_2:
	s_load_dwordx2 s[8:9], s[4:5], 0x20
.LBB56_3:
	s_load_dwordx2 s[2:3], s[4:5], 0x28
	s_mov_b32 s7, 0
	s_lshl_b64 s[0:1], s[6:7], 6
	v_or_b32_e32 v4, s0, v0
	v_mov_b32_e32 v5, s1
	s_waitcnt lgkmcnt(0)
	s_ashr_i32 s0, s2, 31
	s_lshr_b32 s0, s0, 26
	s_add_i32 s0, s2, s0
	s_ashr_i32 s2, s0, 6
	v_lshrrev_b64 v[18:19], 1, v[4:5]
	s_ashr_i32 s0, s2, 31
	v_or_b32_e32 v3, s0, v19
	v_mov_b32_e32 v2, 0
	v_cmp_ne_u64_e32 vcc, 0, v[2:3]
                                        ; implicit-def: $vgpr2_vgpr3
	s_and_saveexec_b64 s[6:7], vcc
	s_xor_b64 s[6:7], exec, s[6:7]
	s_cbranch_execz .LBB56_5
; %bb.4:
	s_add_u32 s12, s2, s0
	s_mov_b32 s10, s0
	s_mov_b32 s11, s0
	s_addc_u32 s13, s0, s0
	s_xor_b64 s[12:13], s[12:13], s[10:11]
	v_cvt_f32_u32_e32 v1, s12
	v_cvt_f32_u32_e32 v2, s13
	s_sub_u32 s0, 0, s12
	s_subb_u32 s1, 0, s13
	v_madmk_f32 v1, v2, 0x4f800000, v1
	v_rcp_f32_e32 v1, v1
	v_mul_f32_e32 v1, 0x5f7ffffc, v1
	v_mul_f32_e32 v2, 0x2f800000, v1
	v_trunc_f32_e32 v2, v2
	v_madmk_f32 v1, v2, 0xcf800000, v1
	v_cvt_u32_f32_e32 v2, v2
	v_cvt_u32_f32_e32 v1, v1
	v_mul_lo_u32 v3, s0, v2
	v_mul_hi_u32 v5, s0, v1
	v_mul_lo_u32 v4, s1, v1
	v_add_u32_e32 v3, v5, v3
	v_mul_lo_u32 v6, s0, v1
	v_add_u32_e32 v3, v3, v4
	v_mul_lo_u32 v5, v1, v3
	v_mul_hi_u32 v7, v1, v6
	v_mul_hi_u32 v4, v1, v3
	v_add_co_u32_e32 v5, vcc, v7, v5
	v_addc_co_u32_e32 v4, vcc, 0, v4, vcc
	v_mul_hi_u32 v8, v2, v6
	v_mul_lo_u32 v6, v2, v6
	v_add_co_u32_e32 v5, vcc, v5, v6
	v_mul_hi_u32 v7, v2, v3
	v_addc_co_u32_e32 v4, vcc, v4, v8, vcc
	v_addc_co_u32_e32 v5, vcc, 0, v7, vcc
	v_mul_lo_u32 v3, v2, v3
	v_add_co_u32_e32 v3, vcc, v4, v3
	v_addc_co_u32_e32 v4, vcc, 0, v5, vcc
	v_add_co_u32_e32 v1, vcc, v1, v3
	v_addc_co_u32_e32 v2, vcc, v2, v4, vcc
	v_mul_lo_u32 v3, s0, v2
	v_mul_hi_u32 v4, s0, v1
	v_add_u32_e32 v3, v4, v3
	v_mul_lo_u32 v4, s1, v1
	v_add_u32_e32 v3, v3, v4
	v_mul_lo_u32 v5, s0, v1
	v_mul_hi_u32 v6, v2, v5
	v_mul_lo_u32 v7, v2, v5
	v_mul_lo_u32 v9, v1, v3
	v_mul_hi_u32 v5, v1, v5
	v_mul_hi_u32 v8, v1, v3
	v_add_co_u32_e32 v5, vcc, v5, v9
	v_addc_co_u32_e32 v8, vcc, 0, v8, vcc
	v_add_co_u32_e32 v5, vcc, v5, v7
	v_mul_hi_u32 v4, v2, v3
	v_addc_co_u32_e32 v5, vcc, v8, v6, vcc
	v_addc_co_u32_e32 v4, vcc, 0, v4, vcc
	v_mul_lo_u32 v3, v2, v3
	v_add_co_u32_e32 v3, vcc, v5, v3
	v_addc_co_u32_e32 v4, vcc, 0, v4, vcc
	v_add_co_u32_e32 v1, vcc, v1, v3
	v_addc_co_u32_e32 v4, vcc, v2, v4, vcc
	v_mad_u64_u32 v[2:3], s[0:1], v18, v4, 0
	v_mul_hi_u32 v5, v18, v1
	v_add_co_u32_e32 v6, vcc, v5, v2
	v_addc_co_u32_e32 v7, vcc, 0, v3, vcc
	v_mad_u64_u32 v[2:3], s[0:1], v19, v4, 0
	v_mad_u64_u32 v[4:5], s[0:1], v19, v1, 0
	v_add_co_u32_e32 v1, vcc, v6, v4
	v_addc_co_u32_e32 v1, vcc, v7, v5, vcc
	v_addc_co_u32_e32 v3, vcc, 0, v3, vcc
	v_add_co_u32_e32 v1, vcc, v1, v2
	v_addc_co_u32_e32 v4, vcc, 0, v3, vcc
	v_mul_lo_u32 v5, s13, v1
	v_mul_lo_u32 v6, s12, v4
	v_mad_u64_u32 v[2:3], s[0:1], s12, v1, 0
	v_add3_u32 v3, v3, v6, v5
	v_sub_u32_e32 v5, v19, v3
	v_mov_b32_e32 v6, s13
	v_sub_co_u32_e32 v2, vcc, v18, v2
	v_subb_co_u32_e64 v5, s[0:1], v5, v6, vcc
	v_subrev_co_u32_e64 v6, s[0:1], s12, v2
	v_subbrev_co_u32_e64 v5, s[0:1], 0, v5, s[0:1]
	v_cmp_le_u32_e64 s[0:1], s13, v5
	v_cndmask_b32_e64 v7, 0, -1, s[0:1]
	v_cmp_le_u32_e64 s[0:1], s12, v6
	v_cndmask_b32_e64 v6, 0, -1, s[0:1]
	v_cmp_eq_u32_e64 s[0:1], s13, v5
	v_cndmask_b32_e64 v5, v7, v6, s[0:1]
	v_add_co_u32_e64 v6, s[0:1], 2, v1
	v_addc_co_u32_e64 v7, s[0:1], 0, v4, s[0:1]
	v_add_co_u32_e64 v8, s[0:1], 1, v1
	v_addc_co_u32_e64 v9, s[0:1], 0, v4, s[0:1]
	v_subb_co_u32_e32 v3, vcc, v19, v3, vcc
	v_cmp_ne_u32_e64 s[0:1], 0, v5
	v_cmp_le_u32_e32 vcc, s13, v3
	v_cndmask_b32_e64 v5, v9, v7, s[0:1]
	v_cndmask_b32_e64 v7, 0, -1, vcc
	v_cmp_le_u32_e32 vcc, s12, v2
	v_cndmask_b32_e64 v2, 0, -1, vcc
	v_cmp_eq_u32_e32 vcc, s13, v3
	v_cndmask_b32_e32 v2, v7, v2, vcc
	v_cmp_ne_u32_e32 vcc, 0, v2
	v_cndmask_b32_e64 v3, v8, v6, s[0:1]
	v_cndmask_b32_e32 v1, v1, v3, vcc
	v_cndmask_b32_e32 v2, v4, v5, vcc
	v_xor_b32_e32 v1, s10, v1
	v_xor_b32_e32 v3, s11, v2
	v_mov_b32_e32 v4, s11
	v_subrev_co_u32_e32 v2, vcc, s10, v1
	v_subb_co_u32_e32 v3, vcc, v3, v4, vcc
                                        ; implicit-def: $vgpr4_vgpr5
.LBB56_5:
	s_andn2_saveexec_b64 s[0:1], s[6:7]
	s_cbranch_execz .LBB56_7
; %bb.6:
	v_cvt_f32_u32_e32 v1, s2
	s_sub_i32 s6, 0, s2
	v_alignbit_b32 v2, v5, v4, 1
	v_rcp_iflag_f32_e32 v1, v1
	v_mul_f32_e32 v1, 0x4f7ffffe, v1
	v_cvt_u32_f32_e32 v1, v1
	v_mul_lo_u32 v3, s6, v1
	v_mul_hi_u32 v3, v1, v3
	v_add_u32_e32 v1, v1, v3
	v_mul_hi_u32 v1, v2, v1
	v_mul_lo_u32 v3, v1, s2
	v_sub_u32_e32 v2, v2, v3
	v_add_u32_e32 v4, 1, v1
	v_subrev_u32_e32 v3, s2, v2
	v_cmp_le_u32_e32 vcc, s2, v2
	v_cndmask_b32_e32 v2, v2, v3, vcc
	v_cndmask_b32_e32 v1, v1, v4, vcc
	v_add_u32_e32 v3, 1, v1
	v_cmp_le_u32_e32 vcc, s2, v2
	v_cndmask_b32_e32 v2, v1, v3, vcc
	v_mov_b32_e32 v3, 0
.LBB56_7:
	s_or_b64 exec, exec, s[0:1]
	v_mad_u64_u32 v[4:5], s[0:1], v2, s2, 0
	v_sub_co_u32_e32 v1, vcc, v18, v4
	v_cmp_gt_i64_e32 vcc, s[8:9], v[2:3]
	v_cmp_gt_i32_e64 s[0:1], s2, v1
	s_and_b64 s[0:1], vcc, s[0:1]
	s_and_saveexec_b64 s[6:7], s[0:1]
	s_cbranch_execz .LBB56_11
; %bb.8:
	s_load_dwordx2 s[0:1], s[4:5], 0x10
	s_load_dwordx2 s[8:9], s[4:5], 0x0
	s_ashr_i32 s2, s3, 31
	v_mul_lo_u32 v4, v3, s3
	v_mul_lo_u32 v5, v2, s2
	v_mad_u64_u32 v[2:3], s[2:3], v2, s3, 0
	v_add3_u32 v3, v3, v5, v4
	v_lshlrev_b64 v[2:3], 1, v[2:3]
	v_lshlrev_b32_e32 v4, 6, v1
	v_mov_b32_e32 v5, 0
	s_waitcnt lgkmcnt(0)
	v_mov_b32_e32 v1, s1
	v_add_co_u32_e32 v6, vcc, s0, v2
	v_addc_co_u32_e32 v1, vcc, v1, v3, vcc
	v_lshlrev_b64 v[2:3], 1, v[4:5]
	v_add_co_u32_e32 v2, vcc, v6, v2
	v_and_b32_e32 v22, 1, v0
	v_addc_co_u32_e32 v1, vcc, v1, v3, vcc
	v_lshlrev_b32_e32 v3, 6, v22
	v_add_co_u32_e32 v20, vcc, v2, v3
	v_addc_co_u32_e32 v21, vcc, 0, v1, vcc
	global_load_dwordx4 v[14:17], v[20:21], off
	global_load_dwordx4 v[10:13], v[20:21], off offset:16
	global_load_dwordx4 v[6:9], v[20:21], off offset:32
	global_load_dwordx4 v[2:5], v[20:21], off offset:48
	s_mov_b32 s0, 0x2edbe6ff
	s_movk_i32 s1, 0xff
	s_waitcnt vmcnt(3)
	v_cvt_f32_f16_e64 v1, |v14|
	v_cvt_f32_f16_sdwa v20, |v14| dst_sel:DWORD dst_unused:UNUSED_PAD src0_sel:WORD_1
	v_cvt_f32_f16_e64 v21, |v15|
	v_cvt_f32_f16_sdwa v23, |v15| dst_sel:DWORD dst_unused:UNUSED_PAD src0_sel:WORD_1
	v_cvt_f32_f16_e64 v24, |v16|
	v_cvt_f32_f16_sdwa v25, |v16| dst_sel:DWORD dst_unused:UNUSED_PAD src0_sel:WORD_1
	v_cvt_f32_f16_e64 v26, |v17|
	v_cvt_f32_f16_sdwa v27, |v17| dst_sel:DWORD dst_unused:UNUSED_PAD src0_sel:WORD_1
	s_waitcnt vmcnt(2)
	v_cvt_f32_f16_e64 v28, |v10|
	v_cvt_f32_f16_sdwa v29, |v10| dst_sel:DWORD dst_unused:UNUSED_PAD src0_sel:WORD_1
	v_max3_f32 v1, v1, s0, v20
	v_cvt_f32_f16_e64 v30, |v11|
	v_cvt_f32_f16_sdwa v31, |v11| dst_sel:DWORD dst_unused:UNUSED_PAD src0_sel:WORD_1
	v_max3_f32 v1, v1, v21, v23
	v_cvt_f32_f16_e64 v32, |v12|
	v_cvt_f32_f16_sdwa v33, |v12| dst_sel:DWORD dst_unused:UNUSED_PAD src0_sel:WORD_1
	v_max3_f32 v1, v1, v24, v25
	v_cvt_f32_f16_e64 v34, |v13|
	v_cvt_f32_f16_sdwa v35, |v13| dst_sel:DWORD dst_unused:UNUSED_PAD src0_sel:WORD_1
	v_max3_f32 v1, v1, v26, v27
	s_waitcnt vmcnt(1)
	v_cvt_f32_f16_e64 v36, |v6|
	v_cvt_f32_f16_sdwa v37, |v6| dst_sel:DWORD dst_unused:UNUSED_PAD src0_sel:WORD_1
	v_max3_f32 v1, v1, v28, v29
	v_cvt_f32_f16_e64 v38, |v7|
	v_cvt_f32_f16_sdwa v39, |v7| dst_sel:DWORD dst_unused:UNUSED_PAD src0_sel:WORD_1
	v_max3_f32 v1, v1, v30, v31
	v_cvt_f32_f16_e64 v40, |v8|
	v_cvt_f32_f16_sdwa v41, |v8| dst_sel:DWORD dst_unused:UNUSED_PAD src0_sel:WORD_1
	v_max3_f32 v1, v1, v32, v33
	v_cvt_f32_f16_e64 v42, |v9|
	v_cvt_f32_f16_sdwa v43, |v9| dst_sel:DWORD dst_unused:UNUSED_PAD src0_sel:WORD_1
	v_max3_f32 v1, v1, v34, v35
	;; [unrolled: 13-line block ×3, first 2 shown]
	v_max3_f32 v1, v1, v44, v45
	v_max3_f32 v1, v1, v46, v47
	;; [unrolled: 1-line block ×4, first 2 shown]
	s_nop 1
	v_mov_b32_dpp v20, v1 quad_perm:[1,0,3,2] row_mask:0xf bank_mask:0xf
	v_cmp_gt_f32_e32 vcc, v1, v20
	v_cndmask_b32_e32 v1, v20, v1, vcc
	v_mul_f32_e32 v1, 0x3b124925, v1
	v_bfe_u32 v20, v1, 23, 8
	v_and_b32_e32 v1, 0x7fffff, v1
	v_cmp_ne_u32_e32 vcc, s1, v20
	v_cmp_ne_u32_e64 s[0:1], 0, v1
	s_and_b64 vcc, s[0:1], vcc
	v_addc_co_u32_e32 v1, vcc, 0, v20, vcc
	v_cmp_eq_u32_e32 vcc, 0, v22
	s_and_saveexec_b64 s[0:1], vcc
	s_cbranch_execz .LBB56_10
; %bb.9:
	s_load_dwordx2 s[2:3], s[4:5], 0x8
	s_waitcnt lgkmcnt(0)
	v_mov_b32_e32 v21, s3
	v_add_co_u32_e32 v20, vcc, s2, v18
	v_addc_co_u32_e32 v21, vcc, v21, v19, vcc
	global_store_byte v[20:21], v1, off
.LBB56_10:
	s_or_b64 exec, exec, s[0:1]
	v_lshlrev_b32_e32 v1, 23, v1
	v_div_scale_f32 v19, s[0:1], v1, v1, 1.0
	v_rcp_f32_e32 v20, v19
	v_lshlrev_b32_e32 v21, 6, v18
	v_lshlrev_b32_e32 v0, 5, v0
	v_and_or_b32 v30, v0, 32, v21
	v_fma_f32 v18, -v19, v20, 1.0
	v_fmac_f32_e32 v20, v18, v20
	v_div_scale_f32 v18, vcc, 1.0, v1, 1.0
	v_mul_f32_e32 v22, v18, v20
	v_fma_f32 v23, -v19, v22, v18
	v_fmac_f32_e32 v22, v23, v20
	v_fma_f32 v18, -v19, v22, v18
	v_div_fmas_f32 v18, v18, v20, v22
	v_div_fixup_f32 v18, v18, v1, 1.0
	v_cvt_f32_f16_e32 v0, v14
	v_cvt_f32_f16_sdwa v1, v14 dst_sel:DWORD dst_unused:UNUSED_PAD src0_sel:WORD_1
	v_mov_b32_e32 v19, v18
	;;#ASMSTART
	v_pk_mul_f32 v[0:1], v[0:1], v[18:19]
	;;#ASMEND
	v_cvt_f32_f16_e32 v22, v10
	v_cvt_f32_f16_sdwa v23, v10 dst_sel:DWORD dst_unused:UNUSED_PAD src0_sel:WORD_1
	v_mov_b32_e32 v31, 0xc3e00000
	v_mov_b32_e32 v32, 0x43e00000
	;;#ASMSTART
	v_med3_f32 v0, v0, v31, v32
v_med3_f32 v1, v1, v31, v32
v_cvt_pk_fp8_f32 v10, v0, v1
	;;#ASMEND
	v_cvt_f32_f16_e32 v14, v15
	v_cvt_f32_f16_sdwa v15, v15 dst_sel:DWORD dst_unused:UNUSED_PAD src0_sel:WORD_1
	;;#ASMSTART
	v_pk_mul_f32 v[0:1], v[14:15], v[18:19]
	;;#ASMEND
	v_cvt_f32_f16_e32 v24, v11
	v_cvt_f32_f16_sdwa v25, v11 dst_sel:DWORD dst_unused:UNUSED_PAD src0_sel:WORD_1
	;;#ASMSTART
	v_med3_f32 v0, v0, v31, v32
v_med3_f32 v1, v1, v31, v32
v_cvt_pk_fp8_f32 v11, v0, v1
	;;#ASMEND
	s_mov_b32 s0, 0x5040100
	v_perm_b32 v0, v11, v10, s0
	s_mov_b32 s1, 0x1060504
	v_cvt_f32_f16_e32 v20, v16
	v_cvt_f32_f16_sdwa v21, v16 dst_sel:DWORD dst_unused:UNUSED_PAD src0_sel:WORD_1
	v_perm_b32 v10, v0, v11, s1
	;;#ASMSTART
	v_pk_mul_f32 v[0:1], v[20:21], v[18:19]
	;;#ASMEND
	;;#ASMSTART
	v_med3_f32 v0, v0, v31, v32
v_med3_f32 v1, v1, v31, v32
v_cvt_pk_fp8_f32 v11, v0, v1
	;;#ASMEND
	v_cvt_f32_f16_e32 v16, v17
	v_cvt_f32_f16_sdwa v17, v17 dst_sel:DWORD dst_unused:UNUSED_PAD src0_sel:WORD_1
	;;#ASMSTART
	v_pk_mul_f32 v[0:1], v[16:17], v[18:19]
	;;#ASMEND
	v_cvt_f32_f16_e32 v26, v12
	v_cvt_f32_f16_sdwa v27, v12 dst_sel:DWORD dst_unused:UNUSED_PAD src0_sel:WORD_1
	;;#ASMSTART
	v_med3_f32 v0, v0, v31, v32
v_med3_f32 v1, v1, v31, v32
v_cvt_pk_fp8_f32 v12, v0, v1
	;;#ASMEND
	s_mov_b32 s2, 0x1000504
	;;#ASMSTART
	v_pk_mul_f32 v[0:1], v[22:23], v[18:19]
	;;#ASMEND
	v_perm_b32 v11, v11, v12, s2
	;;#ASMSTART
	v_med3_f32 v0, v0, v31, v32
v_med3_f32 v1, v1, v31, v32
v_cvt_pk_fp8_f32 v12, v0, v1
	;;#ASMEND
	;;#ASMSTART
	v_pk_mul_f32 v[0:1], v[24:25], v[18:19]
	;;#ASMEND
	v_cvt_f32_f16_e32 v28, v13
	v_cvt_f32_f16_sdwa v29, v13 dst_sel:DWORD dst_unused:UNUSED_PAD src0_sel:WORD_1
	;;#ASMSTART
	v_med3_f32 v0, v0, v31, v32
v_med3_f32 v1, v1, v31, v32
v_cvt_pk_fp8_f32 v13, v0, v1
	;;#ASMEND
	s_load_dword s10, s[4:5], 0x30
	;;#ASMSTART
	v_pk_mul_f32 v[0:1], v[26:27], v[18:19]
	;;#ASMEND
	v_perm_b32 v12, v12, v13, s2
	;;#ASMSTART
	v_med3_f32 v0, v0, v31, v32
v_med3_f32 v1, v1, v31, v32
v_cvt_pk_fp8_f32 v13, v0, v1
	;;#ASMEND
	;;#ASMSTART
	v_pk_mul_f32 v[0:1], v[28:29], v[18:19]
	;;#ASMEND
	;;#ASMSTART
	v_med3_f32 v0, v0, v31, v32
v_med3_f32 v1, v1, v31, v32
v_cvt_pk_fp8_f32 v14, v0, v1
	;;#ASMEND
	s_and_b32 s9, s9, 0xffff
	s_mov_b32 s11, 0x20000
	v_perm_b32 v13, v13, v14, s2
	v_cvt_f32_f16_e32 v0, v6
	v_cvt_f32_f16_sdwa v1, v6 dst_sel:DWORD dst_unused:UNUSED_PAD src0_sel:WORD_1
	s_waitcnt lgkmcnt(0)
	buffer_store_dwordx4 v[10:13], v30, s[8:11], 0 offen
	;;#ASMSTART
	s_nop 0
	;;#ASMEND
	;;#ASMSTART
	v_pk_mul_f32 v[0:1], v[0:1], v[18:19]
	;;#ASMEND
	;;#ASMSTART
	v_med3_f32 v0, v0, v31, v32
v_med3_f32 v1, v1, v31, v32
v_cvt_pk_fp8_f32 v16, v0, v1
	;;#ASMEND
	v_cvt_f32_f16_e32 v6, v7
	v_cvt_f32_f16_sdwa v7, v7 dst_sel:DWORD dst_unused:UNUSED_PAD src0_sel:WORD_1
	;;#ASMSTART
	v_pk_mul_f32 v[0:1], v[6:7], v[18:19]
	;;#ASMEND
	;;#ASMSTART
	v_med3_f32 v0, v0, v31, v32
v_med3_f32 v1, v1, v31, v32
v_cvt_pk_fp8_f32 v6, v0, v1
	;;#ASMEND
	v_perm_b32 v0, v6, v16, s0
	v_cvt_f32_f16_e32 v10, v8
	v_cvt_f32_f16_sdwa v11, v8 dst_sel:DWORD dst_unused:UNUSED_PAD src0_sel:WORD_1
	v_perm_b32 v0, v0, v6, s1
	;;#ASMSTART
	v_pk_mul_f32 v[6:7], v[10:11], v[18:19]
	;;#ASMEND
	v_mov_b32_e32 v1, v7
	;;#ASMSTART
	v_med3_f32 v6, v6, v31, v32
v_med3_f32 v1, v1, v31, v32
v_cvt_pk_fp8_f32 v10, v6, v1
	;;#ASMEND
	v_cvt_f32_f16_e32 v8, v9
	v_cvt_f32_f16_sdwa v9, v9 dst_sel:DWORD dst_unused:UNUSED_PAD src0_sel:WORD_1
	;;#ASMSTART
	v_pk_mul_f32 v[6:7], v[8:9], v[18:19]
	;;#ASMEND
	v_mov_b32_e32 v1, v7
	;;#ASMSTART
	v_med3_f32 v6, v6, v31, v32
v_med3_f32 v1, v1, v31, v32
v_cvt_pk_fp8_f32 v7, v6, v1
	;;#ASMEND
	v_cvt_f32_f16_e32 v12, v2
	v_cvt_f32_f16_sdwa v13, v2 dst_sel:DWORD dst_unused:UNUSED_PAD src0_sel:WORD_1
	v_cvt_f32_f16_e32 v2, v3
	v_cvt_f32_f16_sdwa v3, v3 dst_sel:DWORD dst_unused:UNUSED_PAD src0_sel:WORD_1
	v_perm_b32 v1, v10, v7, s2
	;;#ASMSTART
	v_pk_mul_f32 v[6:7], v[12:13], v[18:19]
	;;#ASMEND
	;;#ASMSTART
	v_med3_f32 v6, v6, v31, v32
v_med3_f32 v7, v7, v31, v32
v_cvt_pk_fp8_f32 v8, v6, v7
	;;#ASMEND
	;;#ASMSTART
	v_pk_mul_f32 v[2:3], v[2:3], v[18:19]
	;;#ASMEND
	;;#ASMSTART
	v_med3_f32 v2, v2, v31, v32
v_med3_f32 v3, v3, v31, v32
v_cvt_pk_fp8_f32 v6, v2, v3
	;;#ASMEND
	v_cvt_f32_f16_e32 v14, v4
	v_cvt_f32_f16_sdwa v15, v4 dst_sel:DWORD dst_unused:UNUSED_PAD src0_sel:WORD_1
	v_perm_b32 v2, v8, v6, s2
	;;#ASMSTART
	v_pk_mul_f32 v[6:7], v[14:15], v[18:19]
	;;#ASMEND
	v_mov_b32_e32 v3, v7
	v_cvt_f32_f16_e32 v4, v5
	v_cvt_f32_f16_sdwa v5, v5 dst_sel:DWORD dst_unused:UNUSED_PAD src0_sel:WORD_1
	;;#ASMSTART
	v_med3_f32 v6, v6, v31, v32
v_med3_f32 v3, v3, v31, v32
v_cvt_pk_fp8_f32 v7, v6, v3
	;;#ASMEND
	;;#ASMSTART
	v_pk_mul_f32 v[4:5], v[4:5], v[18:19]
	;;#ASMEND
	v_mov_b32_e32 v3, v5
	;;#ASMSTART
	v_med3_f32 v4, v4, v31, v32
v_med3_f32 v3, v3, v31, v32
v_cvt_pk_fp8_f32 v5, v4, v3
	;;#ASMEND
	v_perm_b32 v3, v7, v5, s2
	buffer_store_dwordx4 v[0:3], v30, s[8:11], 16 offen
	;;#ASMSTART
	s_nop 0
	;;#ASMEND
.LBB56_11:
	s_endpgm
	.section	.rodata,"a",@progbits
	.p2align	6, 0x0
	.amdhsa_kernel _ZN5aiter37dynamic_per_group_scaled_quant_kernelIDF16_DB8_Li32ELi64ELb0ELi64ELb1EEEvPT0_PfPKT_PKfliilPKii
		.amdhsa_group_segment_fixed_size 0
		.amdhsa_private_segment_fixed_size 0
		.amdhsa_kernarg_size 68
		.amdhsa_user_sgpr_count 6
		.amdhsa_user_sgpr_private_segment_buffer 1
		.amdhsa_user_sgpr_dispatch_ptr 0
		.amdhsa_user_sgpr_queue_ptr 0
		.amdhsa_user_sgpr_kernarg_segment_ptr 1
		.amdhsa_user_sgpr_dispatch_id 0
		.amdhsa_user_sgpr_flat_scratch_init 0
		.amdhsa_user_sgpr_kernarg_preload_length 0
		.amdhsa_user_sgpr_kernarg_preload_offset 0
		.amdhsa_user_sgpr_private_segment_size 0
		.amdhsa_uses_dynamic_stack 0
		.amdhsa_system_sgpr_private_segment_wavefront_offset 0
		.amdhsa_system_sgpr_workgroup_id_x 1
		.amdhsa_system_sgpr_workgroup_id_y 0
		.amdhsa_system_sgpr_workgroup_id_z 0
		.amdhsa_system_sgpr_workgroup_info 0
		.amdhsa_system_vgpr_workitem_id 0
		.amdhsa_next_free_vgpr 52
		.amdhsa_next_free_sgpr 14
		.amdhsa_accum_offset 52
		.amdhsa_reserve_vcc 1
		.amdhsa_reserve_flat_scratch 0
		.amdhsa_float_round_mode_32 0
		.amdhsa_float_round_mode_16_64 0
		.amdhsa_float_denorm_mode_32 3
		.amdhsa_float_denorm_mode_16_64 3
		.amdhsa_dx10_clamp 1
		.amdhsa_ieee_mode 1
		.amdhsa_fp16_overflow 0
		.amdhsa_tg_split 0
		.amdhsa_exception_fp_ieee_invalid_op 0
		.amdhsa_exception_fp_denorm_src 0
		.amdhsa_exception_fp_ieee_div_zero 0
		.amdhsa_exception_fp_ieee_overflow 0
		.amdhsa_exception_fp_ieee_underflow 0
		.amdhsa_exception_fp_ieee_inexact 0
		.amdhsa_exception_int_div_zero 0
	.end_amdhsa_kernel
	.section	.text._ZN5aiter37dynamic_per_group_scaled_quant_kernelIDF16_DB8_Li32ELi64ELb0ELi64ELb1EEEvPT0_PfPKT_PKfliilPKii,"axG",@progbits,_ZN5aiter37dynamic_per_group_scaled_quant_kernelIDF16_DB8_Li32ELi64ELb0ELi64ELb1EEEvPT0_PfPKT_PKfliilPKii,comdat
.Lfunc_end56:
	.size	_ZN5aiter37dynamic_per_group_scaled_quant_kernelIDF16_DB8_Li32ELi64ELb0ELi64ELb1EEEvPT0_PfPKT_PKfliilPKii, .Lfunc_end56-_ZN5aiter37dynamic_per_group_scaled_quant_kernelIDF16_DB8_Li32ELi64ELb0ELi64ELb1EEEvPT0_PfPKT_PKfliilPKii
                                        ; -- End function
	.section	.AMDGPU.csdata,"",@progbits
; Kernel info:
; codeLenInByte = 2624
; NumSgprs: 18
; NumVgprs: 52
; NumAgprs: 0
; TotalNumVgprs: 52
; ScratchSize: 0
; MemoryBound: 0
; FloatMode: 240
; IeeeMode: 1
; LDSByteSize: 0 bytes/workgroup (compile time only)
; SGPRBlocks: 2
; VGPRBlocks: 6
; NumSGPRsForWavesPerEU: 18
; NumVGPRsForWavesPerEU: 52
; AccumOffset: 52
; Occupancy: 8
; WaveLimiterHint : 0
; COMPUTE_PGM_RSRC2:SCRATCH_EN: 0
; COMPUTE_PGM_RSRC2:USER_SGPR: 6
; COMPUTE_PGM_RSRC2:TRAP_HANDLER: 0
; COMPUTE_PGM_RSRC2:TGID_X_EN: 1
; COMPUTE_PGM_RSRC2:TGID_Y_EN: 0
; COMPUTE_PGM_RSRC2:TGID_Z_EN: 0
; COMPUTE_PGM_RSRC2:TIDIG_COMP_CNT: 0
; COMPUTE_PGM_RSRC3_GFX90A:ACCUM_OFFSET: 12
; COMPUTE_PGM_RSRC3_GFX90A:TG_SPLIT: 0
	.section	.text._ZN5aiter37dynamic_per_group_scaled_quant_kernelItDB8_Li32ELi64ELb0ELi64ELb1EEEvPT0_PfPKT_PKfliilPKii,"axG",@progbits,_ZN5aiter37dynamic_per_group_scaled_quant_kernelItDB8_Li32ELi64ELb0ELi64ELb1EEEvPT0_PfPKT_PKfliilPKii,comdat
	.protected	_ZN5aiter37dynamic_per_group_scaled_quant_kernelItDB8_Li32ELi64ELb0ELi64ELb1EEEvPT0_PfPKT_PKfliilPKii ; -- Begin function _ZN5aiter37dynamic_per_group_scaled_quant_kernelItDB8_Li32ELi64ELb0ELi64ELb1EEEvPT0_PfPKT_PKfliilPKii
	.globl	_ZN5aiter37dynamic_per_group_scaled_quant_kernelItDB8_Li32ELi64ELb0ELi64ELb1EEEvPT0_PfPKT_PKfliilPKii
	.p2align	8
	.type	_ZN5aiter37dynamic_per_group_scaled_quant_kernelItDB8_Li32ELi64ELb0ELi64ELb1EEEvPT0_PfPKT_PKfliilPKii,@function
_ZN5aiter37dynamic_per_group_scaled_quant_kernelItDB8_Li32ELi64ELb0ELi64ELb1EEEvPT0_PfPKT_PKfliilPKii: ; @_ZN5aiter37dynamic_per_group_scaled_quant_kernelItDB8_Li32ELi64ELb0ELi64ELb1EEEvPT0_PfPKT_PKfliilPKii
; %bb.0:
	s_load_dwordx2 s[0:1], s[4:5], 0x38
	s_waitcnt lgkmcnt(0)
	s_cmp_eq_u64 s[0:1], 0
	s_cbranch_scc1 .LBB57_2
; %bb.1:
	s_load_dword s2, s[4:5], 0x40
	s_load_dword s3, s[0:1], 0x0
	s_waitcnt lgkmcnt(0)
	s_mul_hi_i32 s9, s3, s2
	s_mul_i32 s8, s3, s2
	s_branch .LBB57_3
.LBB57_2:
	s_load_dwordx2 s[8:9], s[4:5], 0x20
.LBB57_3:
	s_load_dwordx2 s[2:3], s[4:5], 0x28
	s_mov_b32 s7, 0
	s_lshl_b64 s[0:1], s[6:7], 6
	v_or_b32_e32 v6, s0, v0
	v_mov_b32_e32 v7, s1
	s_waitcnt lgkmcnt(0)
	s_ashr_i32 s0, s2, 31
	s_lshr_b32 s0, s0, 26
	s_add_i32 s0, s2, s0
	s_ashr_i32 s2, s0, 6
	v_lshrrev_b64 v[2:3], 1, v[6:7]
	s_ashr_i32 s0, s2, 31
	v_or_b32_e32 v5, s0, v3
	v_mov_b32_e32 v4, 0
	v_cmp_ne_u64_e32 vcc, 0, v[4:5]
                                        ; implicit-def: $vgpr4_vgpr5
	s_and_saveexec_b64 s[6:7], vcc
	s_xor_b64 s[6:7], exec, s[6:7]
	s_cbranch_execz .LBB57_5
; %bb.4:
	s_add_u32 s12, s2, s0
	s_mov_b32 s10, s0
	s_mov_b32 s11, s0
	s_addc_u32 s13, s0, s0
	s_xor_b64 s[12:13], s[12:13], s[10:11]
	v_cvt_f32_u32_e32 v1, s12
	v_cvt_f32_u32_e32 v4, s13
	s_sub_u32 s0, 0, s12
	s_subb_u32 s1, 0, s13
	v_madmk_f32 v1, v4, 0x4f800000, v1
	v_rcp_f32_e32 v1, v1
	v_mul_f32_e32 v1, 0x5f7ffffc, v1
	v_mul_f32_e32 v4, 0x2f800000, v1
	v_trunc_f32_e32 v4, v4
	v_madmk_f32 v1, v4, 0xcf800000, v1
	v_cvt_u32_f32_e32 v4, v4
	v_cvt_u32_f32_e32 v1, v1
	v_mul_lo_u32 v5, s0, v4
	v_mul_hi_u32 v7, s0, v1
	v_mul_lo_u32 v6, s1, v1
	v_add_u32_e32 v5, v7, v5
	v_mul_lo_u32 v8, s0, v1
	v_add_u32_e32 v5, v5, v6
	v_mul_lo_u32 v7, v1, v5
	v_mul_hi_u32 v9, v1, v8
	v_mul_hi_u32 v6, v1, v5
	v_add_co_u32_e32 v7, vcc, v9, v7
	v_addc_co_u32_e32 v6, vcc, 0, v6, vcc
	v_mul_hi_u32 v10, v4, v8
	v_mul_lo_u32 v8, v4, v8
	v_add_co_u32_e32 v7, vcc, v7, v8
	v_mul_hi_u32 v9, v4, v5
	v_addc_co_u32_e32 v6, vcc, v6, v10, vcc
	v_addc_co_u32_e32 v7, vcc, 0, v9, vcc
	v_mul_lo_u32 v5, v4, v5
	v_add_co_u32_e32 v5, vcc, v6, v5
	v_addc_co_u32_e32 v6, vcc, 0, v7, vcc
	v_add_co_u32_e32 v1, vcc, v1, v5
	v_addc_co_u32_e32 v4, vcc, v4, v6, vcc
	v_mul_lo_u32 v5, s0, v4
	v_mul_hi_u32 v6, s0, v1
	v_add_u32_e32 v5, v6, v5
	v_mul_lo_u32 v6, s1, v1
	v_add_u32_e32 v5, v5, v6
	v_mul_lo_u32 v7, s0, v1
	v_mul_hi_u32 v8, v4, v7
	v_mul_lo_u32 v9, v4, v7
	v_mul_lo_u32 v11, v1, v5
	v_mul_hi_u32 v7, v1, v7
	v_mul_hi_u32 v10, v1, v5
	v_add_co_u32_e32 v7, vcc, v7, v11
	v_addc_co_u32_e32 v10, vcc, 0, v10, vcc
	v_add_co_u32_e32 v7, vcc, v7, v9
	v_mul_hi_u32 v6, v4, v5
	v_addc_co_u32_e32 v7, vcc, v10, v8, vcc
	v_addc_co_u32_e32 v6, vcc, 0, v6, vcc
	v_mul_lo_u32 v5, v4, v5
	v_add_co_u32_e32 v5, vcc, v7, v5
	v_addc_co_u32_e32 v6, vcc, 0, v6, vcc
	v_add_co_u32_e32 v1, vcc, v1, v5
	v_addc_co_u32_e32 v6, vcc, v4, v6, vcc
	v_mad_u64_u32 v[4:5], s[0:1], v2, v6, 0
	v_mul_hi_u32 v7, v2, v1
	v_add_co_u32_e32 v8, vcc, v7, v4
	v_addc_co_u32_e32 v9, vcc, 0, v5, vcc
	v_mad_u64_u32 v[4:5], s[0:1], v3, v6, 0
	v_mad_u64_u32 v[6:7], s[0:1], v3, v1, 0
	v_add_co_u32_e32 v1, vcc, v8, v6
	v_addc_co_u32_e32 v1, vcc, v9, v7, vcc
	v_addc_co_u32_e32 v5, vcc, 0, v5, vcc
	v_add_co_u32_e32 v1, vcc, v1, v4
	v_addc_co_u32_e32 v6, vcc, 0, v5, vcc
	v_mul_lo_u32 v7, s13, v1
	v_mul_lo_u32 v8, s12, v6
	v_mad_u64_u32 v[4:5], s[0:1], s12, v1, 0
	v_add3_u32 v5, v5, v8, v7
	v_sub_u32_e32 v7, v3, v5
	v_mov_b32_e32 v8, s13
	v_sub_co_u32_e32 v4, vcc, v2, v4
	v_subb_co_u32_e64 v7, s[0:1], v7, v8, vcc
	v_subrev_co_u32_e64 v8, s[0:1], s12, v4
	v_subbrev_co_u32_e64 v7, s[0:1], 0, v7, s[0:1]
	v_cmp_le_u32_e64 s[0:1], s13, v7
	v_cndmask_b32_e64 v9, 0, -1, s[0:1]
	v_cmp_le_u32_e64 s[0:1], s12, v8
	v_cndmask_b32_e64 v8, 0, -1, s[0:1]
	v_cmp_eq_u32_e64 s[0:1], s13, v7
	v_cndmask_b32_e64 v7, v9, v8, s[0:1]
	v_add_co_u32_e64 v8, s[0:1], 2, v1
	v_addc_co_u32_e64 v9, s[0:1], 0, v6, s[0:1]
	v_add_co_u32_e64 v10, s[0:1], 1, v1
	v_addc_co_u32_e64 v11, s[0:1], 0, v6, s[0:1]
	v_subb_co_u32_e32 v5, vcc, v3, v5, vcc
	v_cmp_ne_u32_e64 s[0:1], 0, v7
	v_cmp_le_u32_e32 vcc, s13, v5
	v_cndmask_b32_e64 v7, v11, v9, s[0:1]
	v_cndmask_b32_e64 v9, 0, -1, vcc
	v_cmp_le_u32_e32 vcc, s12, v4
	v_cndmask_b32_e64 v4, 0, -1, vcc
	v_cmp_eq_u32_e32 vcc, s13, v5
	v_cndmask_b32_e32 v4, v9, v4, vcc
	v_cmp_ne_u32_e32 vcc, 0, v4
	v_cndmask_b32_e64 v5, v10, v8, s[0:1]
	v_cndmask_b32_e32 v1, v1, v5, vcc
	v_cndmask_b32_e32 v4, v6, v7, vcc
	v_xor_b32_e32 v1, s10, v1
	v_xor_b32_e32 v5, s11, v4
	v_mov_b32_e32 v6, s11
	v_subrev_co_u32_e32 v4, vcc, s10, v1
	v_subb_co_u32_e32 v5, vcc, v5, v6, vcc
                                        ; implicit-def: $vgpr6_vgpr7
.LBB57_5:
	s_andn2_saveexec_b64 s[0:1], s[6:7]
	s_cbranch_execz .LBB57_7
; %bb.6:
	v_cvt_f32_u32_e32 v1, s2
	s_sub_i32 s6, 0, s2
	v_alignbit_b32 v4, v7, v6, 1
	v_rcp_iflag_f32_e32 v1, v1
	v_mul_f32_e32 v1, 0x4f7ffffe, v1
	v_cvt_u32_f32_e32 v1, v1
	v_mul_lo_u32 v5, s6, v1
	v_mul_hi_u32 v5, v1, v5
	v_add_u32_e32 v1, v1, v5
	v_mul_hi_u32 v1, v4, v1
	v_mul_lo_u32 v5, v1, s2
	v_sub_u32_e32 v4, v4, v5
	v_add_u32_e32 v6, 1, v1
	v_subrev_u32_e32 v5, s2, v4
	v_cmp_le_u32_e32 vcc, s2, v4
	v_cndmask_b32_e32 v4, v4, v5, vcc
	v_cndmask_b32_e32 v1, v1, v6, vcc
	v_add_u32_e32 v5, 1, v1
	v_cmp_le_u32_e32 vcc, s2, v4
	v_cndmask_b32_e32 v4, v1, v5, vcc
	v_mov_b32_e32 v5, 0
.LBB57_7:
	s_or_b64 exec, exec, s[0:1]
	v_mad_u64_u32 v[6:7], s[0:1], v4, s2, 0
	v_sub_co_u32_e32 v1, vcc, v2, v6
	v_cmp_gt_i64_e32 vcc, s[8:9], v[4:5]
	v_cmp_gt_i32_e64 s[0:1], s2, v1
	s_and_b64 s[0:1], vcc, s[0:1]
	s_and_saveexec_b64 s[6:7], s[0:1]
	s_cbranch_execz .LBB57_11
; %bb.8:
	s_load_dwordx2 s[0:1], s[4:5], 0x10
	s_load_dwordx2 s[8:9], s[4:5], 0x0
	s_ashr_i32 s2, s3, 31
	v_mul_lo_u32 v6, v5, s3
	v_mul_lo_u32 v7, v4, s2
	v_mad_u64_u32 v[4:5], s[2:3], v4, s3, 0
	v_add3_u32 v5, v5, v7, v6
	v_lshlrev_b64 v[4:5], 1, v[4:5]
	v_lshlrev_b32_e32 v6, 6, v1
	v_mov_b32_e32 v7, 0
	s_waitcnt lgkmcnt(0)
	v_mov_b32_e32 v1, s1
	v_add_co_u32_e32 v8, vcc, s0, v4
	v_addc_co_u32_e32 v1, vcc, v1, v5, vcc
	v_lshlrev_b64 v[4:5], 1, v[6:7]
	v_add_co_u32_e32 v4, vcc, v8, v4
	v_and_b32_e32 v44, 1, v0
	v_addc_co_u32_e32 v1, vcc, v1, v5, vcc
	v_lshlrev_b32_e32 v5, 6, v44
	v_add_co_u32_e32 v12, vcc, v4, v5
	v_addc_co_u32_e32 v13, vcc, 0, v1, vcc
	global_load_dwordx4 v[4:7], v[12:13], off
	global_load_dwordx4 v[8:11], v[12:13], off offset:16
	global_load_dwordx4 v[36:39], v[12:13], off offset:32
	;; [unrolled: 1-line block ×3, first 2 shown]
	s_mov_b32 s0, 0x2edbe6ff
	s_movk_i32 s1, 0xff
	s_waitcnt vmcnt(3)
	v_cvt_f32_u32_sdwa v35, v4 dst_sel:DWORD dst_unused:UNUSED_PAD src0_sel:WORD_1
	v_cvt_f32_u32_sdwa v34, v4 dst_sel:DWORD dst_unused:UNUSED_PAD src0_sel:WORD_0
	v_cvt_f32_u32_sdwa v33, v5 dst_sel:DWORD dst_unused:UNUSED_PAD src0_sel:WORD_1
	v_cvt_f32_u32_sdwa v32, v5 dst_sel:DWORD dst_unused:UNUSED_PAD src0_sel:WORD_0
	;; [unrolled: 2-line block ×4, first 2 shown]
	s_waitcnt vmcnt(2)
	v_cvt_f32_u32_sdwa v27, v8 dst_sel:DWORD dst_unused:UNUSED_PAD src0_sel:WORD_1
	v_cvt_f32_u32_sdwa v26, v8 dst_sel:DWORD dst_unused:UNUSED_PAD src0_sel:WORD_0
	v_max3_f32 v1, v34, s0, v35
	v_cvt_f32_u32_sdwa v25, v9 dst_sel:DWORD dst_unused:UNUSED_PAD src0_sel:WORD_1
	v_cvt_f32_u32_sdwa v24, v9 dst_sel:DWORD dst_unused:UNUSED_PAD src0_sel:WORD_0
	v_max3_f32 v1, v1, v32, v33
	v_cvt_f32_u32_sdwa v23, v10 dst_sel:DWORD dst_unused:UNUSED_PAD src0_sel:WORD_1
	v_cvt_f32_u32_sdwa v22, v10 dst_sel:DWORD dst_unused:UNUSED_PAD src0_sel:WORD_0
	v_max3_f32 v1, v1, v30, v31
	v_cvt_f32_u32_sdwa v21, v11 dst_sel:DWORD dst_unused:UNUSED_PAD src0_sel:WORD_1
	v_cvt_f32_u32_sdwa v20, v11 dst_sel:DWORD dst_unused:UNUSED_PAD src0_sel:WORD_0
	v_max3_f32 v1, v1, v28, v29
	s_waitcnt vmcnt(1)
	v_cvt_f32_u32_sdwa v19, v36 dst_sel:DWORD dst_unused:UNUSED_PAD src0_sel:WORD_1
	v_cvt_f32_u32_sdwa v18, v36 dst_sel:DWORD dst_unused:UNUSED_PAD src0_sel:WORD_0
	v_max3_f32 v1, v1, v26, v27
	v_cvt_f32_u32_sdwa v17, v37 dst_sel:DWORD dst_unused:UNUSED_PAD src0_sel:WORD_1
	v_cvt_f32_u32_sdwa v16, v37 dst_sel:DWORD dst_unused:UNUSED_PAD src0_sel:WORD_0
	v_max3_f32 v1, v1, v24, v25
	v_cvt_f32_u32_sdwa v15, v38 dst_sel:DWORD dst_unused:UNUSED_PAD src0_sel:WORD_1
	v_cvt_f32_u32_sdwa v14, v38 dst_sel:DWORD dst_unused:UNUSED_PAD src0_sel:WORD_0
	v_max3_f32 v1, v1, v22, v23
	v_cvt_f32_u32_sdwa v13, v39 dst_sel:DWORD dst_unused:UNUSED_PAD src0_sel:WORD_1
	v_cvt_f32_u32_sdwa v12, v39 dst_sel:DWORD dst_unused:UNUSED_PAD src0_sel:WORD_0
	v_max3_f32 v1, v1, v20, v21
	;; [unrolled: 13-line block ×3, first 2 shown]
	v_max3_f32 v1, v1, v10, v11
	v_max3_f32 v1, v1, v8, v9
	;; [unrolled: 1-line block ×4, first 2 shown]
	s_nop 1
	v_mov_b32_dpp v36, v1 quad_perm:[1,0,3,2] row_mask:0xf bank_mask:0xf
	v_cmp_gt_f32_e32 vcc, v1, v36
	v_cndmask_b32_e32 v1, v36, v1, vcc
	v_mul_f32_e32 v1, 0x3b124925, v1
	v_bfe_u32 v36, v1, 23, 8
	v_and_b32_e32 v1, 0x7fffff, v1
	v_cmp_ne_u32_e32 vcc, s1, v36
	v_cmp_ne_u32_e64 s[0:1], 0, v1
	s_and_b64 vcc, s[0:1], vcc
	v_addc_co_u32_e32 v1, vcc, 0, v36, vcc
	v_cmp_eq_u32_e32 vcc, 0, v44
	s_and_saveexec_b64 s[0:1], vcc
	s_cbranch_execz .LBB57_10
; %bb.9:
	s_load_dwordx2 s[2:3], s[4:5], 0x8
	s_waitcnt lgkmcnt(0)
	v_mov_b32_e32 v37, s3
	v_add_co_u32_e32 v36, vcc, s2, v2
	v_addc_co_u32_e32 v37, vcc, v37, v3, vcc
	global_store_byte v[36:37], v1, off
.LBB57_10:
	s_or_b64 exec, exec, s[0:1]
	v_lshlrev_b32_e32 v1, 23, v1
	v_div_scale_f32 v3, s[0:1], v1, v1, 1.0
	v_rcp_f32_e32 v36, v3
	v_lshlrev_b32_e32 v2, 6, v2
	v_lshlrev_b32_e32 v0, 5, v0
	s_mov_b32 s0, 0x5040100
	v_fma_f32 v37, -v3, v36, 1.0
	v_fmac_f32_e32 v36, v37, v36
	v_div_scale_f32 v37, vcc, 1.0, v1, 1.0
	v_mul_f32_e32 v38, v37, v36
	v_fma_f32 v39, -v3, v38, v37
	v_fmac_f32_e32 v38, v39, v36
	v_fma_f32 v3, -v3, v38, v37
	v_div_fmas_f32 v3, v3, v36, v38
	v_div_fixup_f32 v36, v3, v1, 1.0
	v_and_or_b32 v38, v0, 32, v2
	v_mov_b32_e32 v37, v36
	;;#ASMSTART
	v_pk_mul_f32 v[0:1], v[34:35], v[36:37]
	;;#ASMEND
	v_mov_b32_e32 v34, 0xc3e00000
	v_mov_b32_e32 v35, 0x43e00000
	;;#ASMSTART
	v_med3_f32 v0, v0, v34, v35
v_med3_f32 v1, v1, v34, v35
v_cvt_pk_fp8_f32 v2, v0, v1
	;;#ASMEND
	;;#ASMSTART
	v_pk_mul_f32 v[0:1], v[32:33], v[36:37]
	;;#ASMEND
	;;#ASMSTART
	v_med3_f32 v0, v0, v34, v35
v_med3_f32 v1, v1, v34, v35
v_cvt_pk_fp8_f32 v3, v0, v1
	;;#ASMEND
	v_perm_b32 v0, v3, v2, s0
	s_mov_b32 s1, 0x1060504
	v_perm_b32 v0, v0, v3, s1
	;;#ASMSTART
	v_pk_mul_f32 v[2:3], v[30:31], v[36:37]
	;;#ASMEND
	v_mov_b32_e32 v1, v2
	;;#ASMSTART
	v_med3_f32 v1, v1, v34, v35
v_med3_f32 v3, v3, v34, v35
v_cvt_pk_fp8_f32 v30, v1, v3
	;;#ASMEND
	;;#ASMSTART
	v_pk_mul_f32 v[2:3], v[28:29], v[36:37]
	;;#ASMEND
	v_mov_b32_e32 v1, v3
	;;#ASMSTART
	v_med3_f32 v2, v2, v34, v35
v_med3_f32 v1, v1, v34, v35
v_cvt_pk_fp8_f32 v3, v2, v1
	;;#ASMEND
	s_mov_b32 s2, 0x1000504
	v_perm_b32 v1, v30, v3, s2
	;;#ASMSTART
	v_pk_mul_f32 v[2:3], v[26:27], v[36:37]
	;;#ASMEND
	;;#ASMSTART
	v_med3_f32 v2, v2, v34, v35
v_med3_f32 v3, v3, v34, v35
v_cvt_pk_fp8_f32 v26, v2, v3
	;;#ASMEND
	;;#ASMSTART
	v_pk_mul_f32 v[2:3], v[24:25], v[36:37]
	;;#ASMEND
	;;#ASMSTART
	v_med3_f32 v2, v2, v34, v35
v_med3_f32 v3, v3, v34, v35
v_cvt_pk_fp8_f32 v24, v2, v3
	;;#ASMEND
	s_load_dword s10, s[4:5], 0x30
	;;#ASMSTART
	v_pk_mul_f32 v[22:23], v[22:23], v[36:37]
	;;#ASMEND
	v_mov_b32_e32 v3, v22
	;;#ASMSTART
	v_med3_f32 v3, v3, v34, v35
v_med3_f32 v23, v23, v34, v35
v_cvt_pk_fp8_f32 v22, v3, v23
	;;#ASMEND
	;;#ASMSTART
	v_pk_mul_f32 v[20:21], v[20:21], v[36:37]
	;;#ASMEND
	v_mov_b32_e32 v3, v21
	;;#ASMSTART
	v_med3_f32 v20, v20, v34, v35
v_med3_f32 v3, v3, v34, v35
v_cvt_pk_fp8_f32 v21, v20, v3
	;;#ASMEND
	s_and_b32 s9, s9, 0xffff
	s_mov_b32 s11, 0x20000
	v_perm_b32 v2, v26, v24, s2
	v_perm_b32 v3, v22, v21, s2
	s_waitcnt lgkmcnt(0)
	buffer_store_dwordx4 v[0:3], v38, s[8:11], 0 offen
	;;#ASMSTART
	s_nop 0
	;;#ASMEND
	s_nop 0
	;;#ASMSTART
	v_pk_mul_f32 v[0:1], v[18:19], v[36:37]
	;;#ASMEND
	;;#ASMSTART
	v_med3_f32 v0, v0, v34, v35
v_med3_f32 v1, v1, v34, v35
v_cvt_pk_fp8_f32 v2, v0, v1
	;;#ASMEND
	;;#ASMSTART
	v_pk_mul_f32 v[0:1], v[16:17], v[36:37]
	;;#ASMEND
	;;#ASMSTART
	v_med3_f32 v0, v0, v34, v35
v_med3_f32 v1, v1, v34, v35
v_cvt_pk_fp8_f32 v3, v0, v1
	;;#ASMEND
	v_perm_b32 v0, v3, v2, s0
	v_perm_b32 v0, v0, v3, s1
	;;#ASMSTART
	v_pk_mul_f32 v[2:3], v[14:15], v[36:37]
	;;#ASMEND
	v_mov_b32_e32 v1, v2
	;;#ASMSTART
	v_med3_f32 v1, v1, v34, v35
v_med3_f32 v3, v3, v34, v35
v_cvt_pk_fp8_f32 v14, v1, v3
	;;#ASMEND
	;;#ASMSTART
	v_pk_mul_f32 v[2:3], v[12:13], v[36:37]
	;;#ASMEND
	v_mov_b32_e32 v1, v3
	;;#ASMSTART
	v_med3_f32 v2, v2, v34, v35
v_med3_f32 v1, v1, v34, v35
v_cvt_pk_fp8_f32 v3, v2, v1
	;;#ASMEND
	v_perm_b32 v1, v14, v3, s2
	;;#ASMSTART
	v_pk_mul_f32 v[2:3], v[10:11], v[36:37]
	;;#ASMEND
	;;#ASMSTART
	v_med3_f32 v2, v2, v34, v35
v_med3_f32 v3, v3, v34, v35
v_cvt_pk_fp8_f32 v10, v2, v3
	;;#ASMEND
	;;#ASMSTART
	v_pk_mul_f32 v[2:3], v[8:9], v[36:37]
	;;#ASMEND
	;;#ASMSTART
	v_med3_f32 v2, v2, v34, v35
v_med3_f32 v3, v3, v34, v35
v_cvt_pk_fp8_f32 v8, v2, v3
	;;#ASMEND
	;;#ASMSTART
	v_pk_mul_f32 v[6:7], v[6:7], v[36:37]
	;;#ASMEND
	v_mov_b32_e32 v3, v6
	;;#ASMSTART
	v_med3_f32 v3, v3, v34, v35
v_med3_f32 v7, v7, v34, v35
v_cvt_pk_fp8_f32 v6, v3, v7
	;;#ASMEND
	;;#ASMSTART
	v_pk_mul_f32 v[4:5], v[4:5], v[36:37]
	;;#ASMEND
	v_mov_b32_e32 v3, v5
	;;#ASMSTART
	v_med3_f32 v4, v4, v34, v35
v_med3_f32 v3, v3, v34, v35
v_cvt_pk_fp8_f32 v5, v4, v3
	;;#ASMEND
	v_perm_b32 v2, v10, v8, s2
	v_perm_b32 v3, v6, v5, s2
	buffer_store_dwordx4 v[0:3], v38, s[8:11], 16 offen
	;;#ASMSTART
	s_nop 0
	;;#ASMEND
.LBB57_11:
	s_endpgm
	.section	.rodata,"a",@progbits
	.p2align	6, 0x0
	.amdhsa_kernel _ZN5aiter37dynamic_per_group_scaled_quant_kernelItDB8_Li32ELi64ELb0ELi64ELb1EEEvPT0_PfPKT_PKfliilPKii
		.amdhsa_group_segment_fixed_size 0
		.amdhsa_private_segment_fixed_size 0
		.amdhsa_kernarg_size 68
		.amdhsa_user_sgpr_count 6
		.amdhsa_user_sgpr_private_segment_buffer 1
		.amdhsa_user_sgpr_dispatch_ptr 0
		.amdhsa_user_sgpr_queue_ptr 0
		.amdhsa_user_sgpr_kernarg_segment_ptr 1
		.amdhsa_user_sgpr_dispatch_id 0
		.amdhsa_user_sgpr_flat_scratch_init 0
		.amdhsa_user_sgpr_kernarg_preload_length 0
		.amdhsa_user_sgpr_kernarg_preload_offset 0
		.amdhsa_user_sgpr_private_segment_size 0
		.amdhsa_uses_dynamic_stack 0
		.amdhsa_system_sgpr_private_segment_wavefront_offset 0
		.amdhsa_system_sgpr_workgroup_id_x 1
		.amdhsa_system_sgpr_workgroup_id_y 0
		.amdhsa_system_sgpr_workgroup_id_z 0
		.amdhsa_system_sgpr_workgroup_info 0
		.amdhsa_system_vgpr_workitem_id 0
		.amdhsa_next_free_vgpr 45
		.amdhsa_next_free_sgpr 14
		.amdhsa_accum_offset 48
		.amdhsa_reserve_vcc 1
		.amdhsa_reserve_flat_scratch 0
		.amdhsa_float_round_mode_32 0
		.amdhsa_float_round_mode_16_64 0
		.amdhsa_float_denorm_mode_32 3
		.amdhsa_float_denorm_mode_16_64 3
		.amdhsa_dx10_clamp 1
		.amdhsa_ieee_mode 1
		.amdhsa_fp16_overflow 0
		.amdhsa_tg_split 0
		.amdhsa_exception_fp_ieee_invalid_op 0
		.amdhsa_exception_fp_denorm_src 0
		.amdhsa_exception_fp_ieee_div_zero 0
		.amdhsa_exception_fp_ieee_overflow 0
		.amdhsa_exception_fp_ieee_underflow 0
		.amdhsa_exception_fp_ieee_inexact 0
		.amdhsa_exception_int_div_zero 0
	.end_amdhsa_kernel
	.section	.text._ZN5aiter37dynamic_per_group_scaled_quant_kernelItDB8_Li32ELi64ELb0ELi64ELb1EEEvPT0_PfPKT_PKfliilPKii,"axG",@progbits,_ZN5aiter37dynamic_per_group_scaled_quant_kernelItDB8_Li32ELi64ELb0ELi64ELb1EEEvPT0_PfPKT_PKfliilPKii,comdat
.Lfunc_end57:
	.size	_ZN5aiter37dynamic_per_group_scaled_quant_kernelItDB8_Li32ELi64ELb0ELi64ELb1EEEvPT0_PfPKT_PKfliilPKii, .Lfunc_end57-_ZN5aiter37dynamic_per_group_scaled_quant_kernelItDB8_Li32ELi64ELb0ELi64ELb1EEEvPT0_PfPKT_PKfliilPKii
                                        ; -- End function
	.section	.AMDGPU.csdata,"",@progbits
; Kernel info:
; codeLenInByte = 2452
; NumSgprs: 18
; NumVgprs: 45
; NumAgprs: 0
; TotalNumVgprs: 45
; ScratchSize: 0
; MemoryBound: 0
; FloatMode: 240
; IeeeMode: 1
; LDSByteSize: 0 bytes/workgroup (compile time only)
; SGPRBlocks: 2
; VGPRBlocks: 5
; NumSGPRsForWavesPerEU: 18
; NumVGPRsForWavesPerEU: 45
; AccumOffset: 48
; Occupancy: 8
; WaveLimiterHint : 0
; COMPUTE_PGM_RSRC2:SCRATCH_EN: 0
; COMPUTE_PGM_RSRC2:USER_SGPR: 6
; COMPUTE_PGM_RSRC2:TRAP_HANDLER: 0
; COMPUTE_PGM_RSRC2:TGID_X_EN: 1
; COMPUTE_PGM_RSRC2:TGID_Y_EN: 0
; COMPUTE_PGM_RSRC2:TGID_Z_EN: 0
; COMPUTE_PGM_RSRC2:TIDIG_COMP_CNT: 0
; COMPUTE_PGM_RSRC3_GFX90A:ACCUM_OFFSET: 11
; COMPUTE_PGM_RSRC3_GFX90A:TG_SPLIT: 0
	.section	.text._ZN5aiter37dynamic_per_group_scaled_quant_kernelIDF16_DB8_Li32ELi128ELb1ELi64ELb1EEEvPT0_PfPKT_PKfliilPKii,"axG",@progbits,_ZN5aiter37dynamic_per_group_scaled_quant_kernelIDF16_DB8_Li32ELi128ELb1ELi64ELb1EEEvPT0_PfPKT_PKfliilPKii,comdat
	.protected	_ZN5aiter37dynamic_per_group_scaled_quant_kernelIDF16_DB8_Li32ELi128ELb1ELi64ELb1EEEvPT0_PfPKT_PKfliilPKii ; -- Begin function _ZN5aiter37dynamic_per_group_scaled_quant_kernelIDF16_DB8_Li32ELi128ELb1ELi64ELb1EEEvPT0_PfPKT_PKfliilPKii
	.globl	_ZN5aiter37dynamic_per_group_scaled_quant_kernelIDF16_DB8_Li32ELi128ELb1ELi64ELb1EEEvPT0_PfPKT_PKfliilPKii
	.p2align	8
	.type	_ZN5aiter37dynamic_per_group_scaled_quant_kernelIDF16_DB8_Li32ELi128ELb1ELi64ELb1EEEvPT0_PfPKT_PKfliilPKii,@function
_ZN5aiter37dynamic_per_group_scaled_quant_kernelIDF16_DB8_Li32ELi128ELb1ELi64ELb1EEEvPT0_PfPKT_PKfliilPKii: ; @_ZN5aiter37dynamic_per_group_scaled_quant_kernelIDF16_DB8_Li32ELi128ELb1ELi64ELb1EEEvPT0_PfPKT_PKfliilPKii
; %bb.0:
	s_load_dwordx2 s[0:1], s[4:5], 0x38
	s_waitcnt lgkmcnt(0)
	s_cmp_eq_u64 s[0:1], 0
	s_cbranch_scc1 .LBB58_2
; %bb.1:
	s_load_dword s2, s[4:5], 0x40
	s_load_dword s3, s[0:1], 0x0
	s_waitcnt lgkmcnt(0)
	s_mul_hi_i32 s9, s3, s2
	s_mul_i32 s8, s3, s2
	s_branch .LBB58_3
.LBB58_2:
	s_load_dwordx2 s[8:9], s[4:5], 0x20
.LBB58_3:
	s_load_dwordx2 s[2:3], s[4:5], 0x28
	s_mov_b32 s7, 0
	s_lshl_b64 s[0:1], s[6:7], 6
	v_or_b32_e32 v2, s0, v0
	v_mov_b32_e32 v3, s1
	s_waitcnt lgkmcnt(0)
	s_ashr_i32 s0, s2, 31
	s_lshr_b32 s0, s0, 25
	s_add_i32 s0, s2, s0
	s_ashr_i32 s14, s0, 7
	s_add_i32 s2, s14, 7
	s_lshr_b32 s0, s2, 29
	s_add_i32 s2, s2, s0
	s_and_b32 s15, s2, -8
	v_lshrrev_b64 v[18:19], 2, v[2:3]
	s_ashr_i32 s0, s15, 31
	v_or_b32_e32 v5, s0, v19
	v_mov_b32_e32 v4, 0
	v_cmp_ne_u64_e32 vcc, 0, v[4:5]
                                        ; implicit-def: $vgpr20_vgpr21
	s_and_saveexec_b64 s[6:7], vcc
	s_xor_b64 s[6:7], exec, s[6:7]
	s_cbranch_execz .LBB58_5
; %bb.4:
	s_add_u32 s12, s15, s0
	s_mov_b32 s10, s0
	s_mov_b32 s11, s0
	s_addc_u32 s13, s0, s0
	s_xor_b64 s[12:13], s[12:13], s[10:11]
	v_cvt_f32_u32_e32 v1, s12
	v_cvt_f32_u32_e32 v2, s13
	s_sub_u32 s0, 0, s12
	s_subb_u32 s1, 0, s13
	v_madmk_f32 v1, v2, 0x4f800000, v1
	v_rcp_f32_e32 v1, v1
	v_mul_f32_e32 v1, 0x5f7ffffc, v1
	v_mul_f32_e32 v2, 0x2f800000, v1
	v_trunc_f32_e32 v2, v2
	v_madmk_f32 v1, v2, 0xcf800000, v1
	v_cvt_u32_f32_e32 v2, v2
	v_cvt_u32_f32_e32 v1, v1
	v_mul_lo_u32 v3, s0, v2
	v_mul_hi_u32 v5, s0, v1
	v_mul_lo_u32 v4, s1, v1
	v_add_u32_e32 v3, v5, v3
	v_mul_lo_u32 v6, s0, v1
	v_add_u32_e32 v3, v3, v4
	v_mul_lo_u32 v5, v1, v3
	v_mul_hi_u32 v7, v1, v6
	v_mul_hi_u32 v4, v1, v3
	v_add_co_u32_e32 v5, vcc, v7, v5
	v_addc_co_u32_e32 v4, vcc, 0, v4, vcc
	v_mul_hi_u32 v8, v2, v6
	v_mul_lo_u32 v6, v2, v6
	v_add_co_u32_e32 v5, vcc, v5, v6
	v_mul_hi_u32 v7, v2, v3
	v_addc_co_u32_e32 v4, vcc, v4, v8, vcc
	v_addc_co_u32_e32 v5, vcc, 0, v7, vcc
	v_mul_lo_u32 v3, v2, v3
	v_add_co_u32_e32 v3, vcc, v4, v3
	v_addc_co_u32_e32 v4, vcc, 0, v5, vcc
	v_add_co_u32_e32 v1, vcc, v1, v3
	v_addc_co_u32_e32 v2, vcc, v2, v4, vcc
	v_mul_lo_u32 v3, s0, v2
	v_mul_hi_u32 v4, s0, v1
	v_add_u32_e32 v3, v4, v3
	v_mul_lo_u32 v4, s1, v1
	v_add_u32_e32 v3, v3, v4
	v_mul_lo_u32 v5, s0, v1
	v_mul_hi_u32 v6, v2, v5
	v_mul_lo_u32 v7, v2, v5
	v_mul_lo_u32 v9, v1, v3
	v_mul_hi_u32 v5, v1, v5
	v_mul_hi_u32 v8, v1, v3
	v_add_co_u32_e32 v5, vcc, v5, v9
	v_addc_co_u32_e32 v8, vcc, 0, v8, vcc
	v_add_co_u32_e32 v5, vcc, v5, v7
	v_mul_hi_u32 v4, v2, v3
	v_addc_co_u32_e32 v5, vcc, v8, v6, vcc
	v_addc_co_u32_e32 v4, vcc, 0, v4, vcc
	v_mul_lo_u32 v3, v2, v3
	v_add_co_u32_e32 v3, vcc, v5, v3
	v_addc_co_u32_e32 v4, vcc, 0, v4, vcc
	v_add_co_u32_e32 v1, vcc, v1, v3
	v_addc_co_u32_e32 v4, vcc, v2, v4, vcc
	v_mad_u64_u32 v[2:3], s[0:1], v18, v4, 0
	v_mul_hi_u32 v5, v18, v1
	v_add_co_u32_e32 v6, vcc, v5, v2
	v_addc_co_u32_e32 v7, vcc, 0, v3, vcc
	v_mad_u64_u32 v[2:3], s[0:1], v19, v4, 0
	v_mad_u64_u32 v[4:5], s[0:1], v19, v1, 0
	v_add_co_u32_e32 v1, vcc, v6, v4
	v_addc_co_u32_e32 v1, vcc, v7, v5, vcc
	v_addc_co_u32_e32 v3, vcc, 0, v3, vcc
	v_add_co_u32_e32 v1, vcc, v1, v2
	v_addc_co_u32_e32 v4, vcc, 0, v3, vcc
	v_mul_lo_u32 v5, s13, v1
	v_mul_lo_u32 v6, s12, v4
	v_mad_u64_u32 v[2:3], s[0:1], s12, v1, 0
	v_add3_u32 v3, v3, v6, v5
	v_sub_u32_e32 v5, v19, v3
	v_mov_b32_e32 v6, s13
	v_sub_co_u32_e32 v2, vcc, v18, v2
	v_subb_co_u32_e64 v5, s[0:1], v5, v6, vcc
	v_subrev_co_u32_e64 v6, s[0:1], s12, v2
	v_subbrev_co_u32_e64 v5, s[0:1], 0, v5, s[0:1]
	v_cmp_le_u32_e64 s[0:1], s13, v5
	v_cndmask_b32_e64 v7, 0, -1, s[0:1]
	v_cmp_le_u32_e64 s[0:1], s12, v6
	v_cndmask_b32_e64 v6, 0, -1, s[0:1]
	v_cmp_eq_u32_e64 s[0:1], s13, v5
	v_cndmask_b32_e64 v5, v7, v6, s[0:1]
	v_add_co_u32_e64 v6, s[0:1], 2, v1
	v_addc_co_u32_e64 v7, s[0:1], 0, v4, s[0:1]
	v_add_co_u32_e64 v8, s[0:1], 1, v1
	v_addc_co_u32_e64 v9, s[0:1], 0, v4, s[0:1]
	v_subb_co_u32_e32 v3, vcc, v19, v3, vcc
	v_cmp_ne_u32_e64 s[0:1], 0, v5
	v_cmp_le_u32_e32 vcc, s13, v3
	v_cndmask_b32_e64 v5, v9, v7, s[0:1]
	v_cndmask_b32_e64 v7, 0, -1, vcc
	v_cmp_le_u32_e32 vcc, s12, v2
	v_cndmask_b32_e64 v2, 0, -1, vcc
	v_cmp_eq_u32_e32 vcc, s13, v3
	v_cndmask_b32_e32 v2, v7, v2, vcc
	v_cmp_ne_u32_e32 vcc, 0, v2
	v_cndmask_b32_e64 v3, v8, v6, s[0:1]
	v_cndmask_b32_e32 v1, v1, v3, vcc
	v_cndmask_b32_e32 v2, v4, v5, vcc
	v_xor_b32_e32 v1, s10, v1
	v_xor_b32_e32 v2, s11, v2
	v_mov_b32_e32 v3, s11
	v_subrev_co_u32_e32 v20, vcc, s10, v1
	v_subb_co_u32_e32 v21, vcc, v2, v3, vcc
                                        ; implicit-def: $vgpr2_vgpr3
.LBB58_5:
	s_andn2_saveexec_b64 s[0:1], s[6:7]
	s_cbranch_execz .LBB58_7
; %bb.6:
	v_cvt_f32_u32_e32 v1, s15
	s_sub_i32 s6, 0, s15
	v_alignbit_b32 v2, v3, v2, 2
	v_mov_b32_e32 v21, 0
	v_rcp_iflag_f32_e32 v1, v1
	v_mul_f32_e32 v1, 0x4f7ffffe, v1
	v_cvt_u32_f32_e32 v1, v1
	v_mul_lo_u32 v3, s6, v1
	v_mul_hi_u32 v3, v1, v3
	v_add_u32_e32 v1, v1, v3
	v_mul_hi_u32 v1, v2, v1
	v_mul_lo_u32 v3, v1, s15
	v_sub_u32_e32 v2, v2, v3
	v_add_u32_e32 v4, 1, v1
	v_subrev_u32_e32 v3, s15, v2
	v_cmp_le_u32_e32 vcc, s15, v2
	v_cndmask_b32_e32 v2, v2, v3, vcc
	v_cndmask_b32_e32 v1, v1, v4, vcc
	v_add_u32_e32 v3, 1, v1
	v_cmp_le_u32_e32 vcc, s15, v2
	v_cndmask_b32_e32 v20, v1, v3, vcc
.LBB58_7:
	s_or_b64 exec, exec, s[0:1]
	v_mad_u64_u32 v[2:3], s[0:1], v20, s15, 0
	v_sub_co_u32_e32 v1, vcc, v18, v2
	v_cmp_gt_i64_e32 vcc, s[8:9], v[20:21]
	v_cmp_gt_i32_e64 s[0:1], s14, v1
	s_and_b64 s[0:1], vcc, s[0:1]
	s_and_saveexec_b64 s[6:7], s[0:1]
	s_cbranch_execz .LBB58_11
; %bb.8:
	s_load_dwordx2 s[0:1], s[4:5], 0x10
	s_load_dwordx2 s[8:9], s[4:5], 0x0
	s_ashr_i32 s6, s3, 31
	v_mul_lo_u32 v4, v21, s3
	v_mul_lo_u32 v5, v20, s6
	v_mad_u64_u32 v[2:3], s[6:7], v20, s3, 0
	v_add3_u32 v3, v3, v5, v4
	v_lshlrev_b64 v[2:3], 1, v[2:3]
	v_lshlrev_b32_e32 v4, 7, v1
	v_mov_b32_e32 v5, 0
	s_waitcnt lgkmcnt(0)
	v_mov_b32_e32 v6, s1
	v_add_co_u32_e32 v7, vcc, s0, v2
	v_addc_co_u32_e32 v6, vcc, v6, v3, vcc
	v_lshlrev_b64 v[2:3], 1, v[4:5]
	v_add_co_u32_e32 v2, vcc, v7, v2
	v_and_b32_e32 v21, 3, v0
	v_addc_co_u32_e32 v3, vcc, v6, v3, vcc
	v_lshlrev_b32_e32 v4, 6, v21
	v_add_co_u32_e32 v22, vcc, v2, v4
	v_addc_co_u32_e32 v23, vcc, 0, v3, vcc
	global_load_dwordx4 v[14:17], v[22:23], off
	global_load_dwordx4 v[10:13], v[22:23], off offset:16
	global_load_dwordx4 v[6:9], v[22:23], off offset:32
	;; [unrolled: 1-line block ×3, first 2 shown]
	s_mov_b32 s0, 0x2edbe6ff
	s_movk_i32 s1, 0xff
	s_waitcnt vmcnt(3)
	v_cvt_f32_f16_e64 v19, |v14|
	v_cvt_f32_f16_sdwa v22, |v14| dst_sel:DWORD dst_unused:UNUSED_PAD src0_sel:WORD_1
	v_cvt_f32_f16_e64 v23, |v15|
	v_cvt_f32_f16_sdwa v24, |v15| dst_sel:DWORD dst_unused:UNUSED_PAD src0_sel:WORD_1
	;; [unrolled: 2-line block ×4, first 2 shown]
	s_waitcnt vmcnt(2)
	v_cvt_f32_f16_e64 v29, |v10|
	v_cvt_f32_f16_sdwa v30, |v10| dst_sel:DWORD dst_unused:UNUSED_PAD src0_sel:WORD_1
	v_max3_f32 v19, v19, s0, v22
	v_cvt_f32_f16_e64 v31, |v11|
	v_cvt_f32_f16_sdwa v32, |v11| dst_sel:DWORD dst_unused:UNUSED_PAD src0_sel:WORD_1
	v_max3_f32 v19, v19, v23, v24
	v_cvt_f32_f16_e64 v33, |v12|
	v_cvt_f32_f16_sdwa v34, |v12| dst_sel:DWORD dst_unused:UNUSED_PAD src0_sel:WORD_1
	v_max3_f32 v19, v19, v25, v26
	v_cvt_f32_f16_e64 v35, |v13|
	v_cvt_f32_f16_sdwa v36, |v13| dst_sel:DWORD dst_unused:UNUSED_PAD src0_sel:WORD_1
	v_max3_f32 v19, v19, v27, v28
	s_waitcnt vmcnt(1)
	v_cvt_f32_f16_e64 v37, |v6|
	v_cvt_f32_f16_sdwa v38, |v6| dst_sel:DWORD dst_unused:UNUSED_PAD src0_sel:WORD_1
	v_max3_f32 v19, v19, v29, v30
	v_cvt_f32_f16_e64 v39, |v7|
	v_cvt_f32_f16_sdwa v40, |v7| dst_sel:DWORD dst_unused:UNUSED_PAD src0_sel:WORD_1
	v_max3_f32 v19, v19, v31, v32
	v_cvt_f32_f16_e64 v41, |v8|
	v_cvt_f32_f16_sdwa v42, |v8| dst_sel:DWORD dst_unused:UNUSED_PAD src0_sel:WORD_1
	v_max3_f32 v19, v19, v33, v34
	v_cvt_f32_f16_e64 v43, |v9|
	v_cvt_f32_f16_sdwa v44, |v9| dst_sel:DWORD dst_unused:UNUSED_PAD src0_sel:WORD_1
	v_max3_f32 v19, v19, v35, v36
	;; [unrolled: 13-line block ×3, first 2 shown]
	v_max3_f32 v19, v19, v45, v46
	v_max3_f32 v19, v19, v47, v48
	v_max3_f32 v19, v19, v49, v50
	v_max3_f32 v19, v19, v51, v52
	s_nop 1
	v_mov_b32_dpp v22, v19 quad_perm:[1,0,3,2] row_mask:0xf bank_mask:0xf
	v_cmp_gt_f32_e32 vcc, v19, v22
	v_cndmask_b32_e32 v19, v22, v19, vcc
	s_nop 1
	v_mov_b32_dpp v22, v19 quad_perm:[2,3,0,1] row_mask:0xf bank_mask:0xf
	v_cmp_gt_f32_e32 vcc, v19, v22
	v_cndmask_b32_e32 v19, v22, v19, vcc
	v_mul_f32_e32 v19, 0x3b124925, v19
	v_bfe_u32 v22, v19, 23, 8
	v_and_b32_e32 v19, 0x7fffff, v19
	v_cmp_ne_u32_e32 vcc, s1, v22
	v_cmp_ne_u32_e64 s[0:1], 0, v19
	s_and_b64 vcc, s[0:1], vcc
	v_addc_co_u32_e32 v19, vcc, 0, v22, vcc
	v_cmp_eq_u32_e32 vcc, 0, v21
	s_and_saveexec_b64 s[0:1], vcc
	s_cbranch_execz .LBB58_10
; %bb.9:
	v_ashrrev_i32_e32 v21, 31, v20
	v_lshrrev_b32_e32 v22, 27, v21
	v_lshrrev_b32_e32 v21, 28, v21
	v_add_u32_e32 v22, v20, v22
	v_add_u32_e32 v21, v20, v21
	v_lshrrev_b32_e32 v23, 5, v22
	v_and_b32_e32 v21, 0x3ffffff0, v21
	v_and_b32_e32 v22, 0xffe0, v22
	v_sub_u32_e32 v21, v20, v21
	v_sub_u32_e32 v20, v20, v22
	v_mov_b32_e32 v22, 11
	v_lshrrev_b16_sdwa v22, v22, sext(v20) dst_sel:DWORD dst_unused:UNUSED_PAD src0_sel:DWORD src1_sel:BYTE_0
	v_and_b32_e32 v22, 15, v22
	s_load_dwordx2 s[6:7], s[4:5], 0x8
	v_add_u16_e32 v20, v20, v22
	v_mov_b32_e32 v22, 4
	s_ashr_i32 s2, s2, 3
	v_lshlrev_b32_e32 v25, 6, v1
	v_ashrrev_i16_sdwa v20, v22, sext(v20) dst_sel:DWORD dst_unused:UNUSED_PAD src0_sel:DWORD src1_sel:BYTE_0
	v_mul_lo_u32 v23, v23, s2
	v_lshrrev_b32_e32 v24, 3, v1
	v_and_b32_e32 v25, 0xc0, v25
	v_lshlrev_b32_e32 v21, 2, v21
	v_lshrrev_b32_e32 v1, 1, v1
	v_bfe_i32 v20, v20, 0, 16
	v_and_b32_e32 v1, 2, v1
	v_add_lshl_u32 v22, v24, v23, 8
	v_add3_u32 v20, v25, v21, v20
	v_add3_u32 v1, v20, v22, v1
	v_ashrrev_i32_e32 v21, 31, v1
	s_waitcnt lgkmcnt(0)
	v_mov_b32_e32 v22, s7
	v_add_co_u32_e32 v20, vcc, s6, v1
	v_addc_co_u32_e32 v21, vcc, v22, v21, vcc
	global_store_byte v[20:21], v19, off
.LBB58_10:
	s_or_b64 exec, exec, s[0:1]
	v_lshlrev_b32_e32 v1, 23, v19
	v_div_scale_f32 v19, s[0:1], v1, v1, 1.0
	v_rcp_f32_e32 v20, v19
	v_lshlrev_b32_e32 v21, 7, v18
	v_lshlrev_b32_e32 v0, 5, v0
	s_movk_i32 s0, 0x60
	v_fma_f32 v18, -v19, v20, 1.0
	v_fmac_f32_e32 v20, v18, v20
	v_div_scale_f32 v18, vcc, 1.0, v1, 1.0
	v_mul_f32_e32 v22, v18, v20
	v_fma_f32 v23, -v19, v22, v18
	v_fmac_f32_e32 v22, v23, v20
	v_fma_f32 v18, -v19, v22, v18
	v_div_fmas_f32 v18, v18, v20, v22
	v_div_fixup_f32 v18, v18, v1, 1.0
	v_and_or_b32 v30, v0, s0, v21
	v_cvt_f32_f16_e32 v0, v14
	v_cvt_f32_f16_sdwa v1, v14 dst_sel:DWORD dst_unused:UNUSED_PAD src0_sel:WORD_1
	v_mov_b32_e32 v19, v18
	;;#ASMSTART
	v_pk_mul_f32 v[0:1], v[0:1], v[18:19]
	;;#ASMEND
	v_cvt_f32_f16_e32 v22, v10
	v_cvt_f32_f16_sdwa v23, v10 dst_sel:DWORD dst_unused:UNUSED_PAD src0_sel:WORD_1
	v_mov_b32_e32 v31, 0xc3e00000
	v_mov_b32_e32 v32, 0x43e00000
	;;#ASMSTART
	v_med3_f32 v0, v0, v31, v32
v_med3_f32 v1, v1, v31, v32
v_cvt_pk_fp8_f32 v10, v0, v1
	;;#ASMEND
	v_cvt_f32_f16_e32 v14, v15
	v_cvt_f32_f16_sdwa v15, v15 dst_sel:DWORD dst_unused:UNUSED_PAD src0_sel:WORD_1
	;;#ASMSTART
	v_pk_mul_f32 v[0:1], v[14:15], v[18:19]
	;;#ASMEND
	v_cvt_f32_f16_e32 v24, v11
	v_cvt_f32_f16_sdwa v25, v11 dst_sel:DWORD dst_unused:UNUSED_PAD src0_sel:WORD_1
	;;#ASMSTART
	v_med3_f32 v0, v0, v31, v32
v_med3_f32 v1, v1, v31, v32
v_cvt_pk_fp8_f32 v11, v0, v1
	;;#ASMEND
	s_mov_b32 s0, 0x5040100
	v_perm_b32 v0, v11, v10, s0
	s_mov_b32 s1, 0x1060504
	v_cvt_f32_f16_e32 v20, v16
	v_cvt_f32_f16_sdwa v21, v16 dst_sel:DWORD dst_unused:UNUSED_PAD src0_sel:WORD_1
	v_perm_b32 v10, v0, v11, s1
	;;#ASMSTART
	v_pk_mul_f32 v[0:1], v[20:21], v[18:19]
	;;#ASMEND
	;;#ASMSTART
	v_med3_f32 v0, v0, v31, v32
v_med3_f32 v1, v1, v31, v32
v_cvt_pk_fp8_f32 v11, v0, v1
	;;#ASMEND
	v_cvt_f32_f16_e32 v16, v17
	v_cvt_f32_f16_sdwa v17, v17 dst_sel:DWORD dst_unused:UNUSED_PAD src0_sel:WORD_1
	;;#ASMSTART
	v_pk_mul_f32 v[0:1], v[16:17], v[18:19]
	;;#ASMEND
	v_cvt_f32_f16_e32 v26, v12
	v_cvt_f32_f16_sdwa v27, v12 dst_sel:DWORD dst_unused:UNUSED_PAD src0_sel:WORD_1
	;;#ASMSTART
	v_med3_f32 v0, v0, v31, v32
v_med3_f32 v1, v1, v31, v32
v_cvt_pk_fp8_f32 v12, v0, v1
	;;#ASMEND
	s_mov_b32 s2, 0x1000504
	;;#ASMSTART
	v_pk_mul_f32 v[0:1], v[22:23], v[18:19]
	;;#ASMEND
	v_perm_b32 v11, v11, v12, s2
	;;#ASMSTART
	v_med3_f32 v0, v0, v31, v32
v_med3_f32 v1, v1, v31, v32
v_cvt_pk_fp8_f32 v12, v0, v1
	;;#ASMEND
	;;#ASMSTART
	v_pk_mul_f32 v[0:1], v[24:25], v[18:19]
	;;#ASMEND
	v_cvt_f32_f16_e32 v28, v13
	v_cvt_f32_f16_sdwa v29, v13 dst_sel:DWORD dst_unused:UNUSED_PAD src0_sel:WORD_1
	;;#ASMSTART
	v_med3_f32 v0, v0, v31, v32
v_med3_f32 v1, v1, v31, v32
v_cvt_pk_fp8_f32 v13, v0, v1
	;;#ASMEND
	s_load_dword s10, s[4:5], 0x30
	;;#ASMSTART
	v_pk_mul_f32 v[0:1], v[26:27], v[18:19]
	;;#ASMEND
	v_perm_b32 v12, v12, v13, s2
	;;#ASMSTART
	v_med3_f32 v0, v0, v31, v32
v_med3_f32 v1, v1, v31, v32
v_cvt_pk_fp8_f32 v13, v0, v1
	;;#ASMEND
	;;#ASMSTART
	v_pk_mul_f32 v[0:1], v[28:29], v[18:19]
	;;#ASMEND
	;;#ASMSTART
	v_med3_f32 v0, v0, v31, v32
v_med3_f32 v1, v1, v31, v32
v_cvt_pk_fp8_f32 v14, v0, v1
	;;#ASMEND
	s_and_b32 s9, s9, 0xffff
	s_mov_b32 s11, 0x20000
	v_perm_b32 v13, v13, v14, s2
	v_cvt_f32_f16_e32 v0, v6
	v_cvt_f32_f16_sdwa v1, v6 dst_sel:DWORD dst_unused:UNUSED_PAD src0_sel:WORD_1
	s_waitcnt lgkmcnt(0)
	buffer_store_dwordx4 v[10:13], v30, s[8:11], 0 offen
	;;#ASMSTART
	s_nop 0
	;;#ASMEND
	;;#ASMSTART
	v_pk_mul_f32 v[0:1], v[0:1], v[18:19]
	;;#ASMEND
	;;#ASMSTART
	v_med3_f32 v0, v0, v31, v32
v_med3_f32 v1, v1, v31, v32
v_cvt_pk_fp8_f32 v16, v0, v1
	;;#ASMEND
	v_cvt_f32_f16_e32 v6, v7
	v_cvt_f32_f16_sdwa v7, v7 dst_sel:DWORD dst_unused:UNUSED_PAD src0_sel:WORD_1
	;;#ASMSTART
	v_pk_mul_f32 v[0:1], v[6:7], v[18:19]
	;;#ASMEND
	;;#ASMSTART
	v_med3_f32 v0, v0, v31, v32
v_med3_f32 v1, v1, v31, v32
v_cvt_pk_fp8_f32 v6, v0, v1
	;;#ASMEND
	v_perm_b32 v0, v6, v16, s0
	v_cvt_f32_f16_e32 v10, v8
	v_cvt_f32_f16_sdwa v11, v8 dst_sel:DWORD dst_unused:UNUSED_PAD src0_sel:WORD_1
	v_perm_b32 v0, v0, v6, s1
	;;#ASMSTART
	v_pk_mul_f32 v[6:7], v[10:11], v[18:19]
	;;#ASMEND
	v_mov_b32_e32 v1, v7
	;;#ASMSTART
	v_med3_f32 v6, v6, v31, v32
v_med3_f32 v1, v1, v31, v32
v_cvt_pk_fp8_f32 v10, v6, v1
	;;#ASMEND
	v_cvt_f32_f16_e32 v8, v9
	v_cvt_f32_f16_sdwa v9, v9 dst_sel:DWORD dst_unused:UNUSED_PAD src0_sel:WORD_1
	;;#ASMSTART
	v_pk_mul_f32 v[6:7], v[8:9], v[18:19]
	;;#ASMEND
	v_mov_b32_e32 v1, v7
	;;#ASMSTART
	v_med3_f32 v6, v6, v31, v32
v_med3_f32 v1, v1, v31, v32
v_cvt_pk_fp8_f32 v7, v6, v1
	;;#ASMEND
	v_cvt_f32_f16_e32 v12, v2
	v_cvt_f32_f16_sdwa v13, v2 dst_sel:DWORD dst_unused:UNUSED_PAD src0_sel:WORD_1
	v_cvt_f32_f16_e32 v2, v3
	v_cvt_f32_f16_sdwa v3, v3 dst_sel:DWORD dst_unused:UNUSED_PAD src0_sel:WORD_1
	v_perm_b32 v1, v10, v7, s2
	;;#ASMSTART
	v_pk_mul_f32 v[6:7], v[12:13], v[18:19]
	;;#ASMEND
	;;#ASMSTART
	v_med3_f32 v6, v6, v31, v32
v_med3_f32 v7, v7, v31, v32
v_cvt_pk_fp8_f32 v8, v6, v7
	;;#ASMEND
	;;#ASMSTART
	v_pk_mul_f32 v[2:3], v[2:3], v[18:19]
	;;#ASMEND
	;;#ASMSTART
	v_med3_f32 v2, v2, v31, v32
v_med3_f32 v3, v3, v31, v32
v_cvt_pk_fp8_f32 v6, v2, v3
	;;#ASMEND
	v_cvt_f32_f16_e32 v14, v4
	v_cvt_f32_f16_sdwa v15, v4 dst_sel:DWORD dst_unused:UNUSED_PAD src0_sel:WORD_1
	v_perm_b32 v2, v8, v6, s2
	;;#ASMSTART
	v_pk_mul_f32 v[6:7], v[14:15], v[18:19]
	;;#ASMEND
	v_mov_b32_e32 v3, v7
	v_cvt_f32_f16_e32 v4, v5
	v_cvt_f32_f16_sdwa v5, v5 dst_sel:DWORD dst_unused:UNUSED_PAD src0_sel:WORD_1
	;;#ASMSTART
	v_med3_f32 v6, v6, v31, v32
v_med3_f32 v3, v3, v31, v32
v_cvt_pk_fp8_f32 v7, v6, v3
	;;#ASMEND
	;;#ASMSTART
	v_pk_mul_f32 v[4:5], v[4:5], v[18:19]
	;;#ASMEND
	v_mov_b32_e32 v3, v5
	;;#ASMSTART
	v_med3_f32 v4, v4, v31, v32
v_med3_f32 v3, v3, v31, v32
v_cvt_pk_fp8_f32 v5, v4, v3
	;;#ASMEND
	v_perm_b32 v3, v7, v5, s2
	buffer_store_dwordx4 v[0:3], v30, s[8:11], 16 offen
	;;#ASMSTART
	s_nop 0
	;;#ASMEND
.LBB58_11:
	s_endpgm
	.section	.rodata,"a",@progbits
	.p2align	6, 0x0
	.amdhsa_kernel _ZN5aiter37dynamic_per_group_scaled_quant_kernelIDF16_DB8_Li32ELi128ELb1ELi64ELb1EEEvPT0_PfPKT_PKfliilPKii
		.amdhsa_group_segment_fixed_size 0
		.amdhsa_private_segment_fixed_size 0
		.amdhsa_kernarg_size 68
		.amdhsa_user_sgpr_count 6
		.amdhsa_user_sgpr_private_segment_buffer 1
		.amdhsa_user_sgpr_dispatch_ptr 0
		.amdhsa_user_sgpr_queue_ptr 0
		.amdhsa_user_sgpr_kernarg_segment_ptr 1
		.amdhsa_user_sgpr_dispatch_id 0
		.amdhsa_user_sgpr_flat_scratch_init 0
		.amdhsa_user_sgpr_kernarg_preload_length 0
		.amdhsa_user_sgpr_kernarg_preload_offset 0
		.amdhsa_user_sgpr_private_segment_size 0
		.amdhsa_uses_dynamic_stack 0
		.amdhsa_system_sgpr_private_segment_wavefront_offset 0
		.amdhsa_system_sgpr_workgroup_id_x 1
		.amdhsa_system_sgpr_workgroup_id_y 0
		.amdhsa_system_sgpr_workgroup_id_z 0
		.amdhsa_system_sgpr_workgroup_info 0
		.amdhsa_system_vgpr_workitem_id 0
		.amdhsa_next_free_vgpr 53
		.amdhsa_next_free_sgpr 16
		.amdhsa_accum_offset 56
		.amdhsa_reserve_vcc 1
		.amdhsa_reserve_flat_scratch 0
		.amdhsa_float_round_mode_32 0
		.amdhsa_float_round_mode_16_64 0
		.amdhsa_float_denorm_mode_32 3
		.amdhsa_float_denorm_mode_16_64 3
		.amdhsa_dx10_clamp 1
		.amdhsa_ieee_mode 1
		.amdhsa_fp16_overflow 0
		.amdhsa_tg_split 0
		.amdhsa_exception_fp_ieee_invalid_op 0
		.amdhsa_exception_fp_denorm_src 0
		.amdhsa_exception_fp_ieee_div_zero 0
		.amdhsa_exception_fp_ieee_overflow 0
		.amdhsa_exception_fp_ieee_underflow 0
		.amdhsa_exception_fp_ieee_inexact 0
		.amdhsa_exception_int_div_zero 0
	.end_amdhsa_kernel
	.section	.text._ZN5aiter37dynamic_per_group_scaled_quant_kernelIDF16_DB8_Li32ELi128ELb1ELi64ELb1EEEvPT0_PfPKT_PKfliilPKii,"axG",@progbits,_ZN5aiter37dynamic_per_group_scaled_quant_kernelIDF16_DB8_Li32ELi128ELb1ELi64ELb1EEEvPT0_PfPKT_PKfliilPKii,comdat
.Lfunc_end58:
	.size	_ZN5aiter37dynamic_per_group_scaled_quant_kernelIDF16_DB8_Li32ELi128ELb1ELi64ELb1EEEvPT0_PfPKT_PKfliilPKii, .Lfunc_end58-_ZN5aiter37dynamic_per_group_scaled_quant_kernelIDF16_DB8_Li32ELi128ELb1ELi64ELb1EEEvPT0_PfPKT_PKfliilPKii
                                        ; -- End function
	.section	.AMDGPU.csdata,"",@progbits
; Kernel info:
; codeLenInByte = 2820
; NumSgprs: 20
; NumVgprs: 53
; NumAgprs: 0
; TotalNumVgprs: 53
; ScratchSize: 0
; MemoryBound: 0
; FloatMode: 240
; IeeeMode: 1
; LDSByteSize: 0 bytes/workgroup (compile time only)
; SGPRBlocks: 2
; VGPRBlocks: 6
; NumSGPRsForWavesPerEU: 20
; NumVGPRsForWavesPerEU: 53
; AccumOffset: 56
; Occupancy: 8
; WaveLimiterHint : 0
; COMPUTE_PGM_RSRC2:SCRATCH_EN: 0
; COMPUTE_PGM_RSRC2:USER_SGPR: 6
; COMPUTE_PGM_RSRC2:TRAP_HANDLER: 0
; COMPUTE_PGM_RSRC2:TGID_X_EN: 1
; COMPUTE_PGM_RSRC2:TGID_Y_EN: 0
; COMPUTE_PGM_RSRC2:TGID_Z_EN: 0
; COMPUTE_PGM_RSRC2:TIDIG_COMP_CNT: 0
; COMPUTE_PGM_RSRC3_GFX90A:ACCUM_OFFSET: 13
; COMPUTE_PGM_RSRC3_GFX90A:TG_SPLIT: 0
	.section	.text._ZN5aiter37dynamic_per_group_scaled_quant_kernelItDB8_Li32ELi128ELb1ELi64ELb1EEEvPT0_PfPKT_PKfliilPKii,"axG",@progbits,_ZN5aiter37dynamic_per_group_scaled_quant_kernelItDB8_Li32ELi128ELb1ELi64ELb1EEEvPT0_PfPKT_PKfliilPKii,comdat
	.protected	_ZN5aiter37dynamic_per_group_scaled_quant_kernelItDB8_Li32ELi128ELb1ELi64ELb1EEEvPT0_PfPKT_PKfliilPKii ; -- Begin function _ZN5aiter37dynamic_per_group_scaled_quant_kernelItDB8_Li32ELi128ELb1ELi64ELb1EEEvPT0_PfPKT_PKfliilPKii
	.globl	_ZN5aiter37dynamic_per_group_scaled_quant_kernelItDB8_Li32ELi128ELb1ELi64ELb1EEEvPT0_PfPKT_PKfliilPKii
	.p2align	8
	.type	_ZN5aiter37dynamic_per_group_scaled_quant_kernelItDB8_Li32ELi128ELb1ELi64ELb1EEEvPT0_PfPKT_PKfliilPKii,@function
_ZN5aiter37dynamic_per_group_scaled_quant_kernelItDB8_Li32ELi128ELb1ELi64ELb1EEEvPT0_PfPKT_PKfliilPKii: ; @_ZN5aiter37dynamic_per_group_scaled_quant_kernelItDB8_Li32ELi128ELb1ELi64ELb1EEEvPT0_PfPKT_PKfliilPKii
; %bb.0:
	s_load_dwordx2 s[0:1], s[4:5], 0x38
	s_waitcnt lgkmcnt(0)
	s_cmp_eq_u64 s[0:1], 0
	s_cbranch_scc1 .LBB59_2
; %bb.1:
	s_load_dword s2, s[4:5], 0x40
	s_load_dword s3, s[0:1], 0x0
	s_waitcnt lgkmcnt(0)
	s_mul_hi_i32 s9, s3, s2
	s_mul_i32 s8, s3, s2
	s_branch .LBB59_3
.LBB59_2:
	s_load_dwordx2 s[8:9], s[4:5], 0x20
.LBB59_3:
	s_load_dwordx2 s[2:3], s[4:5], 0x28
	s_mov_b32 s7, 0
	s_lshl_b64 s[0:1], s[6:7], 6
	v_or_b32_e32 v6, s0, v0
	v_mov_b32_e32 v7, s1
	s_waitcnt lgkmcnt(0)
	s_ashr_i32 s0, s2, 31
	s_lshr_b32 s0, s0, 25
	s_add_i32 s0, s2, s0
	s_ashr_i32 s14, s0, 7
	s_add_i32 s2, s14, 7
	s_lshr_b32 s0, s2, 29
	s_add_i32 s2, s2, s0
	s_and_b32 s15, s2, -8
	v_lshrrev_b64 v[2:3], 2, v[6:7]
	s_ashr_i32 s0, s15, 31
	v_or_b32_e32 v5, s0, v3
	v_mov_b32_e32 v4, 0
	v_cmp_ne_u64_e32 vcc, 0, v[4:5]
                                        ; implicit-def: $vgpr4_vgpr5
	s_and_saveexec_b64 s[6:7], vcc
	s_xor_b64 s[6:7], exec, s[6:7]
	s_cbranch_execz .LBB59_5
; %bb.4:
	s_add_u32 s12, s15, s0
	s_mov_b32 s10, s0
	s_mov_b32 s11, s0
	s_addc_u32 s13, s0, s0
	s_xor_b64 s[12:13], s[12:13], s[10:11]
	v_cvt_f32_u32_e32 v1, s12
	v_cvt_f32_u32_e32 v4, s13
	s_sub_u32 s0, 0, s12
	s_subb_u32 s1, 0, s13
	v_madmk_f32 v1, v4, 0x4f800000, v1
	v_rcp_f32_e32 v1, v1
	v_mul_f32_e32 v1, 0x5f7ffffc, v1
	v_mul_f32_e32 v4, 0x2f800000, v1
	v_trunc_f32_e32 v4, v4
	v_madmk_f32 v1, v4, 0xcf800000, v1
	v_cvt_u32_f32_e32 v4, v4
	v_cvt_u32_f32_e32 v1, v1
	v_mul_lo_u32 v5, s0, v4
	v_mul_hi_u32 v7, s0, v1
	v_mul_lo_u32 v6, s1, v1
	v_add_u32_e32 v5, v7, v5
	v_mul_lo_u32 v8, s0, v1
	v_add_u32_e32 v5, v5, v6
	v_mul_lo_u32 v7, v1, v5
	v_mul_hi_u32 v9, v1, v8
	v_mul_hi_u32 v6, v1, v5
	v_add_co_u32_e32 v7, vcc, v9, v7
	v_addc_co_u32_e32 v6, vcc, 0, v6, vcc
	v_mul_hi_u32 v10, v4, v8
	v_mul_lo_u32 v8, v4, v8
	v_add_co_u32_e32 v7, vcc, v7, v8
	v_mul_hi_u32 v9, v4, v5
	v_addc_co_u32_e32 v6, vcc, v6, v10, vcc
	v_addc_co_u32_e32 v7, vcc, 0, v9, vcc
	v_mul_lo_u32 v5, v4, v5
	v_add_co_u32_e32 v5, vcc, v6, v5
	v_addc_co_u32_e32 v6, vcc, 0, v7, vcc
	v_add_co_u32_e32 v1, vcc, v1, v5
	v_addc_co_u32_e32 v4, vcc, v4, v6, vcc
	v_mul_lo_u32 v5, s0, v4
	v_mul_hi_u32 v6, s0, v1
	v_add_u32_e32 v5, v6, v5
	v_mul_lo_u32 v6, s1, v1
	v_add_u32_e32 v5, v5, v6
	v_mul_lo_u32 v7, s0, v1
	v_mul_hi_u32 v8, v4, v7
	v_mul_lo_u32 v9, v4, v7
	v_mul_lo_u32 v11, v1, v5
	v_mul_hi_u32 v7, v1, v7
	v_mul_hi_u32 v10, v1, v5
	v_add_co_u32_e32 v7, vcc, v7, v11
	v_addc_co_u32_e32 v10, vcc, 0, v10, vcc
	v_add_co_u32_e32 v7, vcc, v7, v9
	v_mul_hi_u32 v6, v4, v5
	v_addc_co_u32_e32 v7, vcc, v10, v8, vcc
	v_addc_co_u32_e32 v6, vcc, 0, v6, vcc
	v_mul_lo_u32 v5, v4, v5
	v_add_co_u32_e32 v5, vcc, v7, v5
	v_addc_co_u32_e32 v6, vcc, 0, v6, vcc
	v_add_co_u32_e32 v1, vcc, v1, v5
	v_addc_co_u32_e32 v6, vcc, v4, v6, vcc
	v_mad_u64_u32 v[4:5], s[0:1], v2, v6, 0
	v_mul_hi_u32 v7, v2, v1
	v_add_co_u32_e32 v8, vcc, v7, v4
	v_addc_co_u32_e32 v9, vcc, 0, v5, vcc
	v_mad_u64_u32 v[4:5], s[0:1], v3, v6, 0
	v_mad_u64_u32 v[6:7], s[0:1], v3, v1, 0
	v_add_co_u32_e32 v1, vcc, v8, v6
	v_addc_co_u32_e32 v1, vcc, v9, v7, vcc
	v_addc_co_u32_e32 v5, vcc, 0, v5, vcc
	v_add_co_u32_e32 v1, vcc, v1, v4
	v_addc_co_u32_e32 v6, vcc, 0, v5, vcc
	v_mul_lo_u32 v7, s13, v1
	v_mul_lo_u32 v8, s12, v6
	v_mad_u64_u32 v[4:5], s[0:1], s12, v1, 0
	v_add3_u32 v5, v5, v8, v7
	v_sub_u32_e32 v7, v3, v5
	v_mov_b32_e32 v8, s13
	v_sub_co_u32_e32 v4, vcc, v2, v4
	v_subb_co_u32_e64 v7, s[0:1], v7, v8, vcc
	v_subrev_co_u32_e64 v8, s[0:1], s12, v4
	v_subbrev_co_u32_e64 v7, s[0:1], 0, v7, s[0:1]
	v_cmp_le_u32_e64 s[0:1], s13, v7
	v_cndmask_b32_e64 v9, 0, -1, s[0:1]
	v_cmp_le_u32_e64 s[0:1], s12, v8
	v_cndmask_b32_e64 v8, 0, -1, s[0:1]
	v_cmp_eq_u32_e64 s[0:1], s13, v7
	v_cndmask_b32_e64 v7, v9, v8, s[0:1]
	v_add_co_u32_e64 v8, s[0:1], 2, v1
	v_subb_co_u32_e32 v3, vcc, v3, v5, vcc
	v_addc_co_u32_e64 v9, s[0:1], 0, v6, s[0:1]
	v_cmp_le_u32_e32 vcc, s13, v3
	v_add_co_u32_e64 v10, s[0:1], 1, v1
	v_cndmask_b32_e64 v5, 0, -1, vcc
	v_cmp_le_u32_e32 vcc, s12, v4
	v_addc_co_u32_e64 v11, s[0:1], 0, v6, s[0:1]
	v_cndmask_b32_e64 v4, 0, -1, vcc
	v_cmp_eq_u32_e32 vcc, s13, v3
	v_cmp_ne_u32_e64 s[0:1], 0, v7
	v_cndmask_b32_e32 v3, v5, v4, vcc
	v_cmp_ne_u32_e32 vcc, 0, v3
	v_cndmask_b32_e64 v4, v10, v8, s[0:1]
	v_cndmask_b32_e64 v7, v11, v9, s[0:1]
	v_cndmask_b32_e32 v1, v1, v4, vcc
	v_cndmask_b32_e32 v3, v6, v7, vcc
	v_xor_b32_e32 v1, s10, v1
	v_xor_b32_e32 v3, s11, v3
	v_mov_b32_e32 v5, s11
	v_subrev_co_u32_e32 v4, vcc, s10, v1
	v_subb_co_u32_e32 v5, vcc, v3, v5, vcc
                                        ; implicit-def: $vgpr6_vgpr7
.LBB59_5:
	s_andn2_saveexec_b64 s[0:1], s[6:7]
	s_cbranch_execz .LBB59_7
; %bb.6:
	v_cvt_f32_u32_e32 v1, s15
	s_sub_i32 s6, 0, s15
	v_alignbit_b32 v3, v7, v6, 2
	v_rcp_iflag_f32_e32 v1, v1
	v_mul_f32_e32 v1, 0x4f7ffffe, v1
	v_cvt_u32_f32_e32 v1, v1
	v_mul_lo_u32 v4, s6, v1
	v_mul_hi_u32 v4, v1, v4
	v_add_u32_e32 v1, v1, v4
	v_mul_hi_u32 v1, v3, v1
	v_mul_lo_u32 v4, v1, s15
	v_sub_u32_e32 v3, v3, v4
	v_add_u32_e32 v5, 1, v1
	v_subrev_u32_e32 v4, s15, v3
	v_cmp_le_u32_e32 vcc, s15, v3
	v_cndmask_b32_e32 v3, v3, v4, vcc
	v_cndmask_b32_e32 v1, v1, v5, vcc
	v_add_u32_e32 v4, 1, v1
	v_cmp_le_u32_e32 vcc, s15, v3
	v_cndmask_b32_e32 v4, v1, v4, vcc
	v_mov_b32_e32 v5, 0
.LBB59_7:
	s_or_b64 exec, exec, s[0:1]
	v_mad_u64_u32 v[6:7], s[0:1], v4, s15, 0
	v_sub_co_u32_e32 v1, vcc, v2, v6
	v_cmp_gt_i64_e32 vcc, s[8:9], v[4:5]
	v_cmp_gt_i32_e64 s[0:1], s14, v1
	s_and_b64 s[0:1], vcc, s[0:1]
	s_and_saveexec_b64 s[6:7], s[0:1]
	s_cbranch_execz .LBB59_11
; %bb.8:
	s_load_dwordx2 s[0:1], s[4:5], 0x10
	s_load_dwordx2 s[8:9], s[4:5], 0x0
	s_ashr_i32 s6, s3, 31
	v_mul_lo_u32 v3, v5, s3
	v_mul_lo_u32 v5, v4, s6
	v_mad_u64_u32 v[6:7], s[6:7], v4, s3, 0
	v_add3_u32 v7, v7, v5, v3
	v_lshlrev_b64 v[6:7], 1, v[6:7]
	v_lshlrev_b32_e32 v8, 7, v1
	v_mov_b32_e32 v9, 0
	s_waitcnt lgkmcnt(0)
	v_mov_b32_e32 v3, s1
	v_add_co_u32_e32 v5, vcc, s0, v6
	v_addc_co_u32_e32 v3, vcc, v3, v7, vcc
	v_lshlrev_b64 v[6:7], 1, v[8:9]
	v_add_co_u32_e32 v5, vcc, v5, v6
	v_and_b32_e32 v46, 3, v0
	v_addc_co_u32_e32 v3, vcc, v3, v7, vcc
	v_lshlrev_b32_e32 v6, 6, v46
	v_add_co_u32_e32 v14, vcc, v5, v6
	v_addc_co_u32_e32 v15, vcc, 0, v3, vcc
	global_load_dwordx4 v[6:9], v[14:15], off
	global_load_dwordx4 v[10:13], v[14:15], off offset:16
	global_load_dwordx4 v[38:41], v[14:15], off offset:32
	;; [unrolled: 1-line block ×3, first 2 shown]
	s_mov_b32 s0, 0x2edbe6ff
	s_movk_i32 s1, 0xff
	s_waitcnt vmcnt(3)
	v_cvt_f32_u32_sdwa v37, v6 dst_sel:DWORD dst_unused:UNUSED_PAD src0_sel:WORD_1
	v_cvt_f32_u32_sdwa v36, v6 dst_sel:DWORD dst_unused:UNUSED_PAD src0_sel:WORD_0
	v_cvt_f32_u32_sdwa v35, v7 dst_sel:DWORD dst_unused:UNUSED_PAD src0_sel:WORD_1
	v_cvt_f32_u32_sdwa v34, v7 dst_sel:DWORD dst_unused:UNUSED_PAD src0_sel:WORD_0
	;; [unrolled: 2-line block ×4, first 2 shown]
	s_waitcnt vmcnt(2)
	v_cvt_f32_u32_sdwa v29, v10 dst_sel:DWORD dst_unused:UNUSED_PAD src0_sel:WORD_1
	v_cvt_f32_u32_sdwa v28, v10 dst_sel:DWORD dst_unused:UNUSED_PAD src0_sel:WORD_0
	v_max3_f32 v3, v36, s0, v37
	v_cvt_f32_u32_sdwa v27, v11 dst_sel:DWORD dst_unused:UNUSED_PAD src0_sel:WORD_1
	v_cvt_f32_u32_sdwa v26, v11 dst_sel:DWORD dst_unused:UNUSED_PAD src0_sel:WORD_0
	v_max3_f32 v3, v3, v34, v35
	v_cvt_f32_u32_sdwa v25, v12 dst_sel:DWORD dst_unused:UNUSED_PAD src0_sel:WORD_1
	v_cvt_f32_u32_sdwa v24, v12 dst_sel:DWORD dst_unused:UNUSED_PAD src0_sel:WORD_0
	v_max3_f32 v3, v3, v32, v33
	v_cvt_f32_u32_sdwa v23, v13 dst_sel:DWORD dst_unused:UNUSED_PAD src0_sel:WORD_1
	v_cvt_f32_u32_sdwa v22, v13 dst_sel:DWORD dst_unused:UNUSED_PAD src0_sel:WORD_0
	v_max3_f32 v3, v3, v30, v31
	s_waitcnt vmcnt(1)
	v_cvt_f32_u32_sdwa v21, v38 dst_sel:DWORD dst_unused:UNUSED_PAD src0_sel:WORD_1
	v_cvt_f32_u32_sdwa v20, v38 dst_sel:DWORD dst_unused:UNUSED_PAD src0_sel:WORD_0
	v_max3_f32 v3, v3, v28, v29
	v_cvt_f32_u32_sdwa v19, v39 dst_sel:DWORD dst_unused:UNUSED_PAD src0_sel:WORD_1
	v_cvt_f32_u32_sdwa v18, v39 dst_sel:DWORD dst_unused:UNUSED_PAD src0_sel:WORD_0
	v_max3_f32 v3, v3, v26, v27
	v_cvt_f32_u32_sdwa v17, v40 dst_sel:DWORD dst_unused:UNUSED_PAD src0_sel:WORD_1
	v_cvt_f32_u32_sdwa v16, v40 dst_sel:DWORD dst_unused:UNUSED_PAD src0_sel:WORD_0
	v_max3_f32 v3, v3, v24, v25
	v_cvt_f32_u32_sdwa v15, v41 dst_sel:DWORD dst_unused:UNUSED_PAD src0_sel:WORD_1
	v_cvt_f32_u32_sdwa v14, v41 dst_sel:DWORD dst_unused:UNUSED_PAD src0_sel:WORD_0
	v_max3_f32 v3, v3, v22, v23
	s_waitcnt vmcnt(0)
	v_cvt_f32_u32_sdwa v13, v42 dst_sel:DWORD dst_unused:UNUSED_PAD src0_sel:WORD_1
	v_cvt_f32_u32_sdwa v12, v42 dst_sel:DWORD dst_unused:UNUSED_PAD src0_sel:WORD_0
	v_max3_f32 v3, v3, v20, v21
	v_cvt_f32_u32_sdwa v11, v43 dst_sel:DWORD dst_unused:UNUSED_PAD src0_sel:WORD_1
	v_cvt_f32_u32_sdwa v10, v43 dst_sel:DWORD dst_unused:UNUSED_PAD src0_sel:WORD_0
	v_max3_f32 v3, v3, v18, v19
	v_cvt_f32_u32_sdwa v9, v44 dst_sel:DWORD dst_unused:UNUSED_PAD src0_sel:WORD_1
	v_cvt_f32_u32_sdwa v8, v44 dst_sel:DWORD dst_unused:UNUSED_PAD src0_sel:WORD_0
	v_max3_f32 v3, v3, v16, v17
	v_cvt_f32_u32_sdwa v7, v45 dst_sel:DWORD dst_unused:UNUSED_PAD src0_sel:WORD_1
	v_cvt_f32_u32_sdwa v6, v45 dst_sel:DWORD dst_unused:UNUSED_PAD src0_sel:WORD_0
	v_max3_f32 v3, v3, v14, v15
	v_max3_f32 v3, v3, v12, v13
	v_max3_f32 v3, v3, v10, v11
	;; [unrolled: 1-line block ×4, first 2 shown]
	s_nop 1
	v_mov_b32_dpp v5, v3 quad_perm:[1,0,3,2] row_mask:0xf bank_mask:0xf
	v_cmp_gt_f32_e32 vcc, v3, v5
	v_cndmask_b32_e32 v3, v5, v3, vcc
	s_nop 1
	v_mov_b32_dpp v5, v3 quad_perm:[2,3,0,1] row_mask:0xf bank_mask:0xf
	v_cmp_gt_f32_e32 vcc, v3, v5
	v_cndmask_b32_e32 v3, v5, v3, vcc
	v_mul_f32_e32 v3, 0x3b124925, v3
	v_bfe_u32 v5, v3, 23, 8
	v_and_b32_e32 v3, 0x7fffff, v3
	v_cmp_ne_u32_e32 vcc, s1, v5
	v_cmp_ne_u32_e64 s[0:1], 0, v3
	s_and_b64 vcc, s[0:1], vcc
	v_addc_co_u32_e32 v3, vcc, 0, v5, vcc
	v_cmp_eq_u32_e32 vcc, 0, v46
	s_and_saveexec_b64 s[0:1], vcc
	s_cbranch_execz .LBB59_10
; %bb.9:
	v_ashrrev_i32_e32 v5, 31, v4
	v_lshrrev_b32_e32 v38, 27, v5
	v_lshrrev_b32_e32 v5, 28, v5
	v_add_u32_e32 v38, v4, v38
	v_add_u32_e32 v5, v4, v5
	v_lshrrev_b32_e32 v39, 5, v38
	v_and_b32_e32 v5, 0x3ffffff0, v5
	v_and_b32_e32 v38, 0xffe0, v38
	v_sub_u32_e32 v5, v4, v5
	v_sub_u32_e32 v4, v4, v38
	v_mov_b32_e32 v38, 11
	v_lshrrev_b16_sdwa v38, v38, sext(v4) dst_sel:DWORD dst_unused:UNUSED_PAD src0_sel:DWORD src1_sel:BYTE_0
	v_and_b32_e32 v38, 15, v38
	s_load_dwordx2 s[6:7], s[4:5], 0x8
	v_add_u16_e32 v4, v4, v38
	v_mov_b32_e32 v38, 4
	s_ashr_i32 s2, s2, 3
	v_lshlrev_b32_e32 v41, 6, v1
	v_ashrrev_i16_sdwa v4, v38, sext(v4) dst_sel:DWORD dst_unused:UNUSED_PAD src0_sel:DWORD src1_sel:BYTE_0
	v_mul_lo_u32 v39, v39, s2
	v_lshrrev_b32_e32 v40, 3, v1
	v_and_b32_e32 v41, 0xc0, v41
	v_lshlrev_b32_e32 v5, 2, v5
	v_lshrrev_b32_e32 v1, 1, v1
	v_bfe_i32 v4, v4, 0, 16
	v_and_b32_e32 v1, 2, v1
	v_add_lshl_u32 v38, v40, v39, 8
	v_add3_u32 v4, v41, v5, v4
	v_add3_u32 v1, v4, v38, v1
	v_ashrrev_i32_e32 v5, 31, v1
	s_waitcnt lgkmcnt(0)
	v_mov_b32_e32 v38, s7
	v_add_co_u32_e32 v4, vcc, s6, v1
	v_addc_co_u32_e32 v5, vcc, v38, v5, vcc
	global_store_byte v[4:5], v3, off
.LBB59_10:
	s_or_b64 exec, exec, s[0:1]
	v_lshlrev_b32_e32 v1, 23, v3
	v_div_scale_f32 v3, s[0:1], v1, v1, 1.0
	v_rcp_f32_e32 v4, v3
	v_lshlrev_b32_e32 v2, 7, v2
	v_lshlrev_b32_e32 v0, 5, v0
	s_movk_i32 s0, 0x60
	v_fma_f32 v5, -v3, v4, 1.0
	v_fmac_f32_e32 v4, v5, v4
	v_div_scale_f32 v5, vcc, 1.0, v1, 1.0
	v_mul_f32_e32 v38, v5, v4
	v_fma_f32 v39, -v3, v38, v5
	v_fmac_f32_e32 v38, v39, v4
	v_fma_f32 v3, -v3, v38, v5
	v_div_fmas_f32 v3, v3, v4, v38
	v_div_fixup_f32 v4, v3, v1, 1.0
	v_and_or_b32 v38, v0, s0, v2
	v_mov_b32_e32 v5, v4
	;;#ASMSTART
	v_pk_mul_f32 v[0:1], v[36:37], v[4:5]
	;;#ASMEND
	v_mov_b32_e32 v36, 0xc3e00000
	v_mov_b32_e32 v37, 0x43e00000
	;;#ASMSTART
	v_med3_f32 v0, v0, v36, v37
v_med3_f32 v1, v1, v36, v37
v_cvt_pk_fp8_f32 v2, v0, v1
	;;#ASMEND
	;;#ASMSTART
	v_pk_mul_f32 v[0:1], v[34:35], v[4:5]
	;;#ASMEND
	;;#ASMSTART
	v_med3_f32 v0, v0, v36, v37
v_med3_f32 v1, v1, v36, v37
v_cvt_pk_fp8_f32 v3, v0, v1
	;;#ASMEND
	s_mov_b32 s0, 0x5040100
	v_perm_b32 v0, v3, v2, s0
	s_mov_b32 s1, 0x1060504
	v_perm_b32 v0, v0, v3, s1
	;;#ASMSTART
	v_pk_mul_f32 v[2:3], v[32:33], v[4:5]
	;;#ASMEND
	v_mov_b32_e32 v1, v2
	;;#ASMSTART
	v_med3_f32 v1, v1, v36, v37
v_med3_f32 v3, v3, v36, v37
v_cvt_pk_fp8_f32 v32, v1, v3
	;;#ASMEND
	;;#ASMSTART
	v_pk_mul_f32 v[2:3], v[30:31], v[4:5]
	;;#ASMEND
	v_mov_b32_e32 v1, v3
	;;#ASMSTART
	v_med3_f32 v2, v2, v36, v37
v_med3_f32 v1, v1, v36, v37
v_cvt_pk_fp8_f32 v3, v2, v1
	;;#ASMEND
	s_mov_b32 s2, 0x1000504
	v_perm_b32 v1, v32, v3, s2
	;;#ASMSTART
	v_pk_mul_f32 v[2:3], v[28:29], v[4:5]
	;;#ASMEND
	;;#ASMSTART
	v_med3_f32 v2, v2, v36, v37
v_med3_f32 v3, v3, v36, v37
v_cvt_pk_fp8_f32 v28, v2, v3
	;;#ASMEND
	;;#ASMSTART
	v_pk_mul_f32 v[2:3], v[26:27], v[4:5]
	;;#ASMEND
	;;#ASMSTART
	v_med3_f32 v2, v2, v36, v37
v_med3_f32 v3, v3, v36, v37
v_cvt_pk_fp8_f32 v26, v2, v3
	;;#ASMEND
	s_load_dword s10, s[4:5], 0x30
	;;#ASMSTART
	v_pk_mul_f32 v[24:25], v[24:25], v[4:5]
	;;#ASMEND
	v_mov_b32_e32 v3, v24
	;;#ASMSTART
	v_med3_f32 v3, v3, v36, v37
v_med3_f32 v25, v25, v36, v37
v_cvt_pk_fp8_f32 v24, v3, v25
	;;#ASMEND
	;;#ASMSTART
	v_pk_mul_f32 v[22:23], v[22:23], v[4:5]
	;;#ASMEND
	v_mov_b32_e32 v3, v23
	;;#ASMSTART
	v_med3_f32 v22, v22, v36, v37
v_med3_f32 v3, v3, v36, v37
v_cvt_pk_fp8_f32 v23, v22, v3
	;;#ASMEND
	s_and_b32 s9, s9, 0xffff
	s_mov_b32 s11, 0x20000
	v_perm_b32 v2, v28, v26, s2
	v_perm_b32 v3, v24, v23, s2
	s_waitcnt lgkmcnt(0)
	buffer_store_dwordx4 v[0:3], v38, s[8:11], 0 offen
	;;#ASMSTART
	s_nop 0
	;;#ASMEND
	s_nop 0
	;;#ASMSTART
	v_pk_mul_f32 v[0:1], v[20:21], v[4:5]
	;;#ASMEND
	;;#ASMSTART
	v_med3_f32 v0, v0, v36, v37
v_med3_f32 v1, v1, v36, v37
v_cvt_pk_fp8_f32 v2, v0, v1
	;;#ASMEND
	;;#ASMSTART
	v_pk_mul_f32 v[0:1], v[18:19], v[4:5]
	;;#ASMEND
	;;#ASMSTART
	v_med3_f32 v0, v0, v36, v37
v_med3_f32 v1, v1, v36, v37
v_cvt_pk_fp8_f32 v3, v0, v1
	;;#ASMEND
	v_perm_b32 v0, v3, v2, s0
	v_perm_b32 v0, v0, v3, s1
	;;#ASMSTART
	v_pk_mul_f32 v[2:3], v[16:17], v[4:5]
	;;#ASMEND
	v_mov_b32_e32 v1, v2
	;;#ASMSTART
	v_med3_f32 v1, v1, v36, v37
v_med3_f32 v3, v3, v36, v37
v_cvt_pk_fp8_f32 v16, v1, v3
	;;#ASMEND
	;;#ASMSTART
	v_pk_mul_f32 v[2:3], v[14:15], v[4:5]
	;;#ASMEND
	v_mov_b32_e32 v1, v3
	;;#ASMSTART
	v_med3_f32 v2, v2, v36, v37
v_med3_f32 v1, v1, v36, v37
v_cvt_pk_fp8_f32 v3, v2, v1
	;;#ASMEND
	v_perm_b32 v1, v16, v3, s2
	;;#ASMSTART
	v_pk_mul_f32 v[2:3], v[12:13], v[4:5]
	;;#ASMEND
	;;#ASMSTART
	v_med3_f32 v2, v2, v36, v37
v_med3_f32 v3, v3, v36, v37
v_cvt_pk_fp8_f32 v12, v2, v3
	;;#ASMEND
	;;#ASMSTART
	v_pk_mul_f32 v[2:3], v[10:11], v[4:5]
	;;#ASMEND
	;;#ASMSTART
	v_med3_f32 v2, v2, v36, v37
v_med3_f32 v3, v3, v36, v37
v_cvt_pk_fp8_f32 v10, v2, v3
	;;#ASMEND
	;;#ASMSTART
	v_pk_mul_f32 v[8:9], v[8:9], v[4:5]
	;;#ASMEND
	v_mov_b32_e32 v3, v8
	;;#ASMSTART
	v_med3_f32 v3, v3, v36, v37
v_med3_f32 v9, v9, v36, v37
v_cvt_pk_fp8_f32 v8, v3, v9
	;;#ASMEND
	;;#ASMSTART
	v_pk_mul_f32 v[4:5], v[6:7], v[4:5]
	;;#ASMEND
	v_mov_b32_e32 v3, v5
	;;#ASMSTART
	v_med3_f32 v4, v4, v36, v37
v_med3_f32 v3, v3, v36, v37
v_cvt_pk_fp8_f32 v5, v4, v3
	;;#ASMEND
	v_perm_b32 v2, v12, v10, s2
	v_perm_b32 v3, v8, v5, s2
	buffer_store_dwordx4 v[0:3], v38, s[8:11], 16 offen
	;;#ASMSTART
	s_nop 0
	;;#ASMEND
.LBB59_11:
	s_endpgm
	.section	.rodata,"a",@progbits
	.p2align	6, 0x0
	.amdhsa_kernel _ZN5aiter37dynamic_per_group_scaled_quant_kernelItDB8_Li32ELi128ELb1ELi64ELb1EEEvPT0_PfPKT_PKfliilPKii
		.amdhsa_group_segment_fixed_size 0
		.amdhsa_private_segment_fixed_size 0
		.amdhsa_kernarg_size 68
		.amdhsa_user_sgpr_count 6
		.amdhsa_user_sgpr_private_segment_buffer 1
		.amdhsa_user_sgpr_dispatch_ptr 0
		.amdhsa_user_sgpr_queue_ptr 0
		.amdhsa_user_sgpr_kernarg_segment_ptr 1
		.amdhsa_user_sgpr_dispatch_id 0
		.amdhsa_user_sgpr_flat_scratch_init 0
		.amdhsa_user_sgpr_kernarg_preload_length 0
		.amdhsa_user_sgpr_kernarg_preload_offset 0
		.amdhsa_user_sgpr_private_segment_size 0
		.amdhsa_uses_dynamic_stack 0
		.amdhsa_system_sgpr_private_segment_wavefront_offset 0
		.amdhsa_system_sgpr_workgroup_id_x 1
		.amdhsa_system_sgpr_workgroup_id_y 0
		.amdhsa_system_sgpr_workgroup_id_z 0
		.amdhsa_system_sgpr_workgroup_info 0
		.amdhsa_system_vgpr_workitem_id 0
		.amdhsa_next_free_vgpr 47
		.amdhsa_next_free_sgpr 16
		.amdhsa_accum_offset 48
		.amdhsa_reserve_vcc 1
		.amdhsa_reserve_flat_scratch 0
		.amdhsa_float_round_mode_32 0
		.amdhsa_float_round_mode_16_64 0
		.amdhsa_float_denorm_mode_32 3
		.amdhsa_float_denorm_mode_16_64 3
		.amdhsa_dx10_clamp 1
		.amdhsa_ieee_mode 1
		.amdhsa_fp16_overflow 0
		.amdhsa_tg_split 0
		.amdhsa_exception_fp_ieee_invalid_op 0
		.amdhsa_exception_fp_denorm_src 0
		.amdhsa_exception_fp_ieee_div_zero 0
		.amdhsa_exception_fp_ieee_overflow 0
		.amdhsa_exception_fp_ieee_underflow 0
		.amdhsa_exception_fp_ieee_inexact 0
		.amdhsa_exception_int_div_zero 0
	.end_amdhsa_kernel
	.section	.text._ZN5aiter37dynamic_per_group_scaled_quant_kernelItDB8_Li32ELi128ELb1ELi64ELb1EEEvPT0_PfPKT_PKfliilPKii,"axG",@progbits,_ZN5aiter37dynamic_per_group_scaled_quant_kernelItDB8_Li32ELi128ELb1ELi64ELb1EEEvPT0_PfPKT_PKfliilPKii,comdat
.Lfunc_end59:
	.size	_ZN5aiter37dynamic_per_group_scaled_quant_kernelItDB8_Li32ELi128ELb1ELi64ELb1EEEvPT0_PfPKT_PKfliilPKii, .Lfunc_end59-_ZN5aiter37dynamic_per_group_scaled_quant_kernelItDB8_Li32ELi128ELb1ELi64ELb1EEEvPT0_PfPKT_PKfliilPKii
                                        ; -- End function
	.section	.AMDGPU.csdata,"",@progbits
; Kernel info:
; codeLenInByte = 2648
; NumSgprs: 20
; NumVgprs: 47
; NumAgprs: 0
; TotalNumVgprs: 47
; ScratchSize: 0
; MemoryBound: 0
; FloatMode: 240
; IeeeMode: 1
; LDSByteSize: 0 bytes/workgroup (compile time only)
; SGPRBlocks: 2
; VGPRBlocks: 5
; NumSGPRsForWavesPerEU: 20
; NumVGPRsForWavesPerEU: 47
; AccumOffset: 48
; Occupancy: 8
; WaveLimiterHint : 0
; COMPUTE_PGM_RSRC2:SCRATCH_EN: 0
; COMPUTE_PGM_RSRC2:USER_SGPR: 6
; COMPUTE_PGM_RSRC2:TRAP_HANDLER: 0
; COMPUTE_PGM_RSRC2:TGID_X_EN: 1
; COMPUTE_PGM_RSRC2:TGID_Y_EN: 0
; COMPUTE_PGM_RSRC2:TGID_Z_EN: 0
; COMPUTE_PGM_RSRC2:TIDIG_COMP_CNT: 0
; COMPUTE_PGM_RSRC3_GFX90A:ACCUM_OFFSET: 11
; COMPUTE_PGM_RSRC3_GFX90A:TG_SPLIT: 0
	.section	.text._ZN5aiter37dynamic_per_group_scaled_quant_kernelIDF16_DB8_Li32ELi128ELb0ELi64ELb1EEEvPT0_PfPKT_PKfliilPKii,"axG",@progbits,_ZN5aiter37dynamic_per_group_scaled_quant_kernelIDF16_DB8_Li32ELi128ELb0ELi64ELb1EEEvPT0_PfPKT_PKfliilPKii,comdat
	.protected	_ZN5aiter37dynamic_per_group_scaled_quant_kernelIDF16_DB8_Li32ELi128ELb0ELi64ELb1EEEvPT0_PfPKT_PKfliilPKii ; -- Begin function _ZN5aiter37dynamic_per_group_scaled_quant_kernelIDF16_DB8_Li32ELi128ELb0ELi64ELb1EEEvPT0_PfPKT_PKfliilPKii
	.globl	_ZN5aiter37dynamic_per_group_scaled_quant_kernelIDF16_DB8_Li32ELi128ELb0ELi64ELb1EEEvPT0_PfPKT_PKfliilPKii
	.p2align	8
	.type	_ZN5aiter37dynamic_per_group_scaled_quant_kernelIDF16_DB8_Li32ELi128ELb0ELi64ELb1EEEvPT0_PfPKT_PKfliilPKii,@function
_ZN5aiter37dynamic_per_group_scaled_quant_kernelIDF16_DB8_Li32ELi128ELb0ELi64ELb1EEEvPT0_PfPKT_PKfliilPKii: ; @_ZN5aiter37dynamic_per_group_scaled_quant_kernelIDF16_DB8_Li32ELi128ELb0ELi64ELb1EEEvPT0_PfPKT_PKfliilPKii
; %bb.0:
	s_load_dwordx2 s[0:1], s[4:5], 0x38
	s_waitcnt lgkmcnt(0)
	s_cmp_eq_u64 s[0:1], 0
	s_cbranch_scc1 .LBB60_2
; %bb.1:
	s_load_dword s2, s[4:5], 0x40
	s_load_dword s3, s[0:1], 0x0
	s_waitcnt lgkmcnt(0)
	s_mul_hi_i32 s9, s3, s2
	s_mul_i32 s8, s3, s2
	s_branch .LBB60_3
.LBB60_2:
	s_load_dwordx2 s[8:9], s[4:5], 0x20
.LBB60_3:
	s_load_dwordx2 s[2:3], s[4:5], 0x28
	s_mov_b32 s7, 0
	s_lshl_b64 s[0:1], s[6:7], 6
	v_or_b32_e32 v4, s0, v0
	v_mov_b32_e32 v5, s1
	s_waitcnt lgkmcnt(0)
	s_ashr_i32 s0, s2, 31
	s_lshr_b32 s0, s0, 25
	s_add_i32 s0, s2, s0
	s_ashr_i32 s2, s0, 7
	v_lshrrev_b64 v[18:19], 2, v[4:5]
	s_ashr_i32 s0, s2, 31
	v_or_b32_e32 v3, s0, v19
	v_mov_b32_e32 v2, 0
	v_cmp_ne_u64_e32 vcc, 0, v[2:3]
                                        ; implicit-def: $vgpr2_vgpr3
	s_and_saveexec_b64 s[6:7], vcc
	s_xor_b64 s[6:7], exec, s[6:7]
	s_cbranch_execz .LBB60_5
; %bb.4:
	s_add_u32 s12, s2, s0
	s_mov_b32 s10, s0
	s_mov_b32 s11, s0
	s_addc_u32 s13, s0, s0
	s_xor_b64 s[12:13], s[12:13], s[10:11]
	v_cvt_f32_u32_e32 v1, s12
	v_cvt_f32_u32_e32 v2, s13
	s_sub_u32 s0, 0, s12
	s_subb_u32 s1, 0, s13
	v_madmk_f32 v1, v2, 0x4f800000, v1
	v_rcp_f32_e32 v1, v1
	v_mul_f32_e32 v1, 0x5f7ffffc, v1
	v_mul_f32_e32 v2, 0x2f800000, v1
	v_trunc_f32_e32 v2, v2
	v_madmk_f32 v1, v2, 0xcf800000, v1
	v_cvt_u32_f32_e32 v2, v2
	v_cvt_u32_f32_e32 v1, v1
	v_mul_lo_u32 v3, s0, v2
	v_mul_hi_u32 v5, s0, v1
	v_mul_lo_u32 v4, s1, v1
	v_add_u32_e32 v3, v5, v3
	v_mul_lo_u32 v6, s0, v1
	v_add_u32_e32 v3, v3, v4
	v_mul_lo_u32 v5, v1, v3
	v_mul_hi_u32 v7, v1, v6
	v_mul_hi_u32 v4, v1, v3
	v_add_co_u32_e32 v5, vcc, v7, v5
	v_addc_co_u32_e32 v4, vcc, 0, v4, vcc
	v_mul_hi_u32 v8, v2, v6
	v_mul_lo_u32 v6, v2, v6
	v_add_co_u32_e32 v5, vcc, v5, v6
	v_mul_hi_u32 v7, v2, v3
	v_addc_co_u32_e32 v4, vcc, v4, v8, vcc
	v_addc_co_u32_e32 v5, vcc, 0, v7, vcc
	v_mul_lo_u32 v3, v2, v3
	v_add_co_u32_e32 v3, vcc, v4, v3
	v_addc_co_u32_e32 v4, vcc, 0, v5, vcc
	v_add_co_u32_e32 v1, vcc, v1, v3
	v_addc_co_u32_e32 v2, vcc, v2, v4, vcc
	v_mul_lo_u32 v3, s0, v2
	v_mul_hi_u32 v4, s0, v1
	v_add_u32_e32 v3, v4, v3
	v_mul_lo_u32 v4, s1, v1
	v_add_u32_e32 v3, v3, v4
	v_mul_lo_u32 v5, s0, v1
	v_mul_hi_u32 v6, v2, v5
	v_mul_lo_u32 v7, v2, v5
	v_mul_lo_u32 v9, v1, v3
	v_mul_hi_u32 v5, v1, v5
	v_mul_hi_u32 v8, v1, v3
	v_add_co_u32_e32 v5, vcc, v5, v9
	v_addc_co_u32_e32 v8, vcc, 0, v8, vcc
	v_add_co_u32_e32 v5, vcc, v5, v7
	v_mul_hi_u32 v4, v2, v3
	v_addc_co_u32_e32 v5, vcc, v8, v6, vcc
	v_addc_co_u32_e32 v4, vcc, 0, v4, vcc
	v_mul_lo_u32 v3, v2, v3
	v_add_co_u32_e32 v3, vcc, v5, v3
	v_addc_co_u32_e32 v4, vcc, 0, v4, vcc
	v_add_co_u32_e32 v1, vcc, v1, v3
	v_addc_co_u32_e32 v4, vcc, v2, v4, vcc
	v_mad_u64_u32 v[2:3], s[0:1], v18, v4, 0
	v_mul_hi_u32 v5, v18, v1
	v_add_co_u32_e32 v6, vcc, v5, v2
	v_addc_co_u32_e32 v7, vcc, 0, v3, vcc
	v_mad_u64_u32 v[2:3], s[0:1], v19, v4, 0
	v_mad_u64_u32 v[4:5], s[0:1], v19, v1, 0
	v_add_co_u32_e32 v1, vcc, v6, v4
	v_addc_co_u32_e32 v1, vcc, v7, v5, vcc
	v_addc_co_u32_e32 v3, vcc, 0, v3, vcc
	v_add_co_u32_e32 v1, vcc, v1, v2
	v_addc_co_u32_e32 v4, vcc, 0, v3, vcc
	v_mul_lo_u32 v5, s13, v1
	v_mul_lo_u32 v6, s12, v4
	v_mad_u64_u32 v[2:3], s[0:1], s12, v1, 0
	v_add3_u32 v3, v3, v6, v5
	v_sub_u32_e32 v5, v19, v3
	v_mov_b32_e32 v6, s13
	v_sub_co_u32_e32 v2, vcc, v18, v2
	v_subb_co_u32_e64 v5, s[0:1], v5, v6, vcc
	v_subrev_co_u32_e64 v6, s[0:1], s12, v2
	v_subbrev_co_u32_e64 v5, s[0:1], 0, v5, s[0:1]
	v_cmp_le_u32_e64 s[0:1], s13, v5
	v_cndmask_b32_e64 v7, 0, -1, s[0:1]
	v_cmp_le_u32_e64 s[0:1], s12, v6
	v_cndmask_b32_e64 v6, 0, -1, s[0:1]
	v_cmp_eq_u32_e64 s[0:1], s13, v5
	v_cndmask_b32_e64 v5, v7, v6, s[0:1]
	v_add_co_u32_e64 v6, s[0:1], 2, v1
	v_addc_co_u32_e64 v7, s[0:1], 0, v4, s[0:1]
	v_add_co_u32_e64 v8, s[0:1], 1, v1
	v_addc_co_u32_e64 v9, s[0:1], 0, v4, s[0:1]
	v_subb_co_u32_e32 v3, vcc, v19, v3, vcc
	v_cmp_ne_u32_e64 s[0:1], 0, v5
	v_cmp_le_u32_e32 vcc, s13, v3
	v_cndmask_b32_e64 v5, v9, v7, s[0:1]
	v_cndmask_b32_e64 v7, 0, -1, vcc
	v_cmp_le_u32_e32 vcc, s12, v2
	v_cndmask_b32_e64 v2, 0, -1, vcc
	v_cmp_eq_u32_e32 vcc, s13, v3
	v_cndmask_b32_e32 v2, v7, v2, vcc
	v_cmp_ne_u32_e32 vcc, 0, v2
	v_cndmask_b32_e64 v3, v8, v6, s[0:1]
	v_cndmask_b32_e32 v1, v1, v3, vcc
	v_cndmask_b32_e32 v2, v4, v5, vcc
	v_xor_b32_e32 v1, s10, v1
	v_xor_b32_e32 v3, s11, v2
	v_mov_b32_e32 v4, s11
	v_subrev_co_u32_e32 v2, vcc, s10, v1
	v_subb_co_u32_e32 v3, vcc, v3, v4, vcc
                                        ; implicit-def: $vgpr4_vgpr5
.LBB60_5:
	s_andn2_saveexec_b64 s[0:1], s[6:7]
	s_cbranch_execz .LBB60_7
; %bb.6:
	v_cvt_f32_u32_e32 v1, s2
	s_sub_i32 s6, 0, s2
	v_alignbit_b32 v2, v5, v4, 2
	v_rcp_iflag_f32_e32 v1, v1
	v_mul_f32_e32 v1, 0x4f7ffffe, v1
	v_cvt_u32_f32_e32 v1, v1
	v_mul_lo_u32 v3, s6, v1
	v_mul_hi_u32 v3, v1, v3
	v_add_u32_e32 v1, v1, v3
	v_mul_hi_u32 v1, v2, v1
	v_mul_lo_u32 v3, v1, s2
	v_sub_u32_e32 v2, v2, v3
	v_add_u32_e32 v4, 1, v1
	v_subrev_u32_e32 v3, s2, v2
	v_cmp_le_u32_e32 vcc, s2, v2
	v_cndmask_b32_e32 v2, v2, v3, vcc
	v_cndmask_b32_e32 v1, v1, v4, vcc
	v_add_u32_e32 v3, 1, v1
	v_cmp_le_u32_e32 vcc, s2, v2
	v_cndmask_b32_e32 v2, v1, v3, vcc
	v_mov_b32_e32 v3, 0
.LBB60_7:
	s_or_b64 exec, exec, s[0:1]
	v_mad_u64_u32 v[4:5], s[0:1], v2, s2, 0
	v_sub_co_u32_e32 v1, vcc, v18, v4
	v_cmp_gt_i64_e32 vcc, s[8:9], v[2:3]
	v_cmp_gt_i32_e64 s[0:1], s2, v1
	s_and_b64 s[0:1], vcc, s[0:1]
	s_and_saveexec_b64 s[6:7], s[0:1]
	s_cbranch_execz .LBB60_11
; %bb.8:
	s_load_dwordx2 s[0:1], s[4:5], 0x10
	s_load_dwordx2 s[8:9], s[4:5], 0x0
	s_ashr_i32 s2, s3, 31
	v_mul_lo_u32 v4, v3, s3
	v_mul_lo_u32 v5, v2, s2
	v_mad_u64_u32 v[2:3], s[2:3], v2, s3, 0
	v_add3_u32 v3, v3, v5, v4
	v_lshlrev_b64 v[2:3], 1, v[2:3]
	v_lshlrev_b32_e32 v4, 7, v1
	v_mov_b32_e32 v5, 0
	s_waitcnt lgkmcnt(0)
	v_mov_b32_e32 v1, s1
	v_add_co_u32_e32 v6, vcc, s0, v2
	v_addc_co_u32_e32 v1, vcc, v1, v3, vcc
	v_lshlrev_b64 v[2:3], 1, v[4:5]
	v_add_co_u32_e32 v2, vcc, v6, v2
	v_and_b32_e32 v22, 3, v0
	v_addc_co_u32_e32 v1, vcc, v1, v3, vcc
	v_lshlrev_b32_e32 v3, 6, v22
	v_add_co_u32_e32 v20, vcc, v2, v3
	v_addc_co_u32_e32 v21, vcc, 0, v1, vcc
	global_load_dwordx4 v[14:17], v[20:21], off
	global_load_dwordx4 v[10:13], v[20:21], off offset:16
	global_load_dwordx4 v[6:9], v[20:21], off offset:32
	;; [unrolled: 1-line block ×3, first 2 shown]
	s_mov_b32 s0, 0x2edbe6ff
	s_movk_i32 s1, 0xff
	s_waitcnt vmcnt(3)
	v_cvt_f32_f16_e64 v1, |v14|
	v_cvt_f32_f16_sdwa v20, |v14| dst_sel:DWORD dst_unused:UNUSED_PAD src0_sel:WORD_1
	v_cvt_f32_f16_e64 v21, |v15|
	v_cvt_f32_f16_sdwa v23, |v15| dst_sel:DWORD dst_unused:UNUSED_PAD src0_sel:WORD_1
	;; [unrolled: 2-line block ×4, first 2 shown]
	s_waitcnt vmcnt(2)
	v_cvt_f32_f16_e64 v28, |v10|
	v_cvt_f32_f16_sdwa v29, |v10| dst_sel:DWORD dst_unused:UNUSED_PAD src0_sel:WORD_1
	v_max3_f32 v1, v1, s0, v20
	v_cvt_f32_f16_e64 v30, |v11|
	v_cvt_f32_f16_sdwa v31, |v11| dst_sel:DWORD dst_unused:UNUSED_PAD src0_sel:WORD_1
	v_max3_f32 v1, v1, v21, v23
	v_cvt_f32_f16_e64 v32, |v12|
	v_cvt_f32_f16_sdwa v33, |v12| dst_sel:DWORD dst_unused:UNUSED_PAD src0_sel:WORD_1
	v_max3_f32 v1, v1, v24, v25
	v_cvt_f32_f16_e64 v34, |v13|
	v_cvt_f32_f16_sdwa v35, |v13| dst_sel:DWORD dst_unused:UNUSED_PAD src0_sel:WORD_1
	v_max3_f32 v1, v1, v26, v27
	s_waitcnt vmcnt(1)
	v_cvt_f32_f16_e64 v36, |v6|
	v_cvt_f32_f16_sdwa v37, |v6| dst_sel:DWORD dst_unused:UNUSED_PAD src0_sel:WORD_1
	v_max3_f32 v1, v1, v28, v29
	v_cvt_f32_f16_e64 v38, |v7|
	v_cvt_f32_f16_sdwa v39, |v7| dst_sel:DWORD dst_unused:UNUSED_PAD src0_sel:WORD_1
	v_max3_f32 v1, v1, v30, v31
	v_cvt_f32_f16_e64 v40, |v8|
	v_cvt_f32_f16_sdwa v41, |v8| dst_sel:DWORD dst_unused:UNUSED_PAD src0_sel:WORD_1
	v_max3_f32 v1, v1, v32, v33
	v_cvt_f32_f16_e64 v42, |v9|
	v_cvt_f32_f16_sdwa v43, |v9| dst_sel:DWORD dst_unused:UNUSED_PAD src0_sel:WORD_1
	v_max3_f32 v1, v1, v34, v35
	;; [unrolled: 13-line block ×3, first 2 shown]
	v_max3_f32 v1, v1, v44, v45
	v_max3_f32 v1, v1, v46, v47
	;; [unrolled: 1-line block ×4, first 2 shown]
	s_nop 1
	v_mov_b32_dpp v20, v1 quad_perm:[1,0,3,2] row_mask:0xf bank_mask:0xf
	v_cmp_gt_f32_e32 vcc, v1, v20
	v_cndmask_b32_e32 v1, v20, v1, vcc
	s_nop 1
	v_mov_b32_dpp v20, v1 quad_perm:[2,3,0,1] row_mask:0xf bank_mask:0xf
	v_cmp_gt_f32_e32 vcc, v1, v20
	v_cndmask_b32_e32 v1, v20, v1, vcc
	v_mul_f32_e32 v1, 0x3b124925, v1
	v_bfe_u32 v20, v1, 23, 8
	v_and_b32_e32 v1, 0x7fffff, v1
	v_cmp_ne_u32_e32 vcc, s1, v20
	v_cmp_ne_u32_e64 s[0:1], 0, v1
	s_and_b64 vcc, s[0:1], vcc
	v_addc_co_u32_e32 v1, vcc, 0, v20, vcc
	v_cmp_eq_u32_e32 vcc, 0, v22
	s_and_saveexec_b64 s[0:1], vcc
	s_cbranch_execz .LBB60_10
; %bb.9:
	s_load_dwordx2 s[2:3], s[4:5], 0x8
	s_waitcnt lgkmcnt(0)
	v_mov_b32_e32 v21, s3
	v_add_co_u32_e32 v20, vcc, s2, v18
	v_addc_co_u32_e32 v21, vcc, v21, v19, vcc
	global_store_byte v[20:21], v1, off
.LBB60_10:
	s_or_b64 exec, exec, s[0:1]
	v_lshlrev_b32_e32 v1, 23, v1
	v_div_scale_f32 v19, s[0:1], v1, v1, 1.0
	v_rcp_f32_e32 v20, v19
	v_lshlrev_b32_e32 v21, 7, v18
	v_lshlrev_b32_e32 v0, 5, v0
	s_movk_i32 s0, 0x60
	v_fma_f32 v18, -v19, v20, 1.0
	v_fmac_f32_e32 v20, v18, v20
	v_div_scale_f32 v18, vcc, 1.0, v1, 1.0
	v_mul_f32_e32 v22, v18, v20
	v_fma_f32 v23, -v19, v22, v18
	v_fmac_f32_e32 v22, v23, v20
	v_fma_f32 v18, -v19, v22, v18
	v_div_fmas_f32 v18, v18, v20, v22
	v_div_fixup_f32 v18, v18, v1, 1.0
	v_and_or_b32 v30, v0, s0, v21
	v_cvt_f32_f16_e32 v0, v14
	v_cvt_f32_f16_sdwa v1, v14 dst_sel:DWORD dst_unused:UNUSED_PAD src0_sel:WORD_1
	v_mov_b32_e32 v19, v18
	;;#ASMSTART
	v_pk_mul_f32 v[0:1], v[0:1], v[18:19]
	;;#ASMEND
	v_cvt_f32_f16_e32 v22, v10
	v_cvt_f32_f16_sdwa v23, v10 dst_sel:DWORD dst_unused:UNUSED_PAD src0_sel:WORD_1
	v_mov_b32_e32 v31, 0xc3e00000
	v_mov_b32_e32 v32, 0x43e00000
	;;#ASMSTART
	v_med3_f32 v0, v0, v31, v32
v_med3_f32 v1, v1, v31, v32
v_cvt_pk_fp8_f32 v10, v0, v1
	;;#ASMEND
	v_cvt_f32_f16_e32 v14, v15
	v_cvt_f32_f16_sdwa v15, v15 dst_sel:DWORD dst_unused:UNUSED_PAD src0_sel:WORD_1
	;;#ASMSTART
	v_pk_mul_f32 v[0:1], v[14:15], v[18:19]
	;;#ASMEND
	v_cvt_f32_f16_e32 v24, v11
	v_cvt_f32_f16_sdwa v25, v11 dst_sel:DWORD dst_unused:UNUSED_PAD src0_sel:WORD_1
	;;#ASMSTART
	v_med3_f32 v0, v0, v31, v32
v_med3_f32 v1, v1, v31, v32
v_cvt_pk_fp8_f32 v11, v0, v1
	;;#ASMEND
	s_mov_b32 s0, 0x5040100
	v_perm_b32 v0, v11, v10, s0
	s_mov_b32 s1, 0x1060504
	v_cvt_f32_f16_e32 v20, v16
	v_cvt_f32_f16_sdwa v21, v16 dst_sel:DWORD dst_unused:UNUSED_PAD src0_sel:WORD_1
	v_perm_b32 v10, v0, v11, s1
	;;#ASMSTART
	v_pk_mul_f32 v[0:1], v[20:21], v[18:19]
	;;#ASMEND
	;;#ASMSTART
	v_med3_f32 v0, v0, v31, v32
v_med3_f32 v1, v1, v31, v32
v_cvt_pk_fp8_f32 v11, v0, v1
	;;#ASMEND
	v_cvt_f32_f16_e32 v16, v17
	v_cvt_f32_f16_sdwa v17, v17 dst_sel:DWORD dst_unused:UNUSED_PAD src0_sel:WORD_1
	;;#ASMSTART
	v_pk_mul_f32 v[0:1], v[16:17], v[18:19]
	;;#ASMEND
	v_cvt_f32_f16_e32 v26, v12
	v_cvt_f32_f16_sdwa v27, v12 dst_sel:DWORD dst_unused:UNUSED_PAD src0_sel:WORD_1
	;;#ASMSTART
	v_med3_f32 v0, v0, v31, v32
v_med3_f32 v1, v1, v31, v32
v_cvt_pk_fp8_f32 v12, v0, v1
	;;#ASMEND
	s_mov_b32 s2, 0x1000504
	;;#ASMSTART
	v_pk_mul_f32 v[0:1], v[22:23], v[18:19]
	;;#ASMEND
	v_perm_b32 v11, v11, v12, s2
	;;#ASMSTART
	v_med3_f32 v0, v0, v31, v32
v_med3_f32 v1, v1, v31, v32
v_cvt_pk_fp8_f32 v12, v0, v1
	;;#ASMEND
	;;#ASMSTART
	v_pk_mul_f32 v[0:1], v[24:25], v[18:19]
	;;#ASMEND
	v_cvt_f32_f16_e32 v28, v13
	v_cvt_f32_f16_sdwa v29, v13 dst_sel:DWORD dst_unused:UNUSED_PAD src0_sel:WORD_1
	;;#ASMSTART
	v_med3_f32 v0, v0, v31, v32
v_med3_f32 v1, v1, v31, v32
v_cvt_pk_fp8_f32 v13, v0, v1
	;;#ASMEND
	s_load_dword s10, s[4:5], 0x30
	;;#ASMSTART
	v_pk_mul_f32 v[0:1], v[26:27], v[18:19]
	;;#ASMEND
	v_perm_b32 v12, v12, v13, s2
	;;#ASMSTART
	v_med3_f32 v0, v0, v31, v32
v_med3_f32 v1, v1, v31, v32
v_cvt_pk_fp8_f32 v13, v0, v1
	;;#ASMEND
	;;#ASMSTART
	v_pk_mul_f32 v[0:1], v[28:29], v[18:19]
	;;#ASMEND
	;;#ASMSTART
	v_med3_f32 v0, v0, v31, v32
v_med3_f32 v1, v1, v31, v32
v_cvt_pk_fp8_f32 v14, v0, v1
	;;#ASMEND
	s_and_b32 s9, s9, 0xffff
	s_mov_b32 s11, 0x20000
	v_perm_b32 v13, v13, v14, s2
	v_cvt_f32_f16_e32 v0, v6
	v_cvt_f32_f16_sdwa v1, v6 dst_sel:DWORD dst_unused:UNUSED_PAD src0_sel:WORD_1
	s_waitcnt lgkmcnt(0)
	buffer_store_dwordx4 v[10:13], v30, s[8:11], 0 offen
	;;#ASMSTART
	s_nop 0
	;;#ASMEND
	;;#ASMSTART
	v_pk_mul_f32 v[0:1], v[0:1], v[18:19]
	;;#ASMEND
	;;#ASMSTART
	v_med3_f32 v0, v0, v31, v32
v_med3_f32 v1, v1, v31, v32
v_cvt_pk_fp8_f32 v16, v0, v1
	;;#ASMEND
	v_cvt_f32_f16_e32 v6, v7
	v_cvt_f32_f16_sdwa v7, v7 dst_sel:DWORD dst_unused:UNUSED_PAD src0_sel:WORD_1
	;;#ASMSTART
	v_pk_mul_f32 v[0:1], v[6:7], v[18:19]
	;;#ASMEND
	;;#ASMSTART
	v_med3_f32 v0, v0, v31, v32
v_med3_f32 v1, v1, v31, v32
v_cvt_pk_fp8_f32 v6, v0, v1
	;;#ASMEND
	v_perm_b32 v0, v6, v16, s0
	v_cvt_f32_f16_e32 v10, v8
	v_cvt_f32_f16_sdwa v11, v8 dst_sel:DWORD dst_unused:UNUSED_PAD src0_sel:WORD_1
	v_perm_b32 v0, v0, v6, s1
	;;#ASMSTART
	v_pk_mul_f32 v[6:7], v[10:11], v[18:19]
	;;#ASMEND
	v_mov_b32_e32 v1, v6
	;;#ASMSTART
	v_med3_f32 v1, v1, v31, v32
v_med3_f32 v7, v7, v31, v32
v_cvt_pk_fp8_f32 v10, v1, v7
	;;#ASMEND
	v_cvt_f32_f16_e32 v8, v9
	v_cvt_f32_f16_sdwa v9, v9 dst_sel:DWORD dst_unused:UNUSED_PAD src0_sel:WORD_1
	;;#ASMSTART
	v_pk_mul_f32 v[6:7], v[8:9], v[18:19]
	;;#ASMEND
	v_mov_b32_e32 v1, v7
	;;#ASMSTART
	v_med3_f32 v6, v6, v31, v32
v_med3_f32 v1, v1, v31, v32
v_cvt_pk_fp8_f32 v7, v6, v1
	;;#ASMEND
	v_cvt_f32_f16_e32 v12, v2
	v_cvt_f32_f16_sdwa v13, v2 dst_sel:DWORD dst_unused:UNUSED_PAD src0_sel:WORD_1
	v_cvt_f32_f16_e32 v2, v3
	v_cvt_f32_f16_sdwa v3, v3 dst_sel:DWORD dst_unused:UNUSED_PAD src0_sel:WORD_1
	v_perm_b32 v1, v10, v7, s2
	;;#ASMSTART
	v_pk_mul_f32 v[6:7], v[12:13], v[18:19]
	;;#ASMEND
	;;#ASMSTART
	v_med3_f32 v6, v6, v31, v32
v_med3_f32 v7, v7, v31, v32
v_cvt_pk_fp8_f32 v8, v6, v7
	;;#ASMEND
	;;#ASMSTART
	v_pk_mul_f32 v[2:3], v[2:3], v[18:19]
	;;#ASMEND
	;;#ASMSTART
	v_med3_f32 v2, v2, v31, v32
v_med3_f32 v3, v3, v31, v32
v_cvt_pk_fp8_f32 v6, v2, v3
	;;#ASMEND
	v_cvt_f32_f16_e32 v14, v4
	v_cvt_f32_f16_sdwa v15, v4 dst_sel:DWORD dst_unused:UNUSED_PAD src0_sel:WORD_1
	v_perm_b32 v2, v8, v6, s2
	;;#ASMSTART
	v_pk_mul_f32 v[6:7], v[14:15], v[18:19]
	;;#ASMEND
	v_mov_b32_e32 v3, v6
	v_cvt_f32_f16_e32 v4, v5
	v_cvt_f32_f16_sdwa v5, v5 dst_sel:DWORD dst_unused:UNUSED_PAD src0_sel:WORD_1
	;;#ASMSTART
	v_med3_f32 v3, v3, v31, v32
v_med3_f32 v7, v7, v31, v32
v_cvt_pk_fp8_f32 v6, v3, v7
	;;#ASMEND
	;;#ASMSTART
	v_pk_mul_f32 v[4:5], v[4:5], v[18:19]
	;;#ASMEND
	v_mov_b32_e32 v3, v5
	;;#ASMSTART
	v_med3_f32 v4, v4, v31, v32
v_med3_f32 v3, v3, v31, v32
v_cvt_pk_fp8_f32 v5, v4, v3
	;;#ASMEND
	v_perm_b32 v3, v6, v5, s2
	buffer_store_dwordx4 v[0:3], v30, s[8:11], 16 offen
	;;#ASMSTART
	s_nop 0
	;;#ASMEND
.LBB60_11:
	s_endpgm
	.section	.rodata,"a",@progbits
	.p2align	6, 0x0
	.amdhsa_kernel _ZN5aiter37dynamic_per_group_scaled_quant_kernelIDF16_DB8_Li32ELi128ELb0ELi64ELb1EEEvPT0_PfPKT_PKfliilPKii
		.amdhsa_group_segment_fixed_size 0
		.amdhsa_private_segment_fixed_size 0
		.amdhsa_kernarg_size 68
		.amdhsa_user_sgpr_count 6
		.amdhsa_user_sgpr_private_segment_buffer 1
		.amdhsa_user_sgpr_dispatch_ptr 0
		.amdhsa_user_sgpr_queue_ptr 0
		.amdhsa_user_sgpr_kernarg_segment_ptr 1
		.amdhsa_user_sgpr_dispatch_id 0
		.amdhsa_user_sgpr_flat_scratch_init 0
		.amdhsa_user_sgpr_kernarg_preload_length 0
		.amdhsa_user_sgpr_kernarg_preload_offset 0
		.amdhsa_user_sgpr_private_segment_size 0
		.amdhsa_uses_dynamic_stack 0
		.amdhsa_system_sgpr_private_segment_wavefront_offset 0
		.amdhsa_system_sgpr_workgroup_id_x 1
		.amdhsa_system_sgpr_workgroup_id_y 0
		.amdhsa_system_sgpr_workgroup_id_z 0
		.amdhsa_system_sgpr_workgroup_info 0
		.amdhsa_system_vgpr_workitem_id 0
		.amdhsa_next_free_vgpr 52
		.amdhsa_next_free_sgpr 14
		.amdhsa_accum_offset 52
		.amdhsa_reserve_vcc 1
		.amdhsa_reserve_flat_scratch 0
		.amdhsa_float_round_mode_32 0
		.amdhsa_float_round_mode_16_64 0
		.amdhsa_float_denorm_mode_32 3
		.amdhsa_float_denorm_mode_16_64 3
		.amdhsa_dx10_clamp 1
		.amdhsa_ieee_mode 1
		.amdhsa_fp16_overflow 0
		.amdhsa_tg_split 0
		.amdhsa_exception_fp_ieee_invalid_op 0
		.amdhsa_exception_fp_denorm_src 0
		.amdhsa_exception_fp_ieee_div_zero 0
		.amdhsa_exception_fp_ieee_overflow 0
		.amdhsa_exception_fp_ieee_underflow 0
		.amdhsa_exception_fp_ieee_inexact 0
		.amdhsa_exception_int_div_zero 0
	.end_amdhsa_kernel
	.section	.text._ZN5aiter37dynamic_per_group_scaled_quant_kernelIDF16_DB8_Li32ELi128ELb0ELi64ELb1EEEvPT0_PfPKT_PKfliilPKii,"axG",@progbits,_ZN5aiter37dynamic_per_group_scaled_quant_kernelIDF16_DB8_Li32ELi128ELb0ELi64ELb1EEEvPT0_PfPKT_PKfliilPKii,comdat
.Lfunc_end60:
	.size	_ZN5aiter37dynamic_per_group_scaled_quant_kernelIDF16_DB8_Li32ELi128ELb0ELi64ELb1EEEvPT0_PfPKT_PKfliilPKii, .Lfunc_end60-_ZN5aiter37dynamic_per_group_scaled_quant_kernelIDF16_DB8_Li32ELi128ELb0ELi64ELb1EEEvPT0_PfPKT_PKfliilPKii
                                        ; -- End function
	.section	.AMDGPU.csdata,"",@progbits
; Kernel info:
; codeLenInByte = 2648
; NumSgprs: 18
; NumVgprs: 52
; NumAgprs: 0
; TotalNumVgprs: 52
; ScratchSize: 0
; MemoryBound: 0
; FloatMode: 240
; IeeeMode: 1
; LDSByteSize: 0 bytes/workgroup (compile time only)
; SGPRBlocks: 2
; VGPRBlocks: 6
; NumSGPRsForWavesPerEU: 18
; NumVGPRsForWavesPerEU: 52
; AccumOffset: 52
; Occupancy: 8
; WaveLimiterHint : 0
; COMPUTE_PGM_RSRC2:SCRATCH_EN: 0
; COMPUTE_PGM_RSRC2:USER_SGPR: 6
; COMPUTE_PGM_RSRC2:TRAP_HANDLER: 0
; COMPUTE_PGM_RSRC2:TGID_X_EN: 1
; COMPUTE_PGM_RSRC2:TGID_Y_EN: 0
; COMPUTE_PGM_RSRC2:TGID_Z_EN: 0
; COMPUTE_PGM_RSRC2:TIDIG_COMP_CNT: 0
; COMPUTE_PGM_RSRC3_GFX90A:ACCUM_OFFSET: 12
; COMPUTE_PGM_RSRC3_GFX90A:TG_SPLIT: 0
	.section	.text._ZN5aiter37dynamic_per_group_scaled_quant_kernelItDB8_Li32ELi128ELb0ELi64ELb1EEEvPT0_PfPKT_PKfliilPKii,"axG",@progbits,_ZN5aiter37dynamic_per_group_scaled_quant_kernelItDB8_Li32ELi128ELb0ELi64ELb1EEEvPT0_PfPKT_PKfliilPKii,comdat
	.protected	_ZN5aiter37dynamic_per_group_scaled_quant_kernelItDB8_Li32ELi128ELb0ELi64ELb1EEEvPT0_PfPKT_PKfliilPKii ; -- Begin function _ZN5aiter37dynamic_per_group_scaled_quant_kernelItDB8_Li32ELi128ELb0ELi64ELb1EEEvPT0_PfPKT_PKfliilPKii
	.globl	_ZN5aiter37dynamic_per_group_scaled_quant_kernelItDB8_Li32ELi128ELb0ELi64ELb1EEEvPT0_PfPKT_PKfliilPKii
	.p2align	8
	.type	_ZN5aiter37dynamic_per_group_scaled_quant_kernelItDB8_Li32ELi128ELb0ELi64ELb1EEEvPT0_PfPKT_PKfliilPKii,@function
_ZN5aiter37dynamic_per_group_scaled_quant_kernelItDB8_Li32ELi128ELb0ELi64ELb1EEEvPT0_PfPKT_PKfliilPKii: ; @_ZN5aiter37dynamic_per_group_scaled_quant_kernelItDB8_Li32ELi128ELb0ELi64ELb1EEEvPT0_PfPKT_PKfliilPKii
; %bb.0:
	s_load_dwordx2 s[0:1], s[4:5], 0x38
	s_waitcnt lgkmcnt(0)
	s_cmp_eq_u64 s[0:1], 0
	s_cbranch_scc1 .LBB61_2
; %bb.1:
	s_load_dword s2, s[4:5], 0x40
	s_load_dword s3, s[0:1], 0x0
	s_waitcnt lgkmcnt(0)
	s_mul_hi_i32 s9, s3, s2
	s_mul_i32 s8, s3, s2
	s_branch .LBB61_3
.LBB61_2:
	s_load_dwordx2 s[8:9], s[4:5], 0x20
.LBB61_3:
	s_load_dwordx2 s[2:3], s[4:5], 0x28
	s_mov_b32 s7, 0
	s_lshl_b64 s[0:1], s[6:7], 6
	v_or_b32_e32 v6, s0, v0
	v_mov_b32_e32 v7, s1
	s_waitcnt lgkmcnt(0)
	s_ashr_i32 s0, s2, 31
	s_lshr_b32 s0, s0, 25
	s_add_i32 s0, s2, s0
	s_ashr_i32 s2, s0, 7
	v_lshrrev_b64 v[2:3], 2, v[6:7]
	s_ashr_i32 s0, s2, 31
	v_or_b32_e32 v5, s0, v3
	v_mov_b32_e32 v4, 0
	v_cmp_ne_u64_e32 vcc, 0, v[4:5]
                                        ; implicit-def: $vgpr4_vgpr5
	s_and_saveexec_b64 s[6:7], vcc
	s_xor_b64 s[6:7], exec, s[6:7]
	s_cbranch_execz .LBB61_5
; %bb.4:
	s_add_u32 s12, s2, s0
	s_mov_b32 s10, s0
	s_mov_b32 s11, s0
	s_addc_u32 s13, s0, s0
	s_xor_b64 s[12:13], s[12:13], s[10:11]
	v_cvt_f32_u32_e32 v1, s12
	v_cvt_f32_u32_e32 v4, s13
	s_sub_u32 s0, 0, s12
	s_subb_u32 s1, 0, s13
	v_madmk_f32 v1, v4, 0x4f800000, v1
	v_rcp_f32_e32 v1, v1
	v_mul_f32_e32 v1, 0x5f7ffffc, v1
	v_mul_f32_e32 v4, 0x2f800000, v1
	v_trunc_f32_e32 v4, v4
	v_madmk_f32 v1, v4, 0xcf800000, v1
	v_cvt_u32_f32_e32 v4, v4
	v_cvt_u32_f32_e32 v1, v1
	v_mul_lo_u32 v5, s0, v4
	v_mul_hi_u32 v7, s0, v1
	v_mul_lo_u32 v6, s1, v1
	v_add_u32_e32 v5, v7, v5
	v_mul_lo_u32 v8, s0, v1
	v_add_u32_e32 v5, v5, v6
	v_mul_lo_u32 v7, v1, v5
	v_mul_hi_u32 v9, v1, v8
	v_mul_hi_u32 v6, v1, v5
	v_add_co_u32_e32 v7, vcc, v9, v7
	v_addc_co_u32_e32 v6, vcc, 0, v6, vcc
	v_mul_hi_u32 v10, v4, v8
	v_mul_lo_u32 v8, v4, v8
	v_add_co_u32_e32 v7, vcc, v7, v8
	v_mul_hi_u32 v9, v4, v5
	v_addc_co_u32_e32 v6, vcc, v6, v10, vcc
	v_addc_co_u32_e32 v7, vcc, 0, v9, vcc
	v_mul_lo_u32 v5, v4, v5
	v_add_co_u32_e32 v5, vcc, v6, v5
	v_addc_co_u32_e32 v6, vcc, 0, v7, vcc
	v_add_co_u32_e32 v1, vcc, v1, v5
	v_addc_co_u32_e32 v4, vcc, v4, v6, vcc
	v_mul_lo_u32 v5, s0, v4
	v_mul_hi_u32 v6, s0, v1
	v_add_u32_e32 v5, v6, v5
	v_mul_lo_u32 v6, s1, v1
	v_add_u32_e32 v5, v5, v6
	v_mul_lo_u32 v7, s0, v1
	v_mul_hi_u32 v8, v4, v7
	v_mul_lo_u32 v9, v4, v7
	v_mul_lo_u32 v11, v1, v5
	v_mul_hi_u32 v7, v1, v7
	v_mul_hi_u32 v10, v1, v5
	v_add_co_u32_e32 v7, vcc, v7, v11
	v_addc_co_u32_e32 v10, vcc, 0, v10, vcc
	v_add_co_u32_e32 v7, vcc, v7, v9
	v_mul_hi_u32 v6, v4, v5
	v_addc_co_u32_e32 v7, vcc, v10, v8, vcc
	v_addc_co_u32_e32 v6, vcc, 0, v6, vcc
	v_mul_lo_u32 v5, v4, v5
	v_add_co_u32_e32 v5, vcc, v7, v5
	v_addc_co_u32_e32 v6, vcc, 0, v6, vcc
	v_add_co_u32_e32 v1, vcc, v1, v5
	v_addc_co_u32_e32 v6, vcc, v4, v6, vcc
	v_mad_u64_u32 v[4:5], s[0:1], v2, v6, 0
	v_mul_hi_u32 v7, v2, v1
	v_add_co_u32_e32 v8, vcc, v7, v4
	v_addc_co_u32_e32 v9, vcc, 0, v5, vcc
	v_mad_u64_u32 v[4:5], s[0:1], v3, v6, 0
	v_mad_u64_u32 v[6:7], s[0:1], v3, v1, 0
	v_add_co_u32_e32 v1, vcc, v8, v6
	v_addc_co_u32_e32 v1, vcc, v9, v7, vcc
	v_addc_co_u32_e32 v5, vcc, 0, v5, vcc
	v_add_co_u32_e32 v1, vcc, v1, v4
	v_addc_co_u32_e32 v6, vcc, 0, v5, vcc
	v_mul_lo_u32 v7, s13, v1
	v_mul_lo_u32 v8, s12, v6
	v_mad_u64_u32 v[4:5], s[0:1], s12, v1, 0
	v_add3_u32 v5, v5, v8, v7
	v_sub_u32_e32 v7, v3, v5
	v_mov_b32_e32 v8, s13
	v_sub_co_u32_e32 v4, vcc, v2, v4
	v_subb_co_u32_e64 v7, s[0:1], v7, v8, vcc
	v_subrev_co_u32_e64 v8, s[0:1], s12, v4
	v_subbrev_co_u32_e64 v7, s[0:1], 0, v7, s[0:1]
	v_cmp_le_u32_e64 s[0:1], s13, v7
	v_cndmask_b32_e64 v9, 0, -1, s[0:1]
	v_cmp_le_u32_e64 s[0:1], s12, v8
	v_cndmask_b32_e64 v8, 0, -1, s[0:1]
	v_cmp_eq_u32_e64 s[0:1], s13, v7
	v_cndmask_b32_e64 v7, v9, v8, s[0:1]
	v_add_co_u32_e64 v8, s[0:1], 2, v1
	v_addc_co_u32_e64 v9, s[0:1], 0, v6, s[0:1]
	v_add_co_u32_e64 v10, s[0:1], 1, v1
	v_addc_co_u32_e64 v11, s[0:1], 0, v6, s[0:1]
	v_subb_co_u32_e32 v5, vcc, v3, v5, vcc
	v_cmp_ne_u32_e64 s[0:1], 0, v7
	v_cmp_le_u32_e32 vcc, s13, v5
	v_cndmask_b32_e64 v7, v11, v9, s[0:1]
	v_cndmask_b32_e64 v9, 0, -1, vcc
	v_cmp_le_u32_e32 vcc, s12, v4
	v_cndmask_b32_e64 v4, 0, -1, vcc
	v_cmp_eq_u32_e32 vcc, s13, v5
	v_cndmask_b32_e32 v4, v9, v4, vcc
	v_cmp_ne_u32_e32 vcc, 0, v4
	v_cndmask_b32_e64 v5, v10, v8, s[0:1]
	v_cndmask_b32_e32 v1, v1, v5, vcc
	v_cndmask_b32_e32 v4, v6, v7, vcc
	v_xor_b32_e32 v1, s10, v1
	v_xor_b32_e32 v5, s11, v4
	v_mov_b32_e32 v6, s11
	v_subrev_co_u32_e32 v4, vcc, s10, v1
	v_subb_co_u32_e32 v5, vcc, v5, v6, vcc
                                        ; implicit-def: $vgpr6_vgpr7
.LBB61_5:
	s_andn2_saveexec_b64 s[0:1], s[6:7]
	s_cbranch_execz .LBB61_7
; %bb.6:
	v_cvt_f32_u32_e32 v1, s2
	s_sub_i32 s6, 0, s2
	v_alignbit_b32 v4, v7, v6, 2
	v_rcp_iflag_f32_e32 v1, v1
	v_mul_f32_e32 v1, 0x4f7ffffe, v1
	v_cvt_u32_f32_e32 v1, v1
	v_mul_lo_u32 v5, s6, v1
	v_mul_hi_u32 v5, v1, v5
	v_add_u32_e32 v1, v1, v5
	v_mul_hi_u32 v1, v4, v1
	v_mul_lo_u32 v5, v1, s2
	v_sub_u32_e32 v4, v4, v5
	v_add_u32_e32 v6, 1, v1
	v_subrev_u32_e32 v5, s2, v4
	v_cmp_le_u32_e32 vcc, s2, v4
	v_cndmask_b32_e32 v4, v4, v5, vcc
	v_cndmask_b32_e32 v1, v1, v6, vcc
	v_add_u32_e32 v5, 1, v1
	v_cmp_le_u32_e32 vcc, s2, v4
	v_cndmask_b32_e32 v4, v1, v5, vcc
	v_mov_b32_e32 v5, 0
.LBB61_7:
	s_or_b64 exec, exec, s[0:1]
	v_mad_u64_u32 v[6:7], s[0:1], v4, s2, 0
	v_sub_co_u32_e32 v1, vcc, v2, v6
	v_cmp_gt_i64_e32 vcc, s[8:9], v[4:5]
	v_cmp_gt_i32_e64 s[0:1], s2, v1
	s_and_b64 s[0:1], vcc, s[0:1]
	s_and_saveexec_b64 s[6:7], s[0:1]
	s_cbranch_execz .LBB61_11
; %bb.8:
	s_load_dwordx2 s[0:1], s[4:5], 0x10
	s_load_dwordx2 s[8:9], s[4:5], 0x0
	s_ashr_i32 s2, s3, 31
	v_mul_lo_u32 v6, v5, s3
	v_mul_lo_u32 v7, v4, s2
	v_mad_u64_u32 v[4:5], s[2:3], v4, s3, 0
	v_add3_u32 v5, v5, v7, v6
	v_lshlrev_b64 v[4:5], 1, v[4:5]
	v_lshlrev_b32_e32 v6, 7, v1
	v_mov_b32_e32 v7, 0
	s_waitcnt lgkmcnt(0)
	v_mov_b32_e32 v1, s1
	v_add_co_u32_e32 v8, vcc, s0, v4
	v_addc_co_u32_e32 v1, vcc, v1, v5, vcc
	v_lshlrev_b64 v[4:5], 1, v[6:7]
	v_add_co_u32_e32 v4, vcc, v8, v4
	v_and_b32_e32 v44, 3, v0
	v_addc_co_u32_e32 v1, vcc, v1, v5, vcc
	v_lshlrev_b32_e32 v5, 6, v44
	v_add_co_u32_e32 v12, vcc, v4, v5
	v_addc_co_u32_e32 v13, vcc, 0, v1, vcc
	global_load_dwordx4 v[4:7], v[12:13], off
	global_load_dwordx4 v[8:11], v[12:13], off offset:16
	global_load_dwordx4 v[36:39], v[12:13], off offset:32
	;; [unrolled: 1-line block ×3, first 2 shown]
	s_mov_b32 s0, 0x2edbe6ff
	s_movk_i32 s1, 0xff
	s_waitcnt vmcnt(3)
	v_cvt_f32_u32_sdwa v35, v4 dst_sel:DWORD dst_unused:UNUSED_PAD src0_sel:WORD_1
	v_cvt_f32_u32_sdwa v34, v4 dst_sel:DWORD dst_unused:UNUSED_PAD src0_sel:WORD_0
	v_cvt_f32_u32_sdwa v33, v5 dst_sel:DWORD dst_unused:UNUSED_PAD src0_sel:WORD_1
	v_cvt_f32_u32_sdwa v32, v5 dst_sel:DWORD dst_unused:UNUSED_PAD src0_sel:WORD_0
	;; [unrolled: 2-line block ×4, first 2 shown]
	s_waitcnt vmcnt(2)
	v_cvt_f32_u32_sdwa v27, v8 dst_sel:DWORD dst_unused:UNUSED_PAD src0_sel:WORD_1
	v_cvt_f32_u32_sdwa v26, v8 dst_sel:DWORD dst_unused:UNUSED_PAD src0_sel:WORD_0
	v_max3_f32 v1, v34, s0, v35
	v_cvt_f32_u32_sdwa v25, v9 dst_sel:DWORD dst_unused:UNUSED_PAD src0_sel:WORD_1
	v_cvt_f32_u32_sdwa v24, v9 dst_sel:DWORD dst_unused:UNUSED_PAD src0_sel:WORD_0
	v_max3_f32 v1, v1, v32, v33
	v_cvt_f32_u32_sdwa v23, v10 dst_sel:DWORD dst_unused:UNUSED_PAD src0_sel:WORD_1
	v_cvt_f32_u32_sdwa v22, v10 dst_sel:DWORD dst_unused:UNUSED_PAD src0_sel:WORD_0
	v_max3_f32 v1, v1, v30, v31
	v_cvt_f32_u32_sdwa v21, v11 dst_sel:DWORD dst_unused:UNUSED_PAD src0_sel:WORD_1
	v_cvt_f32_u32_sdwa v20, v11 dst_sel:DWORD dst_unused:UNUSED_PAD src0_sel:WORD_0
	v_max3_f32 v1, v1, v28, v29
	s_waitcnt vmcnt(1)
	v_cvt_f32_u32_sdwa v19, v36 dst_sel:DWORD dst_unused:UNUSED_PAD src0_sel:WORD_1
	v_cvt_f32_u32_sdwa v18, v36 dst_sel:DWORD dst_unused:UNUSED_PAD src0_sel:WORD_0
	v_max3_f32 v1, v1, v26, v27
	v_cvt_f32_u32_sdwa v17, v37 dst_sel:DWORD dst_unused:UNUSED_PAD src0_sel:WORD_1
	v_cvt_f32_u32_sdwa v16, v37 dst_sel:DWORD dst_unused:UNUSED_PAD src0_sel:WORD_0
	v_max3_f32 v1, v1, v24, v25
	v_cvt_f32_u32_sdwa v15, v38 dst_sel:DWORD dst_unused:UNUSED_PAD src0_sel:WORD_1
	v_cvt_f32_u32_sdwa v14, v38 dst_sel:DWORD dst_unused:UNUSED_PAD src0_sel:WORD_0
	v_max3_f32 v1, v1, v22, v23
	v_cvt_f32_u32_sdwa v13, v39 dst_sel:DWORD dst_unused:UNUSED_PAD src0_sel:WORD_1
	v_cvt_f32_u32_sdwa v12, v39 dst_sel:DWORD dst_unused:UNUSED_PAD src0_sel:WORD_0
	v_max3_f32 v1, v1, v20, v21
	;; [unrolled: 13-line block ×3, first 2 shown]
	v_max3_f32 v1, v1, v10, v11
	v_max3_f32 v1, v1, v8, v9
	;; [unrolled: 1-line block ×4, first 2 shown]
	s_nop 1
	v_mov_b32_dpp v36, v1 quad_perm:[1,0,3,2] row_mask:0xf bank_mask:0xf
	v_cmp_gt_f32_e32 vcc, v1, v36
	v_cndmask_b32_e32 v1, v36, v1, vcc
	s_nop 1
	v_mov_b32_dpp v36, v1 quad_perm:[2,3,0,1] row_mask:0xf bank_mask:0xf
	v_cmp_gt_f32_e32 vcc, v1, v36
	v_cndmask_b32_e32 v1, v36, v1, vcc
	v_mul_f32_e32 v1, 0x3b124925, v1
	v_bfe_u32 v36, v1, 23, 8
	v_and_b32_e32 v1, 0x7fffff, v1
	v_cmp_ne_u32_e32 vcc, s1, v36
	v_cmp_ne_u32_e64 s[0:1], 0, v1
	s_and_b64 vcc, s[0:1], vcc
	v_addc_co_u32_e32 v1, vcc, 0, v36, vcc
	v_cmp_eq_u32_e32 vcc, 0, v44
	s_and_saveexec_b64 s[0:1], vcc
	s_cbranch_execz .LBB61_10
; %bb.9:
	s_load_dwordx2 s[2:3], s[4:5], 0x8
	s_waitcnt lgkmcnt(0)
	v_mov_b32_e32 v37, s3
	v_add_co_u32_e32 v36, vcc, s2, v2
	v_addc_co_u32_e32 v37, vcc, v37, v3, vcc
	global_store_byte v[36:37], v1, off
.LBB61_10:
	s_or_b64 exec, exec, s[0:1]
	v_lshlrev_b32_e32 v1, 23, v1
	v_div_scale_f32 v3, s[0:1], v1, v1, 1.0
	v_rcp_f32_e32 v36, v3
	v_lshlrev_b32_e32 v2, 7, v2
	v_lshlrev_b32_e32 v0, 5, v0
	s_movk_i32 s0, 0x60
	v_fma_f32 v37, -v3, v36, 1.0
	v_fmac_f32_e32 v36, v37, v36
	v_div_scale_f32 v37, vcc, 1.0, v1, 1.0
	v_mul_f32_e32 v38, v37, v36
	v_fma_f32 v39, -v3, v38, v37
	v_fmac_f32_e32 v38, v39, v36
	v_fma_f32 v3, -v3, v38, v37
	v_div_fmas_f32 v3, v3, v36, v38
	v_div_fixup_f32 v36, v3, v1, 1.0
	v_and_or_b32 v38, v0, s0, v2
	v_mov_b32_e32 v37, v36
	;;#ASMSTART
	v_pk_mul_f32 v[0:1], v[34:35], v[36:37]
	;;#ASMEND
	v_mov_b32_e32 v34, 0xc3e00000
	v_mov_b32_e32 v35, 0x43e00000
	;;#ASMSTART
	v_med3_f32 v0, v0, v34, v35
v_med3_f32 v1, v1, v34, v35
v_cvt_pk_fp8_f32 v2, v0, v1
	;;#ASMEND
	;;#ASMSTART
	v_pk_mul_f32 v[0:1], v[32:33], v[36:37]
	;;#ASMEND
	;;#ASMSTART
	v_med3_f32 v0, v0, v34, v35
v_med3_f32 v1, v1, v34, v35
v_cvt_pk_fp8_f32 v3, v0, v1
	;;#ASMEND
	s_mov_b32 s0, 0x5040100
	v_perm_b32 v0, v3, v2, s0
	s_mov_b32 s1, 0x1060504
	v_perm_b32 v0, v0, v3, s1
	;;#ASMSTART
	v_pk_mul_f32 v[2:3], v[30:31], v[36:37]
	;;#ASMEND
	v_mov_b32_e32 v1, v3
	;;#ASMSTART
	v_med3_f32 v2, v2, v34, v35
v_med3_f32 v1, v1, v34, v35
v_cvt_pk_fp8_f32 v30, v2, v1
	;;#ASMEND
	;;#ASMSTART
	v_pk_mul_f32 v[2:3], v[28:29], v[36:37]
	;;#ASMEND
	v_mov_b32_e32 v1, v3
	;;#ASMSTART
	v_med3_f32 v2, v2, v34, v35
v_med3_f32 v1, v1, v34, v35
v_cvt_pk_fp8_f32 v3, v2, v1
	;;#ASMEND
	s_mov_b32 s2, 0x1000504
	v_perm_b32 v1, v30, v3, s2
	;;#ASMSTART
	v_pk_mul_f32 v[2:3], v[26:27], v[36:37]
	;;#ASMEND
	;;#ASMSTART
	v_med3_f32 v2, v2, v34, v35
v_med3_f32 v3, v3, v34, v35
v_cvt_pk_fp8_f32 v26, v2, v3
	;;#ASMEND
	;;#ASMSTART
	v_pk_mul_f32 v[2:3], v[24:25], v[36:37]
	;;#ASMEND
	;;#ASMSTART
	v_med3_f32 v2, v2, v34, v35
v_med3_f32 v3, v3, v34, v35
v_cvt_pk_fp8_f32 v24, v2, v3
	;;#ASMEND
	s_load_dword s10, s[4:5], 0x30
	;;#ASMSTART
	v_pk_mul_f32 v[22:23], v[22:23], v[36:37]
	;;#ASMEND
	v_mov_b32_e32 v3, v23
	;;#ASMSTART
	v_med3_f32 v22, v22, v34, v35
v_med3_f32 v3, v3, v34, v35
v_cvt_pk_fp8_f32 v23, v22, v3
	;;#ASMEND
	;;#ASMSTART
	v_pk_mul_f32 v[20:21], v[20:21], v[36:37]
	;;#ASMEND
	v_mov_b32_e32 v3, v21
	;;#ASMSTART
	v_med3_f32 v20, v20, v34, v35
v_med3_f32 v3, v3, v34, v35
v_cvt_pk_fp8_f32 v21, v20, v3
	;;#ASMEND
	s_and_b32 s9, s9, 0xffff
	s_mov_b32 s11, 0x20000
	v_perm_b32 v2, v26, v24, s2
	v_perm_b32 v3, v23, v21, s2
	s_waitcnt lgkmcnt(0)
	buffer_store_dwordx4 v[0:3], v38, s[8:11], 0 offen
	;;#ASMSTART
	s_nop 0
	;;#ASMEND
	s_nop 0
	;;#ASMSTART
	v_pk_mul_f32 v[0:1], v[18:19], v[36:37]
	;;#ASMEND
	;;#ASMSTART
	v_med3_f32 v0, v0, v34, v35
v_med3_f32 v1, v1, v34, v35
v_cvt_pk_fp8_f32 v2, v0, v1
	;;#ASMEND
	;;#ASMSTART
	v_pk_mul_f32 v[0:1], v[16:17], v[36:37]
	;;#ASMEND
	;;#ASMSTART
	v_med3_f32 v0, v0, v34, v35
v_med3_f32 v1, v1, v34, v35
v_cvt_pk_fp8_f32 v3, v0, v1
	;;#ASMEND
	v_perm_b32 v0, v3, v2, s0
	v_perm_b32 v0, v0, v3, s1
	;;#ASMSTART
	v_pk_mul_f32 v[2:3], v[14:15], v[36:37]
	;;#ASMEND
	v_mov_b32_e32 v1, v3
	;;#ASMSTART
	v_med3_f32 v2, v2, v34, v35
v_med3_f32 v1, v1, v34, v35
v_cvt_pk_fp8_f32 v14, v2, v1
	;;#ASMEND
	;;#ASMSTART
	v_pk_mul_f32 v[2:3], v[12:13], v[36:37]
	;;#ASMEND
	v_mov_b32_e32 v1, v3
	;;#ASMSTART
	v_med3_f32 v2, v2, v34, v35
v_med3_f32 v1, v1, v34, v35
v_cvt_pk_fp8_f32 v3, v2, v1
	;;#ASMEND
	v_perm_b32 v1, v14, v3, s2
	;;#ASMSTART
	v_pk_mul_f32 v[2:3], v[10:11], v[36:37]
	;;#ASMEND
	;;#ASMSTART
	v_med3_f32 v2, v2, v34, v35
v_med3_f32 v3, v3, v34, v35
v_cvt_pk_fp8_f32 v10, v2, v3
	;;#ASMEND
	;;#ASMSTART
	v_pk_mul_f32 v[2:3], v[8:9], v[36:37]
	;;#ASMEND
	;;#ASMSTART
	v_med3_f32 v2, v2, v34, v35
v_med3_f32 v3, v3, v34, v35
v_cvt_pk_fp8_f32 v8, v2, v3
	;;#ASMEND
	;;#ASMSTART
	v_pk_mul_f32 v[6:7], v[6:7], v[36:37]
	;;#ASMEND
	v_mov_b32_e32 v3, v7
	;;#ASMSTART
	v_med3_f32 v6, v6, v34, v35
v_med3_f32 v3, v3, v34, v35
v_cvt_pk_fp8_f32 v7, v6, v3
	;;#ASMEND
	;;#ASMSTART
	v_pk_mul_f32 v[4:5], v[4:5], v[36:37]
	;;#ASMEND
	v_mov_b32_e32 v3, v5
	;;#ASMSTART
	v_med3_f32 v4, v4, v34, v35
v_med3_f32 v3, v3, v34, v35
v_cvt_pk_fp8_f32 v5, v4, v3
	;;#ASMEND
	v_perm_b32 v2, v10, v8, s2
	v_perm_b32 v3, v7, v5, s2
	buffer_store_dwordx4 v[0:3], v38, s[8:11], 16 offen
	;;#ASMSTART
	s_nop 0
	;;#ASMEND
.LBB61_11:
	s_endpgm
	.section	.rodata,"a",@progbits
	.p2align	6, 0x0
	.amdhsa_kernel _ZN5aiter37dynamic_per_group_scaled_quant_kernelItDB8_Li32ELi128ELb0ELi64ELb1EEEvPT0_PfPKT_PKfliilPKii
		.amdhsa_group_segment_fixed_size 0
		.amdhsa_private_segment_fixed_size 0
		.amdhsa_kernarg_size 68
		.amdhsa_user_sgpr_count 6
		.amdhsa_user_sgpr_private_segment_buffer 1
		.amdhsa_user_sgpr_dispatch_ptr 0
		.amdhsa_user_sgpr_queue_ptr 0
		.amdhsa_user_sgpr_kernarg_segment_ptr 1
		.amdhsa_user_sgpr_dispatch_id 0
		.amdhsa_user_sgpr_flat_scratch_init 0
		.amdhsa_user_sgpr_kernarg_preload_length 0
		.amdhsa_user_sgpr_kernarg_preload_offset 0
		.amdhsa_user_sgpr_private_segment_size 0
		.amdhsa_uses_dynamic_stack 0
		.amdhsa_system_sgpr_private_segment_wavefront_offset 0
		.amdhsa_system_sgpr_workgroup_id_x 1
		.amdhsa_system_sgpr_workgroup_id_y 0
		.amdhsa_system_sgpr_workgroup_id_z 0
		.amdhsa_system_sgpr_workgroup_info 0
		.amdhsa_system_vgpr_workitem_id 0
		.amdhsa_next_free_vgpr 45
		.amdhsa_next_free_sgpr 14
		.amdhsa_accum_offset 48
		.amdhsa_reserve_vcc 1
		.amdhsa_reserve_flat_scratch 0
		.amdhsa_float_round_mode_32 0
		.amdhsa_float_round_mode_16_64 0
		.amdhsa_float_denorm_mode_32 3
		.amdhsa_float_denorm_mode_16_64 3
		.amdhsa_dx10_clamp 1
		.amdhsa_ieee_mode 1
		.amdhsa_fp16_overflow 0
		.amdhsa_tg_split 0
		.amdhsa_exception_fp_ieee_invalid_op 0
		.amdhsa_exception_fp_denorm_src 0
		.amdhsa_exception_fp_ieee_div_zero 0
		.amdhsa_exception_fp_ieee_overflow 0
		.amdhsa_exception_fp_ieee_underflow 0
		.amdhsa_exception_fp_ieee_inexact 0
		.amdhsa_exception_int_div_zero 0
	.end_amdhsa_kernel
	.section	.text._ZN5aiter37dynamic_per_group_scaled_quant_kernelItDB8_Li32ELi128ELb0ELi64ELb1EEEvPT0_PfPKT_PKfliilPKii,"axG",@progbits,_ZN5aiter37dynamic_per_group_scaled_quant_kernelItDB8_Li32ELi128ELb0ELi64ELb1EEEvPT0_PfPKT_PKfliilPKii,comdat
.Lfunc_end61:
	.size	_ZN5aiter37dynamic_per_group_scaled_quant_kernelItDB8_Li32ELi128ELb0ELi64ELb1EEEvPT0_PfPKT_PKfliilPKii, .Lfunc_end61-_ZN5aiter37dynamic_per_group_scaled_quant_kernelItDB8_Li32ELi128ELb0ELi64ELb1EEEvPT0_PfPKT_PKfliilPKii
                                        ; -- End function
	.section	.AMDGPU.csdata,"",@progbits
; Kernel info:
; codeLenInByte = 2476
; NumSgprs: 18
; NumVgprs: 45
; NumAgprs: 0
; TotalNumVgprs: 45
; ScratchSize: 0
; MemoryBound: 0
; FloatMode: 240
; IeeeMode: 1
; LDSByteSize: 0 bytes/workgroup (compile time only)
; SGPRBlocks: 2
; VGPRBlocks: 5
; NumSGPRsForWavesPerEU: 18
; NumVGPRsForWavesPerEU: 45
; AccumOffset: 48
; Occupancy: 8
; WaveLimiterHint : 0
; COMPUTE_PGM_RSRC2:SCRATCH_EN: 0
; COMPUTE_PGM_RSRC2:USER_SGPR: 6
; COMPUTE_PGM_RSRC2:TRAP_HANDLER: 0
; COMPUTE_PGM_RSRC2:TGID_X_EN: 1
; COMPUTE_PGM_RSRC2:TGID_Y_EN: 0
; COMPUTE_PGM_RSRC2:TGID_Z_EN: 0
; COMPUTE_PGM_RSRC2:TIDIG_COMP_CNT: 0
; COMPUTE_PGM_RSRC3_GFX90A:ACCUM_OFFSET: 11
; COMPUTE_PGM_RSRC3_GFX90A:TG_SPLIT: 0
	.section	.text._ZN5aiter36smooth_per_token_scaled_quant_kernelIDF16_DB8_Li256ELi8ELb1ELb1ELb1ELi1024EEEvPT0_PfPT_S4_PiS7_iiPKiiiiiiiii,"axG",@progbits,_ZN5aiter36smooth_per_token_scaled_quant_kernelIDF16_DB8_Li256ELi8ELb1ELb1ELb1ELi1024EEEvPT0_PfPT_S4_PiS7_iiPKiiiiiiiii,comdat
	.protected	_ZN5aiter36smooth_per_token_scaled_quant_kernelIDF16_DB8_Li256ELi8ELb1ELb1ELb1ELi1024EEEvPT0_PfPT_S4_PiS7_iiPKiiiiiiiii ; -- Begin function _ZN5aiter36smooth_per_token_scaled_quant_kernelIDF16_DB8_Li256ELi8ELb1ELb1ELb1ELi1024EEEvPT0_PfPT_S4_PiS7_iiPKiiiiiiiii
	.globl	_ZN5aiter36smooth_per_token_scaled_quant_kernelIDF16_DB8_Li256ELi8ELb1ELb1ELb1ELi1024EEEvPT0_PfPT_S4_PiS7_iiPKiiiiiiiii
	.p2align	8
	.type	_ZN5aiter36smooth_per_token_scaled_quant_kernelIDF16_DB8_Li256ELi8ELb1ELb1ELb1ELi1024EEEvPT0_PfPT_S4_PiS7_iiPKiiiiiiiii,@function
_ZN5aiter36smooth_per_token_scaled_quant_kernelIDF16_DB8_Li256ELi8ELb1ELb1ELb1ELi1024EEEvPT0_PfPT_S4_PiS7_iiPKiiiiiiiii: ; @_ZN5aiter36smooth_per_token_scaled_quant_kernelIDF16_DB8_Li256ELi8ELb1ELb1ELb1ELi1024EEEvPT0_PfPT_S4_PiS7_iiPKiiiiiiiii
; %bb.0:
	s_load_dwordx2 s[16:17], s[4:5], 0x38
	s_load_dwordx2 s[0:1], s[4:5], 0x28
	s_load_dwordx8 s[8:15], s[4:5], 0x40
	s_mov_b64 s[2:3], 0
	s_waitcnt lgkmcnt(0)
	s_cmp_lg_u64 s[16:17], 0
	s_cbranch_scc0 .LBB62_11
; %bb.1:
	s_load_dword s7, s[16:17], 0x0
	s_waitcnt lgkmcnt(0)
	s_mul_i32 s7, s7, s8
	s_andn2_b64 vcc, exec, s[2:3]
	s_cbranch_vccnz .LBB62_3
.LBB62_2:
	s_mul_i32 s7, s10, s9
.LBB62_3:
	s_load_dwordx2 s[34:35], s[4:5], 0x30
	v_and_b32_e32 v1, 0x3c0, v0
	v_lshlrev_b32_e32 v1, 2, v1
	v_lshlrev_b32_e32 v2, 2, v0
	v_readfirstlane_b32 s8, v1
	v_add_u32_e32 v3, 0x400, v1
	s_lshl_b32 s2, s15, 2
	s_and_b32 s1, s1, 0xffff
	s_mov_b32 s3, 0x20000
	;;#ASMSTART
	s_mov_b32 m0 s8
	buffer_load_dword v2, s[0:3], 0 offen offset:0 lds
	
	;;#ASMEND
	v_readfirstlane_b32 s8, v3
	v_add_u32_e32 v3, 0x400, v2
	;;#ASMSTART
	s_mov_b32 m0 s8
	buffer_load_dword v3, s[0:3], 0 offen offset:0 lds
	
	;;#ASMEND
	v_add_u32_e32 v3, 0x800, v1
	s_waitcnt lgkmcnt(0)
	s_abs_i32 s15, s34
	v_readfirstlane_b32 s8, v3
	v_cvt_f32_u32_e32 v3, s15
	v_add_u32_e32 v1, 0xc00, v1
	v_add_u32_e32 v4, 0x800, v2
	v_readfirstlane_b32 s18, v1
	v_rcp_iflag_f32_e32 v3, v3
	v_add_u32_e32 v1, 0xc00, v2
	s_sub_i32 s17, 0, s15
	s_abs_i32 s16, s7
	v_mul_f32_e32 v2, 0x4f7ffffe, v3
	v_cvt_u32_f32_e32 v2, v2
	;;#ASMSTART
	s_mov_b32 m0 s8
	buffer_load_dword v4, s[0:3], 0 offen offset:0 lds
	
	;;#ASMEND
	s_xor_b32 s8, s7, s34
	s_ashr_i32 s8, s8, 31
	v_readfirstlane_b32 s19, v2
	s_mul_i32 s17, s17, s19
	s_mul_hi_u32 s17, s19, s17
	s_add_i32 s19, s19, s17
	s_mul_hi_u32 s17, s16, s19
	s_mul_i32 s19, s17, s15
	s_sub_i32 s16, s16, s19
	s_add_i32 s19, s17, 1
	s_sub_i32 s20, s16, s15
	s_cmp_ge_u32 s16, s15
	s_cselect_b32 s17, s19, s17
	s_cselect_b32 s16, s20, s16
	s_add_i32 s19, s17, 1
	s_cmp_ge_u32 s16, s15
	s_cselect_b32 s15, s19, s17
	s_xor_b32 s15, s15, s8
	s_sub_i32 s8, s15, s8
	s_mul_i32 s15, s8, s34
	s_sub_i32 s15, s7, s15
	s_cmp_lt_u32 s6, s15
	;;#ASMSTART
	s_mov_b32 m0 s18
	buffer_load_dword v1, s[0:3], 0 offen offset:0 lds
	
	;;#ASMEND
	s_cselect_b64 s[16:17], -1, 0
	s_add_i32 s7, s8, 1
	s_cmp_ge_u32 s6, s15
	s_cbranch_scc0 .LBB62_5
; %bb.4:
	s_sub_i32 s1, s6, s15
	s_mul_i32 s0, s15, s7
	s_mul_i32 s1, s1, s8
	s_add_i32 s40, s1, s0
	s_cbranch_execz .LBB62_6
	s_branch .LBB62_7
.LBB62_5:
                                        ; implicit-def: $sgpr40
.LBB62_6:
	s_mul_i32 s40, s7, s6
.LBB62_7:
	v_cndmask_b32_e64 v1, 0, 1, s[16:17]
	v_readfirstlane_b32 s0, v1
	s_add_i32 s8, s8, s0
	s_cmp_lt_i32 s8, 1
	s_cbranch_scc1 .LBB62_35
; %bb.8:
	s_load_dwordx2 s[0:1], s[4:5], 0x20
	s_ashr_i32 s41, s40, 31
	s_lshl_b64 s[2:3], s[40:41], 2
	v_and_b32_e32 v1, 63, v0
	s_mov_b32 s27, 0x20000
	s_waitcnt lgkmcnt(0)
	s_add_u32 s24, s0, s2
	s_addc_u32 s0, s1, s3
	s_lshl_b32 s26, s8, 2
	s_and_b32 s25, s0, 0xffff
	v_lshlrev_b32_e32 v22, 2, v1
	buffer_load_dword v2, v22, s[24:27], 0 offen
	s_abs_i32 s34, s10
	v_cmp_eq_u32_e64 s[0:1], 63, v1
	v_cvt_f32_u32_e32 v1, s34
	s_add_i32 s2, s35, 7
	s_load_dwordx8 s[16:23], s[4:5], 0x0
	s_ashr_i32 s4, s2, 31
	v_rcp_iflag_f32_e32 v1, v1
	s_waitcnt vmcnt(0) lgkmcnt(0)
	s_barrier
	v_mul_f32_e32 v1, 0x4f7ffffe, v1
	v_cvt_u32_f32_e32 v1, v1
	s_add_i32 s3, s35, 3
	s_lshr_b32 s4, s4, 29
	s_ashr_i32 s5, s3, 31
	s_add_i32 s2, s2, s4
	s_sub_i32 s4, 0, s34
	v_readfirstlane_b32 s42, v1
	s_lshr_b32 s5, s5, 30
	s_mul_i32 s4, s4, s42
	s_add_i32 s3, s3, s5
	s_mul_hi_u32 s4, s42, s4
	v_lshrrev_b32_e32 v3, 4, v0
	v_mov_b32_e32 v4, 0x1000
	v_and_b32_e32 v5, 3, v0
	s_lshl_b32 s6, s35, 1
	s_lshl_b32 s30, s35, 2
	s_ashr_i32 s33, s10, 31
	s_ashr_i32 s2, s2, 3
	s_and_b32 s38, s3, -4
	s_add_i32 s42, s42, s4
	s_mov_b32 s15, s35
	v_lshlrev_b32_e32 v16, 4, v0
	v_lshlrev_b32_e32 v17, 5, v0
	v_cmp_eq_u32_e32 vcc, 0, v0
	v_and_or_b32 v18, v3, 60, v4
	v_lshl_or_b32 v19, v5, 2, v4
	v_cmp_gt_u32_e64 s[2:3], s2, v0
	v_lshlrev_b32_e32 v20, 3, v0
	v_lshlrev_b32_e32 v2, 2, v2
	ds_read_b32 v21, v2
	s_waitcnt lgkmcnt(0)
	v_readlane_b32 s28, v21, 0
	s_cmp_lt_i32 s28, 0
	s_cbranch_scc1 .LBB62_12
; %bb.9:
	s_abs_i32 s27, s40
	s_mul_hi_u32 s4, s27, s42
	s_mul_i32 s7, s4, s34
	s_sub_i32 s7, s27, s7
	s_xor_b32 s5, s41, s33
	s_add_i32 s29, s4, 1
	s_sub_i32 s31, s7, s34
	s_cmp_ge_u32 s7, s34
	s_cselect_b32 s4, s29, s4
	s_cselect_b32 s7, s31, s7
	s_add_i32 s29, s4, 1
	s_cmp_ge_u32 s7, s34
	s_cselect_b32 s4, s29, s4
	s_xor_b32 s4, s4, s5
	s_sub_i32 s4, s4, s5
	s_mul_i32 s5, s4, s10
	s_sub_i32 s5, s40, s5
	s_mul_i32 s5, s5, s12
	s_mul_i32 s4, s4, s11
	s_add_i32 s43, s5, s4
	s_cmp_eq_u32 s43, -1
	s_cbranch_scc1 .LBB62_13
; %bb.10:
	s_mul_hi_i32 s5, s43, s15
	s_mul_i32 s4, s43, s15
	s_lshl_b64 s[4:5], s[4:5], 1
	s_add_u32 s4, s20, s4
	s_addc_u32 s5, s21, s5
	s_and_b32 s5, s5, 0xffff
	s_mov_b32 s7, 0x20000
	buffer_load_dwordx4 v[4:7], v16, s[4:7], 0 offen
	s_waitcnt vmcnt(0)
	v_cvt_f32_f16_e32 v0, v4
	v_cvt_f32_f16_sdwa v1, v4 dst_sel:DWORD dst_unused:UNUSED_PAD src0_sel:WORD_1
	v_cvt_f32_f16_e32 v2, v5
	v_cvt_f32_f16_sdwa v3, v5 dst_sel:DWORD dst_unused:UNUSED_PAD src0_sel:WORD_1
	;; [unrolled: 2-line block ×4, first 2 shown]
	s_branch .LBB62_14
.LBB62_11:
                                        ; implicit-def: $sgpr7
	s_branch .LBB62_2
.LBB62_12:
	s_mov_b32 s43, -1
                                        ; implicit-def: $vgpr0_vgpr1_vgpr2_vgpr3_vgpr4_vgpr5_vgpr6_vgpr7
	s_cmp_eq_u32 s8, 1
	s_mov_b32 s41, 1
	s_cbranch_scc0 .LBB62_21
	s_branch .LBB62_35
.LBB62_13:
                                        ; implicit-def: $vgpr0_vgpr1_vgpr2_vgpr3_vgpr4_vgpr5_vgpr6_vgpr7
.LBB62_14:
	s_mul_i32 s4, s28, s35
	s_ashr_i32 s5, s4, 31
	s_lshl_b64 s[4:5], s[4:5], 2
	s_add_u32 s28, s22, s4
	s_addc_u32 s4, s23, s5
	s_and_b32 s29, s4, 0xffff
	s_mov_b32 s31, 0x20000
	buffer_load_dwordx4 v[8:11], v17, s[28:31], 0 offen
	buffer_load_dwordx4 v[24:27], v17, s[28:31], 16 offen
	s_mov_b32 s4, 0x2edbe6ff
	s_waitcnt vmcnt(1)
	v_pk_mul_f32 v[14:15], v[0:1], v[8:9]
	v_pk_mul_f32 v[12:13], v[2:3], v[10:11]
	v_max3_f32 v23, |v14|, s4, |v15|
	s_waitcnt vmcnt(0)
	v_pk_mul_f32 v[10:11], v[4:5], v[24:25]
	v_max3_f32 v23, v23, |v12|, |v13|
	v_pk_mul_f32 v[8:9], v[6:7], v[26:27]
	v_max3_f32 v23, v23, |v10|, |v11|
	v_max3_f32 v23, v23, |v8|, |v9|
	s_nop 1
	v_mov_b32_dpp v24, v23 quad_perm:[1,0,3,2] row_mask:0xf bank_mask:0xf
	v_cmp_gt_f32_e64 s[4:5], v23, v24
	v_cndmask_b32_e64 v23, v24, v23, s[4:5]
	s_nop 1
	v_mov_b32_dpp v24, v23 quad_perm:[2,3,0,1] row_mask:0xf bank_mask:0xf
	v_cmp_gt_f32_e64 s[4:5], v23, v24
	v_cndmask_b32_e64 v23, v24, v23, s[4:5]
	s_nop 1
	v_mov_b32_dpp v24, v23 row_half_mirror row_mask:0xf bank_mask:0xf
	v_cmp_gt_f32_e64 s[4:5], v23, v24
	v_cndmask_b32_e64 v23, v24, v23, s[4:5]
	s_nop 1
	v_mov_b32_dpp v24, v23 row_mirror row_mask:0xf bank_mask:0xf
	v_cmp_gt_f32_e64 s[4:5], v23, v24
	v_cndmask_b32_e64 v23, v24, v23, s[4:5]
	s_nop 1
	v_mov_b32_dpp v24, v23 row_bcast:15 row_mask:0xf bank_mask:0xf
	v_cmp_gt_f32_e64 s[4:5], v23, v24
	v_cndmask_b32_e64 v23, v24, v23, s[4:5]
	s_nop 1
	v_mov_b32_dpp v24, v23 row_bcast:31 row_mask:0xf bank_mask:0xf
	s_and_saveexec_b64 s[28:29], s[0:1]
	s_cbranch_execz .LBB62_16
; %bb.15:
	v_cmp_gt_f32_e64 s[4:5], v23, v24
	v_cndmask_b32_e64 v23, v24, v23, s[4:5]
	ds_write_b32 v18, v23
.LBB62_16:
	s_or_b64 exec, exec, s[28:29]
	s_waitcnt lgkmcnt(0)
	s_barrier
	ds_read_b32 v23, v19
	s_abs_i32 s7, s9
	v_cvt_f32_u32_e32 v25, s7
	s_waitcnt lgkmcnt(0)
	v_mov_b32_dpp v24, v23 quad_perm:[1,0,3,2] row_mask:0xf bank_mask:0xf
	v_cmp_gt_f32_e64 s[4:5], v23, v24
	v_rcp_iflag_f32_e32 v25, v25
	v_cndmask_b32_e64 v23, v24, v23, s[4:5]
	s_nop 1
	v_mov_b32_dpp v24, v23 quad_perm:[2,3,0,1] row_mask:0xf bank_mask:0xf
	v_cmp_gt_f32_e64 s[4:5], v23, v24
	v_cndmask_b32_e64 v23, v24, v23, s[4:5]
	v_mul_f32_e32 v24, 0x4f7ffffe, v25
	v_cvt_u32_f32_e32 v24, v24
	s_sub_i32 s5, 0, s7
	s_ashr_i32 s4, s9, 31
	s_xor_b32 s4, s41, s4
	v_readfirstlane_b32 s28, v24
	s_mul_i32 s5, s5, s28
	s_mul_hi_u32 s5, s28, s5
	s_add_i32 s28, s28, s5
	s_mul_hi_u32 s5, s27, s28
	s_mul_i32 s28, s5, s7
	s_sub_i32 s27, s27, s28
	s_add_i32 s28, s5, 1
	s_sub_i32 s29, s27, s7
	s_cmp_ge_u32 s27, s7
	s_cselect_b32 s5, s28, s5
	s_cselect_b32 s27, s29, s27
	s_add_i32 s28, s5, 1
	s_cmp_ge_u32 s27, s7
	s_cselect_b32 s5, s28, s5
	s_xor_b32 s5, s5, s4
	s_sub_i32 s4, s5, s4
	s_mul_i32 s5, s4, s9
	s_sub_i32 s5, s40, s5
	s_mul_i32 s5, s5, s14
	s_mul_i32 s4, s4, s13
	v_mul_f32_e32 v23, 0x3b124925, v23
	s_add_i32 s28, s5, s4
	s_and_saveexec_b64 s[4:5], vcc
	s_cbranch_execz .LBB62_18
; %bb.17:
	s_ashr_i32 s29, s28, 31
	s_lshl_b64 s[36:37], s[28:29], 2
	s_add_u32 s36, s18, s36
	s_addc_u32 s37, s19, s37
	v_mov_b32_e32 v24, 0
	global_store_dword v24, v23, s[36:37]
.LBB62_18:
	s_or_b64 exec, exec, s[4:5]
	s_and_saveexec_b64 s[4:5], s[2:3]
	s_cbranch_execz .LBB62_20
; %bb.19:
	v_rcp_f32_e32 v24, v23
	s_mul_i32 s27, s28, s15
	s_mul_hi_i32 s7, s28, s15
	s_add_u32 s36, s16, s27
	v_mov_b32_e32 v25, v24
	;;#ASMSTART
	v_pk_mul_f32 v[14:15], v[14:15], v[24:25]
	;;#ASMEND
	s_addc_u32 s7, s17, s7
	v_mov_b32_e32 v23, 0xc3e00000
	v_mov_b32_e32 v26, 0x43e00000
	;;#ASMSTART
	v_med3_f32 v14, v14, v23, v26
v_med3_f32 v15, v15, v23, v26
v_cvt_pk_fp8_f32 v27, v14, v15
	;;#ASMEND
	;;#ASMSTART
	v_pk_mul_f32 v[12:13], v[12:13], v[24:25]
	;;#ASMEND
	s_and_b32 s37, s7, 0xffff
	;;#ASMSTART
	v_med3_f32 v12, v12, v23, v26
v_med3_f32 v13, v13, v23, v26
v_cvt_pk_fp8_f32 v14, v12, v13
	;;#ASMEND
	s_mov_b32 s7, 0x5040100
	v_perm_b32 v13, v14, v27, s7
	s_movk_i32 s7, 0xff
	v_and_b32_e32 v12, 0xffffff00, v14
	v_and_b32_sdwa v14, v13, s7 dst_sel:DWORD dst_unused:UNUSED_PAD src0_sel:WORD_1 src1_sel:DWORD
	s_mov_b32 s27, 0xffff
	v_or_b32_sdwa v12, v14, v12 dst_sel:WORD_1 dst_unused:UNUSED_PAD src0_sel:DWORD src1_sel:DWORD
	;;#ASMSTART
	v_pk_mul_f32 v[10:11], v[10:11], v[24:25]
	;;#ASMEND
	v_and_or_b32 v12, v13, s27, v12
	;;#ASMSTART
	v_med3_f32 v10, v10, v23, v26
v_med3_f32 v11, v11, v23, v26
v_cvt_pk_fp8_f32 v13, v10, v11
	;;#ASMEND
	;;#ASMSTART
	v_pk_mul_f32 v[8:9], v[8:9], v[24:25]
	;;#ASMEND
	;;#ASMSTART
	v_med3_f32 v8, v8, v23, v26
v_med3_f32 v9, v9, v23, v26
v_cvt_pk_fp8_f32 v10, v8, v9
	;;#ASMEND
	v_lshlrev_b32_e32 v8, 16, v10
	s_mov_b32 s39, 0x20000
	v_and_or_b32 v13, v13, s27, v8
	buffer_store_dwordx2 v[12:13], v20, s[36:39], 0 offen
	;;#ASMSTART
	s_nop 0
	;;#ASMEND
.LBB62_20:
	s_or_b64 exec, exec, s[4:5]
	s_cmp_eq_u32 s8, 1
	s_mov_b32 s41, 1
	s_cbranch_scc1 .LBB62_35
.LBB62_21:
	s_abs_i32 s44, s9
	v_cvt_f32_u32_e32 v8, s44
	s_sub_i32 s4, 0, s44
	s_ashr_i32 s45, s9, 31
	v_add_u32_e32 v22, 4, v22
	v_rcp_iflag_f32_e32 v8, v8
	s_mov_b32 s46, 0xffff
	s_mov_b32 s31, 0x20000
	;; [unrolled: 1-line block ×3, first 2 shown]
	v_mul_f32_e32 v8, 0x4f7ffffe, v8
	v_cvt_u32_f32_e32 v8, v8
	v_mov_b32_e32 v23, 0
	v_mov_b32_e32 v24, 0xc3e00000
	;; [unrolled: 1-line block ×3, first 2 shown]
	v_readfirstlane_b32 s5, v8
	s_mul_i32 s4, s4, s5
	s_mul_hi_u32 s4, s5, s4
	s_add_i32 s48, s5, s4
	s_mov_b32 s49, 0x5040100
	s_movk_i32 s50, 0xff
	s_branch .LBB62_24
.LBB62_22:                              ;   in Loop: Header=BB62_24 Depth=1
	s_or_b64 exec, exec, s[4:5]
.LBB62_23:                              ;   in Loop: Header=BB62_24 Depth=1
	s_add_i32 s41, s41, 1
	s_cmp_eq_u32 s8, s41
	v_add_u32_e32 v22, 4, v22
	s_cbranch_scc1 .LBB62_35
.LBB62_24:                              ; =>This Inner Loop Header: Depth=1
	s_and_b32 s4, s41, 63
	s_cmp_lg_u32 s4, 0
	s_cbranch_scc1 .LBB62_26
; %bb.25:                               ;   in Loop: Header=BB62_24 Depth=1
	s_mov_b32 s27, s31
	buffer_load_dword v8, v22, s[24:27], 0 offen
	s_waitcnt vmcnt(0)
	v_lshlrev_b32_e32 v8, 2, v8
	ds_read_b32 v21, v8
.LBB62_26:                              ;   in Loop: Header=BB62_24 Depth=1
	s_waitcnt lgkmcnt(0)
	v_readlane_b32 s28, v21, s4
	s_cmp_lt_i32 s28, 0
	s_cbranch_scc1 .LBB62_23
; %bb.27:                               ;   in Loop: Header=BB62_24 Depth=1
	s_add_i32 s27, s40, s41
	s_abs_i32 s36, s27
	s_mul_hi_u32 s5, s36, s42
	s_mul_i32 s7, s5, s34
	s_ashr_i32 s37, s27, 31
	s_sub_i32 s7, s36, s7
	s_xor_b32 s4, s37, s33
	s_add_i32 s29, s5, 1
	s_sub_i32 s39, s7, s34
	s_cmp_ge_u32 s7, s34
	s_cselect_b32 s5, s29, s5
	s_cselect_b32 s7, s39, s7
	s_add_i32 s29, s5, 1
	s_cmp_ge_u32 s7, s34
	s_cselect_b32 s5, s29, s5
	s_xor_b32 s5, s5, s4
	s_sub_i32 s4, s5, s4
	s_mul_i32 s5, s4, s10
	s_sub_i32 s5, s27, s5
	s_mul_i32 s29, s5, s12
	s_mul_i32 s4, s4, s11
	s_add_i32 s29, s29, s4
	s_cmp_eq_u32 s29, s43
	s_cbranch_scc1 .LBB62_29
; %bb.28:                               ;   in Loop: Header=BB62_24 Depth=1
	s_mul_hi_i32 s5, s29, s15
	s_mul_i32 s4, s29, s15
	s_lshl_b64 s[4:5], s[4:5], 1
	s_add_u32 s4, s20, s4
	s_addc_u32 s5, s21, s5
	s_and_b32 s5, s5, 0xffff
	s_mov_b32 s7, s31
	buffer_load_dwordx4 v[4:7], v16, s[4:7], 0 offen
	s_mov_b32 s43, s29
	s_waitcnt vmcnt(0)
	v_cvt_f32_f16_e32 v0, v4
	v_cvt_f32_f16_sdwa v1, v4 dst_sel:DWORD dst_unused:UNUSED_PAD src0_sel:WORD_1
	v_cvt_f32_f16_e32 v2, v5
	v_cvt_f32_f16_sdwa v3, v5 dst_sel:DWORD dst_unused:UNUSED_PAD src0_sel:WORD_1
	;; [unrolled: 2-line block ×4, first 2 shown]
.LBB62_29:                              ;   in Loop: Header=BB62_24 Depth=1
	s_mul_i32 s4, s28, s35
	s_ashr_i32 s5, s4, 31
	s_lshl_b64 s[4:5], s[4:5], 2
	s_add_u32 s28, s22, s4
	s_addc_u32 s4, s23, s5
	s_and_b32 s29, s4, 0xffff
	buffer_load_dwordx4 v[8:11], v17, s[28:31], 0 offen
	buffer_load_dwordx4 v[26:29], v17, s[28:31], 16 offen
	s_waitcnt vmcnt(1)
	v_pk_mul_f32 v[14:15], v[0:1], v[8:9]
	v_pk_mul_f32 v[12:13], v[2:3], v[10:11]
	s_waitcnt vmcnt(0)
	v_pk_mul_f32 v[10:11], v[4:5], v[26:27]
	v_max3_f32 v26, |v14|, s47, |v15|
	v_max3_f32 v26, v26, |v12|, |v13|
	v_pk_mul_f32 v[8:9], v[6:7], v[28:29]
	v_max3_f32 v26, v26, |v10|, |v11|
	v_max3_f32 v26, v26, |v8|, |v9|
	s_nop 1
	v_mov_b32_dpp v27, v26 quad_perm:[1,0,3,2] row_mask:0xf bank_mask:0xf
	v_cmp_gt_f32_e64 s[4:5], v26, v27
	v_cndmask_b32_e64 v26, v27, v26, s[4:5]
	s_nop 1
	v_mov_b32_dpp v27, v26 quad_perm:[2,3,0,1] row_mask:0xf bank_mask:0xf
	v_cmp_gt_f32_e64 s[4:5], v26, v27
	v_cndmask_b32_e64 v26, v27, v26, s[4:5]
	s_nop 1
	v_mov_b32_dpp v27, v26 row_half_mirror row_mask:0xf bank_mask:0xf
	v_cmp_gt_f32_e64 s[4:5], v26, v27
	v_cndmask_b32_e64 v26, v27, v26, s[4:5]
	s_nop 1
	v_mov_b32_dpp v27, v26 row_mirror row_mask:0xf bank_mask:0xf
	v_cmp_gt_f32_e64 s[4:5], v26, v27
	v_cndmask_b32_e64 v26, v27, v26, s[4:5]
	s_nop 1
	v_mov_b32_dpp v27, v26 row_bcast:15 row_mask:0xf bank_mask:0xf
	v_cmp_gt_f32_e64 s[4:5], v26, v27
	v_cndmask_b32_e64 v26, v27, v26, s[4:5]
	s_nop 1
	v_mov_b32_dpp v27, v26 row_bcast:31 row_mask:0xf bank_mask:0xf
	s_and_saveexec_b64 s[28:29], s[0:1]
	s_cbranch_execz .LBB62_31
; %bb.30:                               ;   in Loop: Header=BB62_24 Depth=1
	v_cmp_gt_f32_e64 s[4:5], v26, v27
	v_cndmask_b32_e64 v26, v27, v26, s[4:5]
	ds_write_b32 v18, v26
.LBB62_31:                              ;   in Loop: Header=BB62_24 Depth=1
	s_or_b64 exec, exec, s[28:29]
	s_waitcnt lgkmcnt(0)
	s_barrier
	ds_read_b32 v26, v19
	s_waitcnt lgkmcnt(0)
	s_nop 0
	v_mov_b32_dpp v27, v26 quad_perm:[1,0,3,2] row_mask:0xf bank_mask:0xf
	v_cmp_gt_f32_e64 s[4:5], v26, v27
	v_cndmask_b32_e64 v26, v27, v26, s[4:5]
	s_nop 1
	v_mov_b32_dpp v27, v26 quad_perm:[2,3,0,1] row_mask:0xf bank_mask:0xf
	v_cmp_gt_f32_e64 s[4:5], v26, v27
	v_cndmask_b32_e64 v26, v27, v26, s[4:5]
	s_mul_hi_u32 s5, s36, s48
	s_mul_i32 s7, s5, s44
	s_sub_i32 s7, s36, s7
	s_xor_b32 s4, s37, s45
	s_add_i32 s28, s5, 1
	s_sub_i32 s29, s7, s44
	s_cmp_ge_u32 s7, s44
	s_cselect_b32 s5, s28, s5
	s_cselect_b32 s7, s29, s7
	s_add_i32 s28, s5, 1
	s_cmp_ge_u32 s7, s44
	s_cselect_b32 s5, s28, s5
	s_xor_b32 s5, s5, s4
	s_sub_i32 s4, s5, s4
	s_mul_i32 s5, s4, s9
	s_sub_i32 s5, s27, s5
	s_mul_i32 s5, s5, s14
	s_mul_i32 s4, s4, s13
	v_mul_f32_e32 v26, 0x3b124925, v26
	s_add_i32 s28, s5, s4
	s_and_saveexec_b64 s[4:5], vcc
	s_cbranch_execz .LBB62_33
; %bb.32:                               ;   in Loop: Header=BB62_24 Depth=1
	s_ashr_i32 s29, s28, 31
	s_lshl_b64 s[36:37], s[28:29], 2
	s_add_u32 s36, s18, s36
	s_addc_u32 s37, s19, s37
	global_store_dword v23, v26, s[36:37]
.LBB62_33:                              ;   in Loop: Header=BB62_24 Depth=1
	s_or_b64 exec, exec, s[4:5]
	s_and_saveexec_b64 s[4:5], s[2:3]
	s_cbranch_execz .LBB62_22
; %bb.34:                               ;   in Loop: Header=BB62_24 Depth=1
	v_rcp_f32_e32 v26, v26
	s_mul_i32 s27, s28, s15
	s_mul_hi_i32 s7, s28, s15
	s_add_u32 s36, s16, s27
	v_mov_b32_e32 v27, v26
	;;#ASMSTART
	v_pk_mul_f32 v[14:15], v[14:15], v[26:27]
	;;#ASMEND
	;;#ASMSTART
	v_med3_f32 v14, v14, v24, v25
v_med3_f32 v15, v15, v24, v25
v_cvt_pk_fp8_f32 v28, v14, v15
	;;#ASMEND
	;;#ASMSTART
	v_pk_mul_f32 v[12:13], v[12:13], v[26:27]
	;;#ASMEND
	;;#ASMSTART
	v_med3_f32 v12, v12, v24, v25
v_med3_f32 v13, v13, v24, v25
v_cvt_pk_fp8_f32 v14, v12, v13
	;;#ASMEND
	v_perm_b32 v13, v14, v28, s49
	v_and_b32_e32 v12, 0xffffff00, v14
	v_and_b32_sdwa v14, v13, s50 dst_sel:DWORD dst_unused:UNUSED_PAD src0_sel:WORD_1 src1_sel:DWORD
	v_or_b32_sdwa v12, v14, v12 dst_sel:WORD_1 dst_unused:UNUSED_PAD src0_sel:DWORD src1_sel:DWORD
	;;#ASMSTART
	v_pk_mul_f32 v[10:11], v[10:11], v[26:27]
	;;#ASMEND
	v_and_or_b32 v12, v13, s46, v12
	;;#ASMSTART
	v_med3_f32 v10, v10, v24, v25
v_med3_f32 v11, v11, v24, v25
v_cvt_pk_fp8_f32 v13, v10, v11
	;;#ASMEND
	;;#ASMSTART
	v_pk_mul_f32 v[8:9], v[8:9], v[26:27]
	;;#ASMEND
	;;#ASMSTART
	v_med3_f32 v8, v8, v24, v25
v_med3_f32 v9, v9, v24, v25
v_cvt_pk_fp8_f32 v10, v8, v9
	;;#ASMEND
	s_addc_u32 s7, s17, s7
	v_lshlrev_b32_e32 v8, 16, v10
	s_and_b32 s37, s7, 0xffff
	s_mov_b32 s39, s31
	v_and_or_b32 v13, v13, s46, v8
	buffer_store_dwordx2 v[12:13], v20, s[36:39], 0 offen
	;;#ASMSTART
	s_nop 0
	;;#ASMEND
	s_branch .LBB62_22
.LBB62_35:
	s_endpgm
	.section	.rodata,"a",@progbits
	.p2align	6, 0x0
	.amdhsa_kernel _ZN5aiter36smooth_per_token_scaled_quant_kernelIDF16_DB8_Li256ELi8ELb1ELb1ELb1ELi1024EEEvPT0_PfPT_S4_PiS7_iiPKiiiiiiiii
		.amdhsa_group_segment_fixed_size 4112
		.amdhsa_private_segment_fixed_size 0
		.amdhsa_kernarg_size 96
		.amdhsa_user_sgpr_count 6
		.amdhsa_user_sgpr_private_segment_buffer 1
		.amdhsa_user_sgpr_dispatch_ptr 0
		.amdhsa_user_sgpr_queue_ptr 0
		.amdhsa_user_sgpr_kernarg_segment_ptr 1
		.amdhsa_user_sgpr_dispatch_id 0
		.amdhsa_user_sgpr_flat_scratch_init 0
		.amdhsa_user_sgpr_kernarg_preload_length 0
		.amdhsa_user_sgpr_kernarg_preload_offset 0
		.amdhsa_user_sgpr_private_segment_size 0
		.amdhsa_uses_dynamic_stack 0
		.amdhsa_system_sgpr_private_segment_wavefront_offset 0
		.amdhsa_system_sgpr_workgroup_id_x 1
		.amdhsa_system_sgpr_workgroup_id_y 0
		.amdhsa_system_sgpr_workgroup_id_z 0
		.amdhsa_system_sgpr_workgroup_info 0
		.amdhsa_system_vgpr_workitem_id 0
		.amdhsa_next_free_vgpr 30
		.amdhsa_next_free_sgpr 51
		.amdhsa_accum_offset 32
		.amdhsa_reserve_vcc 1
		.amdhsa_reserve_flat_scratch 0
		.amdhsa_float_round_mode_32 0
		.amdhsa_float_round_mode_16_64 0
		.amdhsa_float_denorm_mode_32 3
		.amdhsa_float_denorm_mode_16_64 3
		.amdhsa_dx10_clamp 1
		.amdhsa_ieee_mode 1
		.amdhsa_fp16_overflow 0
		.amdhsa_tg_split 0
		.amdhsa_exception_fp_ieee_invalid_op 0
		.amdhsa_exception_fp_denorm_src 0
		.amdhsa_exception_fp_ieee_div_zero 0
		.amdhsa_exception_fp_ieee_overflow 0
		.amdhsa_exception_fp_ieee_underflow 0
		.amdhsa_exception_fp_ieee_inexact 0
		.amdhsa_exception_int_div_zero 0
	.end_amdhsa_kernel
	.section	.text._ZN5aiter36smooth_per_token_scaled_quant_kernelIDF16_DB8_Li256ELi8ELb1ELb1ELb1ELi1024EEEvPT0_PfPT_S4_PiS7_iiPKiiiiiiiii,"axG",@progbits,_ZN5aiter36smooth_per_token_scaled_quant_kernelIDF16_DB8_Li256ELi8ELb1ELb1ELb1ELi1024EEEvPT0_PfPT_S4_PiS7_iiPKiiiiiiiii,comdat
.Lfunc_end62:
	.size	_ZN5aiter36smooth_per_token_scaled_quant_kernelIDF16_DB8_Li256ELi8ELb1ELb1ELb1ELi1024EEEvPT0_PfPT_S4_PiS7_iiPKiiiiiiiii, .Lfunc_end62-_ZN5aiter36smooth_per_token_scaled_quant_kernelIDF16_DB8_Li256ELi8ELb1ELb1ELb1ELi1024EEEvPT0_PfPT_S4_PiS7_iiPKiiiiiiiii
                                        ; -- End function
	.section	.AMDGPU.csdata,"",@progbits
; Kernel info:
; codeLenInByte = 2912
; NumSgprs: 55
; NumVgprs: 30
; NumAgprs: 0
; TotalNumVgprs: 30
; ScratchSize: 0
; MemoryBound: 0
; FloatMode: 240
; IeeeMode: 1
; LDSByteSize: 4112 bytes/workgroup (compile time only)
; SGPRBlocks: 6
; VGPRBlocks: 3
; NumSGPRsForWavesPerEU: 55
; NumVGPRsForWavesPerEU: 30
; AccumOffset: 32
; Occupancy: 8
; WaveLimiterHint : 0
; COMPUTE_PGM_RSRC2:SCRATCH_EN: 0
; COMPUTE_PGM_RSRC2:USER_SGPR: 6
; COMPUTE_PGM_RSRC2:TRAP_HANDLER: 0
; COMPUTE_PGM_RSRC2:TGID_X_EN: 1
; COMPUTE_PGM_RSRC2:TGID_Y_EN: 0
; COMPUTE_PGM_RSRC2:TGID_Z_EN: 0
; COMPUTE_PGM_RSRC2:TIDIG_COMP_CNT: 0
; COMPUTE_PGM_RSRC3_GFX90A:ACCUM_OFFSET: 7
; COMPUTE_PGM_RSRC3_GFX90A:TG_SPLIT: 0
	.section	.text._ZN5aiter36smooth_per_token_scaled_quant_kernelItDB8_Li256ELi8ELb1ELb1ELb1ELi1024EEEvPT0_PfPT_S4_PiS7_iiPKiiiiiiiii,"axG",@progbits,_ZN5aiter36smooth_per_token_scaled_quant_kernelItDB8_Li256ELi8ELb1ELb1ELb1ELi1024EEEvPT0_PfPT_S4_PiS7_iiPKiiiiiiiii,comdat
	.protected	_ZN5aiter36smooth_per_token_scaled_quant_kernelItDB8_Li256ELi8ELb1ELb1ELb1ELi1024EEEvPT0_PfPT_S4_PiS7_iiPKiiiiiiiii ; -- Begin function _ZN5aiter36smooth_per_token_scaled_quant_kernelItDB8_Li256ELi8ELb1ELb1ELb1ELi1024EEEvPT0_PfPT_S4_PiS7_iiPKiiiiiiiii
	.globl	_ZN5aiter36smooth_per_token_scaled_quant_kernelItDB8_Li256ELi8ELb1ELb1ELb1ELi1024EEEvPT0_PfPT_S4_PiS7_iiPKiiiiiiiii
	.p2align	8
	.type	_ZN5aiter36smooth_per_token_scaled_quant_kernelItDB8_Li256ELi8ELb1ELb1ELb1ELi1024EEEvPT0_PfPT_S4_PiS7_iiPKiiiiiiiii,@function
_ZN5aiter36smooth_per_token_scaled_quant_kernelItDB8_Li256ELi8ELb1ELb1ELb1ELi1024EEEvPT0_PfPT_S4_PiS7_iiPKiiiiiiiii: ; @_ZN5aiter36smooth_per_token_scaled_quant_kernelItDB8_Li256ELi8ELb1ELb1ELb1ELi1024EEEvPT0_PfPT_S4_PiS7_iiPKiiiiiiiii
; %bb.0:
	s_load_dwordx2 s[16:17], s[4:5], 0x38
	s_load_dwordx2 s[0:1], s[4:5], 0x28
	s_load_dwordx8 s[8:15], s[4:5], 0x40
	s_mov_b64 s[2:3], 0
	s_waitcnt lgkmcnt(0)
	s_cmp_lg_u64 s[16:17], 0
	s_cbranch_scc0 .LBB63_11
; %bb.1:
	s_load_dword s7, s[16:17], 0x0
	s_waitcnt lgkmcnt(0)
	s_mul_i32 s7, s7, s8
	s_andn2_b64 vcc, exec, s[2:3]
	s_cbranch_vccnz .LBB63_3
.LBB63_2:
	s_mul_i32 s7, s10, s9
.LBB63_3:
	s_load_dwordx2 s[34:35], s[4:5], 0x30
	v_and_b32_e32 v1, 0x3c0, v0
	v_lshlrev_b32_e32 v1, 2, v1
	v_lshlrev_b32_e32 v2, 2, v0
	v_readfirstlane_b32 s8, v1
	v_add_u32_e32 v3, 0x400, v1
	s_lshl_b32 s2, s15, 2
	s_and_b32 s1, s1, 0xffff
	s_mov_b32 s3, 0x20000
	;;#ASMSTART
	s_mov_b32 m0 s8
	buffer_load_dword v2, s[0:3], 0 offen offset:0 lds
	
	;;#ASMEND
	v_readfirstlane_b32 s8, v3
	v_add_u32_e32 v3, 0x400, v2
	;;#ASMSTART
	s_mov_b32 m0 s8
	buffer_load_dword v3, s[0:3], 0 offen offset:0 lds
	
	;;#ASMEND
	v_add_u32_e32 v3, 0x800, v1
	s_waitcnt lgkmcnt(0)
	s_abs_i32 s15, s34
	v_readfirstlane_b32 s8, v3
	v_cvt_f32_u32_e32 v3, s15
	v_add_u32_e32 v1, 0xc00, v1
	v_add_u32_e32 v4, 0x800, v2
	v_readfirstlane_b32 s18, v1
	v_rcp_iflag_f32_e32 v3, v3
	v_add_u32_e32 v1, 0xc00, v2
	s_sub_i32 s17, 0, s15
	s_abs_i32 s16, s7
	v_mul_f32_e32 v2, 0x4f7ffffe, v3
	v_cvt_u32_f32_e32 v2, v2
	;;#ASMSTART
	s_mov_b32 m0 s8
	buffer_load_dword v4, s[0:3], 0 offen offset:0 lds
	
	;;#ASMEND
	s_xor_b32 s8, s7, s34
	s_ashr_i32 s8, s8, 31
	v_readfirstlane_b32 s19, v2
	s_mul_i32 s17, s17, s19
	s_mul_hi_u32 s17, s19, s17
	s_add_i32 s19, s19, s17
	s_mul_hi_u32 s17, s16, s19
	s_mul_i32 s19, s17, s15
	s_sub_i32 s16, s16, s19
	s_add_i32 s19, s17, 1
	s_sub_i32 s20, s16, s15
	s_cmp_ge_u32 s16, s15
	s_cselect_b32 s17, s19, s17
	s_cselect_b32 s16, s20, s16
	s_add_i32 s19, s17, 1
	s_cmp_ge_u32 s16, s15
	s_cselect_b32 s15, s19, s17
	s_xor_b32 s15, s15, s8
	s_sub_i32 s8, s15, s8
	s_mul_i32 s15, s8, s34
	s_sub_i32 s15, s7, s15
	s_cmp_lt_u32 s6, s15
	;;#ASMSTART
	s_mov_b32 m0 s18
	buffer_load_dword v1, s[0:3], 0 offen offset:0 lds
	
	;;#ASMEND
	s_cselect_b64 s[16:17], -1, 0
	s_add_i32 s7, s8, 1
	s_cmp_ge_u32 s6, s15
	s_cbranch_scc0 .LBB63_5
; %bb.4:
	s_sub_i32 s1, s6, s15
	s_mul_i32 s0, s15, s7
	s_mul_i32 s1, s1, s8
	s_add_i32 s40, s1, s0
	s_cbranch_execz .LBB63_6
	s_branch .LBB63_7
.LBB63_5:
                                        ; implicit-def: $sgpr40
.LBB63_6:
	s_mul_i32 s40, s7, s6
.LBB63_7:
	v_cndmask_b32_e64 v1, 0, 1, s[16:17]
	v_readfirstlane_b32 s0, v1
	s_add_i32 s8, s8, s0
	s_cmp_lt_i32 s8, 1
	s_cbranch_scc1 .LBB63_35
; %bb.8:
	s_load_dwordx2 s[0:1], s[4:5], 0x20
	s_ashr_i32 s41, s40, 31
	s_lshl_b64 s[2:3], s[40:41], 2
	v_and_b32_e32 v1, 63, v0
	s_mov_b32 s27, 0x20000
	s_waitcnt lgkmcnt(0)
	s_add_u32 s24, s0, s2
	s_addc_u32 s0, s1, s3
	s_lshl_b32 s26, s8, 2
	s_and_b32 s25, s0, 0xffff
	v_lshlrev_b32_e32 v22, 2, v1
	buffer_load_dword v2, v22, s[24:27], 0 offen
	s_abs_i32 s34, s10
	v_cmp_eq_u32_e64 s[0:1], 63, v1
	v_cvt_f32_u32_e32 v1, s34
	s_add_i32 s2, s35, 7
	s_load_dwordx8 s[16:23], s[4:5], 0x0
	s_ashr_i32 s4, s2, 31
	v_rcp_iflag_f32_e32 v1, v1
	s_waitcnt vmcnt(0) lgkmcnt(0)
	s_barrier
	v_mul_f32_e32 v1, 0x4f7ffffe, v1
	v_cvt_u32_f32_e32 v1, v1
	s_add_i32 s3, s35, 3
	s_lshr_b32 s4, s4, 29
	s_ashr_i32 s5, s3, 31
	s_add_i32 s2, s2, s4
	s_sub_i32 s4, 0, s34
	v_readfirstlane_b32 s42, v1
	s_lshr_b32 s5, s5, 30
	s_mul_i32 s4, s4, s42
	s_add_i32 s3, s3, s5
	s_mul_hi_u32 s4, s42, s4
	v_lshrrev_b32_e32 v3, 4, v0
	v_mov_b32_e32 v4, 0x1000
	v_and_b32_e32 v5, 3, v0
	s_lshl_b32 s6, s35, 1
	s_lshl_b32 s30, s35, 2
	s_ashr_i32 s33, s10, 31
	s_ashr_i32 s2, s2, 3
	s_and_b32 s38, s3, -4
	s_add_i32 s42, s42, s4
	s_mov_b32 s15, s35
	v_lshlrev_b32_e32 v16, 4, v0
	v_lshlrev_b32_e32 v17, 5, v0
	v_cmp_eq_u32_e32 vcc, 0, v0
	v_and_or_b32 v18, v3, 60, v4
	v_lshl_or_b32 v19, v5, 2, v4
	v_cmp_gt_u32_e64 s[2:3], s2, v0
	v_lshlrev_b32_e32 v20, 3, v0
	v_lshlrev_b32_e32 v2, 2, v2
	ds_read_b32 v21, v2
	s_waitcnt lgkmcnt(0)
	v_readlane_b32 s28, v21, 0
	s_cmp_lt_i32 s28, 0
	s_cbranch_scc1 .LBB63_12
; %bb.9:
	s_abs_i32 s27, s40
	s_mul_hi_u32 s4, s27, s42
	s_mul_i32 s7, s4, s34
	s_sub_i32 s7, s27, s7
	s_xor_b32 s5, s41, s33
	s_add_i32 s29, s4, 1
	s_sub_i32 s31, s7, s34
	s_cmp_ge_u32 s7, s34
	s_cselect_b32 s4, s29, s4
	s_cselect_b32 s7, s31, s7
	s_add_i32 s29, s4, 1
	s_cmp_ge_u32 s7, s34
	s_cselect_b32 s4, s29, s4
	s_xor_b32 s4, s4, s5
	s_sub_i32 s4, s4, s5
	s_mul_i32 s5, s4, s10
	s_sub_i32 s5, s40, s5
	s_mul_i32 s5, s5, s12
	s_mul_i32 s4, s4, s11
	s_add_i32 s43, s5, s4
	s_cmp_eq_u32 s43, -1
	s_cbranch_scc1 .LBB63_13
; %bb.10:
	s_mul_hi_i32 s5, s43, s15
	s_mul_i32 s4, s43, s15
	s_lshl_b64 s[4:5], s[4:5], 1
	s_add_u32 s4, s20, s4
	s_addc_u32 s5, s21, s5
	s_and_b32 s5, s5, 0xffff
	s_mov_b32 s7, 0x20000
	buffer_load_dwordx4 v[6:9], v16, s[4:7], 0 offen
	s_waitcnt vmcnt(0)
	v_cvt_f32_u32_sdwa v1, v6 dst_sel:DWORD dst_unused:UNUSED_PAD src0_sel:WORD_1
	v_cvt_f32_u32_sdwa v0, v6 dst_sel:DWORD dst_unused:UNUSED_PAD src0_sel:WORD_0
	v_cvt_f32_u32_sdwa v3, v7 dst_sel:DWORD dst_unused:UNUSED_PAD src0_sel:WORD_1
	v_cvt_f32_u32_sdwa v2, v7 dst_sel:DWORD dst_unused:UNUSED_PAD src0_sel:WORD_0
	;; [unrolled: 2-line block ×4, first 2 shown]
	s_branch .LBB63_14
.LBB63_11:
                                        ; implicit-def: $sgpr7
	s_branch .LBB63_2
.LBB63_12:
	s_mov_b32 s43, -1
                                        ; implicit-def: $vgpr0_vgpr1_vgpr2_vgpr3_vgpr4_vgpr5_vgpr6_vgpr7
	s_cmp_eq_u32 s8, 1
	s_mov_b32 s41, 1
	s_cbranch_scc0 .LBB63_21
	s_branch .LBB63_35
.LBB63_13:
                                        ; implicit-def: $vgpr0_vgpr1_vgpr2_vgpr3_vgpr4_vgpr5_vgpr6_vgpr7
.LBB63_14:
	s_mul_i32 s4, s28, s35
	s_ashr_i32 s5, s4, 31
	s_lshl_b64 s[4:5], s[4:5], 2
	s_add_u32 s28, s22, s4
	s_addc_u32 s4, s23, s5
	s_and_b32 s29, s4, 0xffff
	s_mov_b32 s31, 0x20000
	buffer_load_dwordx4 v[8:11], v17, s[28:31], 0 offen
	buffer_load_dwordx4 v[24:27], v17, s[28:31], 16 offen
	s_mov_b32 s4, 0x2edbe6ff
	s_waitcnt vmcnt(1)
	v_pk_mul_f32 v[14:15], v[0:1], v[8:9]
	v_pk_mul_f32 v[12:13], v[2:3], v[10:11]
	v_max3_f32 v23, |v14|, s4, |v15|
	s_waitcnt vmcnt(0)
	v_pk_mul_f32 v[10:11], v[4:5], v[24:25]
	v_max3_f32 v23, v23, |v12|, |v13|
	v_pk_mul_f32 v[8:9], v[6:7], v[26:27]
	v_max3_f32 v23, v23, |v10|, |v11|
	v_max3_f32 v23, v23, |v8|, |v9|
	s_nop 1
	v_mov_b32_dpp v24, v23 quad_perm:[1,0,3,2] row_mask:0xf bank_mask:0xf
	v_cmp_gt_f32_e64 s[4:5], v23, v24
	v_cndmask_b32_e64 v23, v24, v23, s[4:5]
	s_nop 1
	v_mov_b32_dpp v24, v23 quad_perm:[2,3,0,1] row_mask:0xf bank_mask:0xf
	v_cmp_gt_f32_e64 s[4:5], v23, v24
	v_cndmask_b32_e64 v23, v24, v23, s[4:5]
	s_nop 1
	v_mov_b32_dpp v24, v23 row_half_mirror row_mask:0xf bank_mask:0xf
	v_cmp_gt_f32_e64 s[4:5], v23, v24
	v_cndmask_b32_e64 v23, v24, v23, s[4:5]
	s_nop 1
	v_mov_b32_dpp v24, v23 row_mirror row_mask:0xf bank_mask:0xf
	v_cmp_gt_f32_e64 s[4:5], v23, v24
	v_cndmask_b32_e64 v23, v24, v23, s[4:5]
	s_nop 1
	v_mov_b32_dpp v24, v23 row_bcast:15 row_mask:0xf bank_mask:0xf
	v_cmp_gt_f32_e64 s[4:5], v23, v24
	v_cndmask_b32_e64 v23, v24, v23, s[4:5]
	s_nop 1
	v_mov_b32_dpp v24, v23 row_bcast:31 row_mask:0xf bank_mask:0xf
	s_and_saveexec_b64 s[28:29], s[0:1]
	s_cbranch_execz .LBB63_16
; %bb.15:
	v_cmp_gt_f32_e64 s[4:5], v23, v24
	v_cndmask_b32_e64 v23, v24, v23, s[4:5]
	ds_write_b32 v18, v23
.LBB63_16:
	s_or_b64 exec, exec, s[28:29]
	s_waitcnt lgkmcnt(0)
	s_barrier
	ds_read_b32 v23, v19
	s_abs_i32 s7, s9
	v_cvt_f32_u32_e32 v25, s7
	s_waitcnt lgkmcnt(0)
	v_mov_b32_dpp v24, v23 quad_perm:[1,0,3,2] row_mask:0xf bank_mask:0xf
	v_cmp_gt_f32_e64 s[4:5], v23, v24
	v_rcp_iflag_f32_e32 v25, v25
	v_cndmask_b32_e64 v23, v24, v23, s[4:5]
	s_nop 1
	v_mov_b32_dpp v24, v23 quad_perm:[2,3,0,1] row_mask:0xf bank_mask:0xf
	v_cmp_gt_f32_e64 s[4:5], v23, v24
	v_cndmask_b32_e64 v23, v24, v23, s[4:5]
	v_mul_f32_e32 v24, 0x4f7ffffe, v25
	v_cvt_u32_f32_e32 v24, v24
	s_sub_i32 s5, 0, s7
	s_ashr_i32 s4, s9, 31
	s_xor_b32 s4, s41, s4
	v_readfirstlane_b32 s28, v24
	s_mul_i32 s5, s5, s28
	s_mul_hi_u32 s5, s28, s5
	s_add_i32 s28, s28, s5
	s_mul_hi_u32 s5, s27, s28
	s_mul_i32 s28, s5, s7
	s_sub_i32 s27, s27, s28
	s_add_i32 s28, s5, 1
	s_sub_i32 s29, s27, s7
	s_cmp_ge_u32 s27, s7
	s_cselect_b32 s5, s28, s5
	s_cselect_b32 s27, s29, s27
	s_add_i32 s28, s5, 1
	s_cmp_ge_u32 s27, s7
	s_cselect_b32 s5, s28, s5
	s_xor_b32 s5, s5, s4
	s_sub_i32 s4, s5, s4
	s_mul_i32 s5, s4, s9
	s_sub_i32 s5, s40, s5
	s_mul_i32 s5, s5, s14
	s_mul_i32 s4, s4, s13
	v_mul_f32_e32 v23, 0x3b124925, v23
	s_add_i32 s28, s5, s4
	s_and_saveexec_b64 s[4:5], vcc
	s_cbranch_execz .LBB63_18
; %bb.17:
	s_ashr_i32 s29, s28, 31
	s_lshl_b64 s[36:37], s[28:29], 2
	s_add_u32 s36, s18, s36
	s_addc_u32 s37, s19, s37
	v_mov_b32_e32 v24, 0
	global_store_dword v24, v23, s[36:37]
.LBB63_18:
	s_or_b64 exec, exec, s[4:5]
	s_and_saveexec_b64 s[4:5], s[2:3]
	s_cbranch_execz .LBB63_20
; %bb.19:
	v_rcp_f32_e32 v24, v23
	s_mul_i32 s27, s28, s15
	s_mul_hi_i32 s7, s28, s15
	s_add_u32 s36, s16, s27
	v_mov_b32_e32 v25, v24
	;;#ASMSTART
	v_pk_mul_f32 v[14:15], v[14:15], v[24:25]
	;;#ASMEND
	s_addc_u32 s7, s17, s7
	v_mov_b32_e32 v23, 0xc3e00000
	v_mov_b32_e32 v26, 0x43e00000
	;;#ASMSTART
	v_med3_f32 v14, v14, v23, v26
v_med3_f32 v15, v15, v23, v26
v_cvt_pk_fp8_f32 v27, v14, v15
	;;#ASMEND
	;;#ASMSTART
	v_pk_mul_f32 v[12:13], v[12:13], v[24:25]
	;;#ASMEND
	s_and_b32 s37, s7, 0xffff
	;;#ASMSTART
	v_med3_f32 v12, v12, v23, v26
v_med3_f32 v13, v13, v23, v26
v_cvt_pk_fp8_f32 v14, v12, v13
	;;#ASMEND
	s_mov_b32 s7, 0x5040100
	v_perm_b32 v13, v14, v27, s7
	s_movk_i32 s7, 0xff
	v_and_b32_e32 v12, 0xffffff00, v14
	v_and_b32_sdwa v14, v13, s7 dst_sel:DWORD dst_unused:UNUSED_PAD src0_sel:WORD_1 src1_sel:DWORD
	s_mov_b32 s27, 0xffff
	v_or_b32_sdwa v12, v14, v12 dst_sel:WORD_1 dst_unused:UNUSED_PAD src0_sel:DWORD src1_sel:DWORD
	;;#ASMSTART
	v_pk_mul_f32 v[10:11], v[10:11], v[24:25]
	;;#ASMEND
	v_and_or_b32 v12, v13, s27, v12
	;;#ASMSTART
	v_med3_f32 v10, v10, v23, v26
v_med3_f32 v11, v11, v23, v26
v_cvt_pk_fp8_f32 v13, v10, v11
	;;#ASMEND
	;;#ASMSTART
	v_pk_mul_f32 v[8:9], v[8:9], v[24:25]
	;;#ASMEND
	;;#ASMSTART
	v_med3_f32 v8, v8, v23, v26
v_med3_f32 v9, v9, v23, v26
v_cvt_pk_fp8_f32 v10, v8, v9
	;;#ASMEND
	v_lshlrev_b32_e32 v8, 16, v10
	s_mov_b32 s39, 0x20000
	v_and_or_b32 v13, v13, s27, v8
	buffer_store_dwordx2 v[12:13], v20, s[36:39], 0 offen
	;;#ASMSTART
	s_nop 0
	;;#ASMEND
.LBB63_20:
	s_or_b64 exec, exec, s[4:5]
	s_cmp_eq_u32 s8, 1
	s_mov_b32 s41, 1
	s_cbranch_scc1 .LBB63_35
.LBB63_21:
	s_abs_i32 s44, s9
	v_cvt_f32_u32_e32 v8, s44
	s_sub_i32 s4, 0, s44
	s_ashr_i32 s45, s9, 31
	v_add_u32_e32 v22, 4, v22
	v_rcp_iflag_f32_e32 v8, v8
	s_mov_b32 s46, 0xffff
	s_mov_b32 s31, 0x20000
	;; [unrolled: 1-line block ×3, first 2 shown]
	v_mul_f32_e32 v8, 0x4f7ffffe, v8
	v_cvt_u32_f32_e32 v8, v8
	v_mov_b32_e32 v23, 0
	v_mov_b32_e32 v24, 0xc3e00000
	;; [unrolled: 1-line block ×3, first 2 shown]
	v_readfirstlane_b32 s5, v8
	s_mul_i32 s4, s4, s5
	s_mul_hi_u32 s4, s5, s4
	s_add_i32 s48, s5, s4
	s_mov_b32 s49, 0x5040100
	s_movk_i32 s50, 0xff
	s_branch .LBB63_24
.LBB63_22:                              ;   in Loop: Header=BB63_24 Depth=1
	s_or_b64 exec, exec, s[4:5]
.LBB63_23:                              ;   in Loop: Header=BB63_24 Depth=1
	s_add_i32 s41, s41, 1
	s_cmp_eq_u32 s8, s41
	v_add_u32_e32 v22, 4, v22
	s_cbranch_scc1 .LBB63_35
.LBB63_24:                              ; =>This Inner Loop Header: Depth=1
	s_and_b32 s4, s41, 63
	s_cmp_lg_u32 s4, 0
	s_cbranch_scc1 .LBB63_26
; %bb.25:                               ;   in Loop: Header=BB63_24 Depth=1
	s_mov_b32 s27, s31
	buffer_load_dword v8, v22, s[24:27], 0 offen
	s_waitcnt vmcnt(0)
	v_lshlrev_b32_e32 v8, 2, v8
	ds_read_b32 v21, v8
.LBB63_26:                              ;   in Loop: Header=BB63_24 Depth=1
	s_waitcnt lgkmcnt(0)
	v_readlane_b32 s28, v21, s4
	s_cmp_lt_i32 s28, 0
	s_cbranch_scc1 .LBB63_23
; %bb.27:                               ;   in Loop: Header=BB63_24 Depth=1
	s_add_i32 s27, s40, s41
	s_abs_i32 s36, s27
	s_mul_hi_u32 s5, s36, s42
	s_mul_i32 s7, s5, s34
	s_ashr_i32 s37, s27, 31
	s_sub_i32 s7, s36, s7
	s_xor_b32 s4, s37, s33
	s_add_i32 s29, s5, 1
	s_sub_i32 s39, s7, s34
	s_cmp_ge_u32 s7, s34
	s_cselect_b32 s5, s29, s5
	s_cselect_b32 s7, s39, s7
	s_add_i32 s29, s5, 1
	s_cmp_ge_u32 s7, s34
	s_cselect_b32 s5, s29, s5
	s_xor_b32 s5, s5, s4
	s_sub_i32 s4, s5, s4
	s_mul_i32 s5, s4, s10
	s_sub_i32 s5, s27, s5
	s_mul_i32 s29, s5, s12
	s_mul_i32 s4, s4, s11
	s_add_i32 s29, s29, s4
	s_cmp_eq_u32 s29, s43
	s_cbranch_scc1 .LBB63_29
; %bb.28:                               ;   in Loop: Header=BB63_24 Depth=1
	s_mul_hi_i32 s5, s29, s15
	s_mul_i32 s4, s29, s15
	s_lshl_b64 s[4:5], s[4:5], 1
	s_add_u32 s4, s20, s4
	s_addc_u32 s5, s21, s5
	s_and_b32 s5, s5, 0xffff
	s_mov_b32 s7, s31
	buffer_load_dwordx4 v[6:9], v16, s[4:7], 0 offen
	s_mov_b32 s43, s29
	s_waitcnt vmcnt(0)
	v_cvt_f32_u32_sdwa v1, v6 dst_sel:DWORD dst_unused:UNUSED_PAD src0_sel:WORD_1
	v_cvt_f32_u32_sdwa v0, v6 dst_sel:DWORD dst_unused:UNUSED_PAD src0_sel:WORD_0
	v_cvt_f32_u32_sdwa v3, v7 dst_sel:DWORD dst_unused:UNUSED_PAD src0_sel:WORD_1
	v_cvt_f32_u32_sdwa v2, v7 dst_sel:DWORD dst_unused:UNUSED_PAD src0_sel:WORD_0
	;; [unrolled: 2-line block ×4, first 2 shown]
.LBB63_29:                              ;   in Loop: Header=BB63_24 Depth=1
	s_mul_i32 s4, s28, s35
	s_ashr_i32 s5, s4, 31
	s_lshl_b64 s[4:5], s[4:5], 2
	s_add_u32 s28, s22, s4
	s_addc_u32 s4, s23, s5
	s_and_b32 s29, s4, 0xffff
	buffer_load_dwordx4 v[8:11], v17, s[28:31], 0 offen
	buffer_load_dwordx4 v[26:29], v17, s[28:31], 16 offen
	s_waitcnt vmcnt(1)
	v_pk_mul_f32 v[14:15], v[0:1], v[8:9]
	v_pk_mul_f32 v[12:13], v[2:3], v[10:11]
	s_waitcnt vmcnt(0)
	v_pk_mul_f32 v[10:11], v[4:5], v[26:27]
	v_max3_f32 v26, |v14|, s47, |v15|
	v_max3_f32 v26, v26, |v12|, |v13|
	v_pk_mul_f32 v[8:9], v[6:7], v[28:29]
	v_max3_f32 v26, v26, |v10|, |v11|
	v_max3_f32 v26, v26, |v8|, |v9|
	s_nop 1
	v_mov_b32_dpp v27, v26 quad_perm:[1,0,3,2] row_mask:0xf bank_mask:0xf
	v_cmp_gt_f32_e64 s[4:5], v26, v27
	v_cndmask_b32_e64 v26, v27, v26, s[4:5]
	s_nop 1
	v_mov_b32_dpp v27, v26 quad_perm:[2,3,0,1] row_mask:0xf bank_mask:0xf
	v_cmp_gt_f32_e64 s[4:5], v26, v27
	v_cndmask_b32_e64 v26, v27, v26, s[4:5]
	s_nop 1
	v_mov_b32_dpp v27, v26 row_half_mirror row_mask:0xf bank_mask:0xf
	v_cmp_gt_f32_e64 s[4:5], v26, v27
	v_cndmask_b32_e64 v26, v27, v26, s[4:5]
	s_nop 1
	v_mov_b32_dpp v27, v26 row_mirror row_mask:0xf bank_mask:0xf
	v_cmp_gt_f32_e64 s[4:5], v26, v27
	v_cndmask_b32_e64 v26, v27, v26, s[4:5]
	s_nop 1
	v_mov_b32_dpp v27, v26 row_bcast:15 row_mask:0xf bank_mask:0xf
	v_cmp_gt_f32_e64 s[4:5], v26, v27
	v_cndmask_b32_e64 v26, v27, v26, s[4:5]
	s_nop 1
	v_mov_b32_dpp v27, v26 row_bcast:31 row_mask:0xf bank_mask:0xf
	s_and_saveexec_b64 s[28:29], s[0:1]
	s_cbranch_execz .LBB63_31
; %bb.30:                               ;   in Loop: Header=BB63_24 Depth=1
	v_cmp_gt_f32_e64 s[4:5], v26, v27
	v_cndmask_b32_e64 v26, v27, v26, s[4:5]
	ds_write_b32 v18, v26
.LBB63_31:                              ;   in Loop: Header=BB63_24 Depth=1
	s_or_b64 exec, exec, s[28:29]
	s_waitcnt lgkmcnt(0)
	s_barrier
	ds_read_b32 v26, v19
	s_waitcnt lgkmcnt(0)
	s_nop 0
	v_mov_b32_dpp v27, v26 quad_perm:[1,0,3,2] row_mask:0xf bank_mask:0xf
	v_cmp_gt_f32_e64 s[4:5], v26, v27
	v_cndmask_b32_e64 v26, v27, v26, s[4:5]
	s_nop 1
	v_mov_b32_dpp v27, v26 quad_perm:[2,3,0,1] row_mask:0xf bank_mask:0xf
	v_cmp_gt_f32_e64 s[4:5], v26, v27
	v_cndmask_b32_e64 v26, v27, v26, s[4:5]
	s_mul_hi_u32 s5, s36, s48
	s_mul_i32 s7, s5, s44
	s_sub_i32 s7, s36, s7
	s_xor_b32 s4, s37, s45
	s_add_i32 s28, s5, 1
	s_sub_i32 s29, s7, s44
	s_cmp_ge_u32 s7, s44
	s_cselect_b32 s5, s28, s5
	s_cselect_b32 s7, s29, s7
	s_add_i32 s28, s5, 1
	s_cmp_ge_u32 s7, s44
	s_cselect_b32 s5, s28, s5
	s_xor_b32 s5, s5, s4
	s_sub_i32 s4, s5, s4
	s_mul_i32 s5, s4, s9
	s_sub_i32 s5, s27, s5
	s_mul_i32 s5, s5, s14
	s_mul_i32 s4, s4, s13
	v_mul_f32_e32 v26, 0x3b124925, v26
	s_add_i32 s28, s5, s4
	s_and_saveexec_b64 s[4:5], vcc
	s_cbranch_execz .LBB63_33
; %bb.32:                               ;   in Loop: Header=BB63_24 Depth=1
	s_ashr_i32 s29, s28, 31
	s_lshl_b64 s[36:37], s[28:29], 2
	s_add_u32 s36, s18, s36
	s_addc_u32 s37, s19, s37
	global_store_dword v23, v26, s[36:37]
.LBB63_33:                              ;   in Loop: Header=BB63_24 Depth=1
	s_or_b64 exec, exec, s[4:5]
	s_and_saveexec_b64 s[4:5], s[2:3]
	s_cbranch_execz .LBB63_22
; %bb.34:                               ;   in Loop: Header=BB63_24 Depth=1
	v_rcp_f32_e32 v26, v26
	s_mul_i32 s27, s28, s15
	s_mul_hi_i32 s7, s28, s15
	s_add_u32 s36, s16, s27
	v_mov_b32_e32 v27, v26
	;;#ASMSTART
	v_pk_mul_f32 v[14:15], v[14:15], v[26:27]
	;;#ASMEND
	;;#ASMSTART
	v_med3_f32 v14, v14, v24, v25
v_med3_f32 v15, v15, v24, v25
v_cvt_pk_fp8_f32 v28, v14, v15
	;;#ASMEND
	;;#ASMSTART
	v_pk_mul_f32 v[12:13], v[12:13], v[26:27]
	;;#ASMEND
	;;#ASMSTART
	v_med3_f32 v12, v12, v24, v25
v_med3_f32 v13, v13, v24, v25
v_cvt_pk_fp8_f32 v14, v12, v13
	;;#ASMEND
	v_perm_b32 v13, v14, v28, s49
	v_and_b32_e32 v12, 0xffffff00, v14
	v_and_b32_sdwa v14, v13, s50 dst_sel:DWORD dst_unused:UNUSED_PAD src0_sel:WORD_1 src1_sel:DWORD
	v_or_b32_sdwa v12, v14, v12 dst_sel:WORD_1 dst_unused:UNUSED_PAD src0_sel:DWORD src1_sel:DWORD
	;;#ASMSTART
	v_pk_mul_f32 v[10:11], v[10:11], v[26:27]
	;;#ASMEND
	v_and_or_b32 v12, v13, s46, v12
	;;#ASMSTART
	v_med3_f32 v10, v10, v24, v25
v_med3_f32 v11, v11, v24, v25
v_cvt_pk_fp8_f32 v13, v10, v11
	;;#ASMEND
	;;#ASMSTART
	v_pk_mul_f32 v[8:9], v[8:9], v[26:27]
	;;#ASMEND
	;;#ASMSTART
	v_med3_f32 v8, v8, v24, v25
v_med3_f32 v9, v9, v24, v25
v_cvt_pk_fp8_f32 v10, v8, v9
	;;#ASMEND
	s_addc_u32 s7, s17, s7
	v_lshlrev_b32_e32 v8, 16, v10
	s_and_b32 s37, s7, 0xffff
	s_mov_b32 s39, s31
	v_and_or_b32 v13, v13, s46, v8
	buffer_store_dwordx2 v[12:13], v20, s[36:39], 0 offen
	;;#ASMSTART
	s_nop 0
	;;#ASMEND
	s_branch .LBB63_22
.LBB63_35:
	s_endpgm
	.section	.rodata,"a",@progbits
	.p2align	6, 0x0
	.amdhsa_kernel _ZN5aiter36smooth_per_token_scaled_quant_kernelItDB8_Li256ELi8ELb1ELb1ELb1ELi1024EEEvPT0_PfPT_S4_PiS7_iiPKiiiiiiiii
		.amdhsa_group_segment_fixed_size 4112
		.amdhsa_private_segment_fixed_size 0
		.amdhsa_kernarg_size 96
		.amdhsa_user_sgpr_count 6
		.amdhsa_user_sgpr_private_segment_buffer 1
		.amdhsa_user_sgpr_dispatch_ptr 0
		.amdhsa_user_sgpr_queue_ptr 0
		.amdhsa_user_sgpr_kernarg_segment_ptr 1
		.amdhsa_user_sgpr_dispatch_id 0
		.amdhsa_user_sgpr_flat_scratch_init 0
		.amdhsa_user_sgpr_kernarg_preload_length 0
		.amdhsa_user_sgpr_kernarg_preload_offset 0
		.amdhsa_user_sgpr_private_segment_size 0
		.amdhsa_uses_dynamic_stack 0
		.amdhsa_system_sgpr_private_segment_wavefront_offset 0
		.amdhsa_system_sgpr_workgroup_id_x 1
		.amdhsa_system_sgpr_workgroup_id_y 0
		.amdhsa_system_sgpr_workgroup_id_z 0
		.amdhsa_system_sgpr_workgroup_info 0
		.amdhsa_system_vgpr_workitem_id 0
		.amdhsa_next_free_vgpr 30
		.amdhsa_next_free_sgpr 51
		.amdhsa_accum_offset 32
		.amdhsa_reserve_vcc 1
		.amdhsa_reserve_flat_scratch 0
		.amdhsa_float_round_mode_32 0
		.amdhsa_float_round_mode_16_64 0
		.amdhsa_float_denorm_mode_32 3
		.amdhsa_float_denorm_mode_16_64 3
		.amdhsa_dx10_clamp 1
		.amdhsa_ieee_mode 1
		.amdhsa_fp16_overflow 0
		.amdhsa_tg_split 0
		.amdhsa_exception_fp_ieee_invalid_op 0
		.amdhsa_exception_fp_denorm_src 0
		.amdhsa_exception_fp_ieee_div_zero 0
		.amdhsa_exception_fp_ieee_overflow 0
		.amdhsa_exception_fp_ieee_underflow 0
		.amdhsa_exception_fp_ieee_inexact 0
		.amdhsa_exception_int_div_zero 0
	.end_amdhsa_kernel
	.section	.text._ZN5aiter36smooth_per_token_scaled_quant_kernelItDB8_Li256ELi8ELb1ELb1ELb1ELi1024EEEvPT0_PfPT_S4_PiS7_iiPKiiiiiiiii,"axG",@progbits,_ZN5aiter36smooth_per_token_scaled_quant_kernelItDB8_Li256ELi8ELb1ELb1ELb1ELi1024EEEvPT0_PfPT_S4_PiS7_iiPKiiiiiiiii,comdat
.Lfunc_end63:
	.size	_ZN5aiter36smooth_per_token_scaled_quant_kernelItDB8_Li256ELi8ELb1ELb1ELb1ELi1024EEEvPT0_PfPT_S4_PiS7_iiPKiiiiiiiii, .Lfunc_end63-_ZN5aiter36smooth_per_token_scaled_quant_kernelItDB8_Li256ELi8ELb1ELb1ELb1ELi1024EEEvPT0_PfPT_S4_PiS7_iiPKiiiiiiiii
                                        ; -- End function
	.section	.AMDGPU.csdata,"",@progbits
; Kernel info:
; codeLenInByte = 2944
; NumSgprs: 55
; NumVgprs: 30
; NumAgprs: 0
; TotalNumVgprs: 30
; ScratchSize: 0
; MemoryBound: 0
; FloatMode: 240
; IeeeMode: 1
; LDSByteSize: 4112 bytes/workgroup (compile time only)
; SGPRBlocks: 6
; VGPRBlocks: 3
; NumSGPRsForWavesPerEU: 55
; NumVGPRsForWavesPerEU: 30
; AccumOffset: 32
; Occupancy: 8
; WaveLimiterHint : 0
; COMPUTE_PGM_RSRC2:SCRATCH_EN: 0
; COMPUTE_PGM_RSRC2:USER_SGPR: 6
; COMPUTE_PGM_RSRC2:TRAP_HANDLER: 0
; COMPUTE_PGM_RSRC2:TGID_X_EN: 1
; COMPUTE_PGM_RSRC2:TGID_Y_EN: 0
; COMPUTE_PGM_RSRC2:TGID_Z_EN: 0
; COMPUTE_PGM_RSRC2:TIDIG_COMP_CNT: 0
; COMPUTE_PGM_RSRC3_GFX90A:ACCUM_OFFSET: 7
; COMPUTE_PGM_RSRC3_GFX90A:TG_SPLIT: 0
	.section	.text._ZN5aiter36smooth_per_token_scaled_quant_kernelIDF16_DB8_Li256ELi8ELb1ELb1ELb0ELi1024EEEvPT0_PfPT_S4_PiS7_iiPKiiiiiiiii,"axG",@progbits,_ZN5aiter36smooth_per_token_scaled_quant_kernelIDF16_DB8_Li256ELi8ELb1ELb1ELb0ELi1024EEEvPT0_PfPT_S4_PiS7_iiPKiiiiiiiii,comdat
	.protected	_ZN5aiter36smooth_per_token_scaled_quant_kernelIDF16_DB8_Li256ELi8ELb1ELb1ELb0ELi1024EEEvPT0_PfPT_S4_PiS7_iiPKiiiiiiiii ; -- Begin function _ZN5aiter36smooth_per_token_scaled_quant_kernelIDF16_DB8_Li256ELi8ELb1ELb1ELb0ELi1024EEEvPT0_PfPT_S4_PiS7_iiPKiiiiiiiii
	.globl	_ZN5aiter36smooth_per_token_scaled_quant_kernelIDF16_DB8_Li256ELi8ELb1ELb1ELb0ELi1024EEEvPT0_PfPT_S4_PiS7_iiPKiiiiiiiii
	.p2align	8
	.type	_ZN5aiter36smooth_per_token_scaled_quant_kernelIDF16_DB8_Li256ELi8ELb1ELb1ELb0ELi1024EEEvPT0_PfPT_S4_PiS7_iiPKiiiiiiiii,@function
_ZN5aiter36smooth_per_token_scaled_quant_kernelIDF16_DB8_Li256ELi8ELb1ELb1ELb0ELi1024EEEvPT0_PfPT_S4_PiS7_iiPKiiiiiiiii: ; @_ZN5aiter36smooth_per_token_scaled_quant_kernelIDF16_DB8_Li256ELi8ELb1ELb1ELb0ELi1024EEEvPT0_PfPT_S4_PiS7_iiPKiiiiiiiii
; %bb.0:
	s_load_dwordx2 s[2:3], s[4:5], 0x38
	s_load_dwordx8 s[8:15], s[4:5], 0x40
	s_mov_b64 s[0:1], 0
	s_waitcnt lgkmcnt(0)
	s_cmp_lg_u64 s[2:3], 0
	s_cbranch_scc0 .LBB64_11
; %bb.1:
	s_load_dword s2, s[2:3], 0x0
	s_waitcnt lgkmcnt(0)
	s_mul_i32 s2, s2, s8
	s_andn2_b64 vcc, exec, s[0:1]
	s_cbranch_vccnz .LBB64_3
.LBB64_2:
	s_mul_i32 s2, s10, s9
.LBB64_3:
	s_load_dwordx2 s[34:35], s[4:5], 0x30
	s_abs_i32 s1, s2
	s_waitcnt lgkmcnt(0)
	s_abs_i32 s0, s34
	v_cvt_f32_u32_e32 v1, s0
	s_sub_i32 s7, 0, s0
	s_xor_b32 s3, s2, s34
	s_ashr_i32 s3, s3, 31
	v_rcp_iflag_f32_e32 v1, v1
	v_mul_f32_e32 v1, 0x4f7ffffe, v1
	v_cvt_u32_f32_e32 v1, v1
	v_readfirstlane_b32 s8, v1
	s_mul_i32 s7, s7, s8
	s_mul_hi_u32 s7, s8, s7
	s_add_i32 s8, s8, s7
	s_mul_hi_u32 s7, s1, s8
	s_mul_i32 s8, s7, s0
	s_sub_i32 s1, s1, s8
	s_add_i32 s15, s7, 1
	s_sub_i32 s8, s1, s0
	s_cmp_ge_u32 s1, s0
	s_cselect_b32 s7, s15, s7
	s_cselect_b32 s1, s8, s1
	s_add_i32 s8, s7, 1
	s_cmp_ge_u32 s1, s0
	s_cselect_b32 s0, s8, s7
	s_xor_b32 s0, s0, s3
	s_sub_i32 s8, s0, s3
	s_mul_i32 s0, s8, s34
	s_sub_i32 s2, s2, s0
	s_cmp_lt_u32 s6, s2
	s_cselect_b64 s[0:1], -1, 0
	s_add_i32 s7, s8, 1
	s_cmp_ge_u32 s6, s2
	s_cbranch_scc0 .LBB64_5
; %bb.4:
	s_mul_i32 s3, s2, s7
	s_sub_i32 s2, s6, s2
	s_mul_i32 s2, s2, s8
	s_add_i32 s40, s2, s3
	s_cbranch_execz .LBB64_6
	s_branch .LBB64_7
.LBB64_5:
                                        ; implicit-def: $sgpr40
.LBB64_6:
	s_mul_i32 s40, s7, s6
.LBB64_7:
	v_cndmask_b32_e64 v1, 0, 1, s[0:1]
	v_readfirstlane_b32 s0, v1
	s_add_i32 s8, s8, s0
	s_cmp_lt_i32 s8, 1
	s_cbranch_scc1 .LBB64_35
; %bb.8:
	s_load_dwordx2 s[0:1], s[4:5], 0x20
	s_ashr_i32 s41, s40, 31
	s_lshl_b64 s[2:3], s[40:41], 2
	v_and_b32_e32 v1, 63, v0
	s_mov_b32 s27, 0x20000
	s_waitcnt lgkmcnt(0)
	s_add_u32 s24, s0, s2
	s_addc_u32 s0, s1, s3
	s_lshl_b32 s26, s8, 2
	s_and_b32 s25, s0, 0xffff
	v_lshlrev_b32_e32 v22, 2, v1
	buffer_load_dword v17, v22, s[24:27], 0 offen
	v_cmp_eq_u32_e32 vcc, 63, v1
	v_lshrrev_b32_e32 v1, 4, v0
	v_and_b32_e32 v19, 60, v1
	v_and_b32_e32 v1, 3, v0
	s_abs_i32 s33, s10
	v_lshlrev_b32_e32 v20, 2, v1
	v_cvt_f32_u32_e32 v1, s33
	s_add_i32 s2, s35, 7
	s_ashr_i32 s3, s2, 31
	s_lshr_b32 s3, s3, 29
	v_rcp_iflag_f32_e32 v1, v1
	s_add_i32 s2, s2, s3
	s_ashr_i32 s2, s2, 3
	v_lshlrev_b32_e32 v16, 4, v0
	v_lshlrev_b32_e32 v18, 5, v0
	v_cmp_eq_u32_e64 s[0:1], 0, v0
	v_cmp_gt_u32_e64 s[2:3], s2, v0
	v_lshlrev_b32_e32 v21, 3, v0
	v_mul_f32_e32 v0, 0x4f7ffffe, v1
	s_load_dwordx8 s[16:23], s[4:5], 0x0
	s_add_i32 s4, s35, 3
	v_cvt_u32_f32_e32 v0, v0
	s_ashr_i32 s5, s4, 31
	s_lshr_b32 s5, s5, 30
	s_add_i32 s4, s4, s5
	s_and_b32 s38, s4, -4
	s_sub_i32 s4, 0, s33
	v_readfirstlane_b32 s42, v0
	s_mul_i32 s4, s4, s42
	s_mul_hi_u32 s4, s42, s4
	s_lshl_b32 s6, s35, 1
	s_lshl_b32 s30, s35, 2
	s_ashr_i32 s34, s10, 31
	s_add_i32 s42, s42, s4
	s_mov_b32 s15, s35
	s_waitcnt vmcnt(0) lgkmcnt(0)
	s_barrier
	v_readlane_b32 s28, v17, 0
	s_cmp_lt_i32 s28, 0
	s_cbranch_scc1 .LBB64_12
; %bb.9:
	s_abs_i32 s27, s40
	s_mul_hi_u32 s4, s27, s42
	s_mul_i32 s7, s4, s33
	s_sub_i32 s7, s27, s7
	s_xor_b32 s5, s41, s34
	s_add_i32 s29, s4, 1
	s_sub_i32 s31, s7, s33
	s_cmp_ge_u32 s7, s33
	s_cselect_b32 s4, s29, s4
	s_cselect_b32 s7, s31, s7
	s_add_i32 s29, s4, 1
	s_cmp_ge_u32 s7, s33
	s_cselect_b32 s4, s29, s4
	s_xor_b32 s4, s4, s5
	s_sub_i32 s4, s4, s5
	s_mul_i32 s5, s4, s10
	s_sub_i32 s5, s40, s5
	s_mul_i32 s5, s5, s12
	s_mul_i32 s4, s4, s11
	s_add_i32 s43, s5, s4
	s_cmp_eq_u32 s43, -1
	s_cbranch_scc1 .LBB64_13
; %bb.10:
	s_mul_hi_i32 s5, s43, s15
	s_mul_i32 s4, s43, s15
	s_lshl_b64 s[4:5], s[4:5], 1
	s_add_u32 s4, s20, s4
	s_addc_u32 s5, s21, s5
	s_and_b32 s5, s5, 0xffff
	s_mov_b32 s7, 0x20000
	buffer_load_dwordx4 v[4:7], v16, s[4:7], 0 offen
	s_waitcnt vmcnt(0)
	v_cvt_f32_f16_e32 v0, v4
	v_cvt_f32_f16_sdwa v1, v4 dst_sel:DWORD dst_unused:UNUSED_PAD src0_sel:WORD_1
	v_cvt_f32_f16_e32 v2, v5
	v_cvt_f32_f16_sdwa v3, v5 dst_sel:DWORD dst_unused:UNUSED_PAD src0_sel:WORD_1
	;; [unrolled: 2-line block ×4, first 2 shown]
	s_branch .LBB64_14
.LBB64_11:
                                        ; implicit-def: $sgpr2
	s_branch .LBB64_2
.LBB64_12:
	s_mov_b32 s43, -1
                                        ; implicit-def: $vgpr0_vgpr1_vgpr2_vgpr3_vgpr4_vgpr5_vgpr6_vgpr7
	s_cmp_eq_u32 s8, 1
	s_mov_b32 s41, 1
	s_cbranch_scc0 .LBB64_21
	s_branch .LBB64_35
.LBB64_13:
                                        ; implicit-def: $vgpr0_vgpr1_vgpr2_vgpr3_vgpr4_vgpr5_vgpr6_vgpr7
.LBB64_14:
	s_mul_i32 s4, s28, s35
	s_ashr_i32 s5, s4, 31
	s_lshl_b64 s[4:5], s[4:5], 2
	s_add_u32 s28, s22, s4
	s_addc_u32 s4, s23, s5
	s_and_b32 s29, s4, 0xffff
	s_mov_b32 s31, 0x20000
	buffer_load_dwordx4 v[8:11], v18, s[28:31], 0 offen
	buffer_load_dwordx4 v[24:27], v18, s[28:31], 16 offen
	s_mov_b32 s4, 0x2edbe6ff
	s_waitcnt vmcnt(1)
	v_pk_mul_f32 v[14:15], v[0:1], v[8:9]
	v_pk_mul_f32 v[12:13], v[2:3], v[10:11]
	v_max3_f32 v23, |v14|, s4, |v15|
	s_waitcnt vmcnt(0)
	v_pk_mul_f32 v[10:11], v[4:5], v[24:25]
	v_max3_f32 v23, v23, |v12|, |v13|
	v_pk_mul_f32 v[8:9], v[6:7], v[26:27]
	v_max3_f32 v23, v23, |v10|, |v11|
	v_max3_f32 v23, v23, |v8|, |v9|
	s_nop 1
	v_mov_b32_dpp v24, v23 quad_perm:[1,0,3,2] row_mask:0xf bank_mask:0xf
	v_cmp_gt_f32_e64 s[4:5], v23, v24
	v_cndmask_b32_e64 v23, v24, v23, s[4:5]
	s_nop 1
	v_mov_b32_dpp v24, v23 quad_perm:[2,3,0,1] row_mask:0xf bank_mask:0xf
	v_cmp_gt_f32_e64 s[4:5], v23, v24
	v_cndmask_b32_e64 v23, v24, v23, s[4:5]
	s_nop 1
	v_mov_b32_dpp v24, v23 row_half_mirror row_mask:0xf bank_mask:0xf
	v_cmp_gt_f32_e64 s[4:5], v23, v24
	v_cndmask_b32_e64 v23, v24, v23, s[4:5]
	s_nop 1
	v_mov_b32_dpp v24, v23 row_mirror row_mask:0xf bank_mask:0xf
	v_cmp_gt_f32_e64 s[4:5], v23, v24
	v_cndmask_b32_e64 v23, v24, v23, s[4:5]
	s_nop 1
	v_mov_b32_dpp v24, v23 row_bcast:15 row_mask:0xf bank_mask:0xf
	v_cmp_gt_f32_e64 s[4:5], v23, v24
	v_cndmask_b32_e64 v23, v24, v23, s[4:5]
	s_nop 1
	v_mov_b32_dpp v24, v23 row_bcast:31 row_mask:0xf bank_mask:0xf
	s_and_saveexec_b64 s[28:29], vcc
	s_cbranch_execz .LBB64_16
; %bb.15:
	v_cmp_gt_f32_e64 s[4:5], v23, v24
	v_cndmask_b32_e64 v23, v24, v23, s[4:5]
	ds_write_b32 v19, v23
.LBB64_16:
	s_or_b64 exec, exec, s[28:29]
	s_waitcnt lgkmcnt(0)
	s_barrier
	ds_read_b32 v23, v20
	s_abs_i32 s7, s9
	v_cvt_f32_u32_e32 v25, s7
	s_waitcnt lgkmcnt(0)
	v_mov_b32_dpp v24, v23 quad_perm:[1,0,3,2] row_mask:0xf bank_mask:0xf
	v_cmp_gt_f32_e64 s[4:5], v23, v24
	v_rcp_iflag_f32_e32 v25, v25
	v_cndmask_b32_e64 v23, v24, v23, s[4:5]
	s_nop 1
	v_mov_b32_dpp v24, v23 quad_perm:[2,3,0,1] row_mask:0xf bank_mask:0xf
	v_cmp_gt_f32_e64 s[4:5], v23, v24
	v_cndmask_b32_e64 v23, v24, v23, s[4:5]
	v_mul_f32_e32 v24, 0x4f7ffffe, v25
	v_cvt_u32_f32_e32 v24, v24
	s_sub_i32 s5, 0, s7
	s_ashr_i32 s4, s9, 31
	s_xor_b32 s4, s41, s4
	v_readfirstlane_b32 s28, v24
	s_mul_i32 s5, s5, s28
	s_mul_hi_u32 s5, s28, s5
	s_add_i32 s28, s28, s5
	s_mul_hi_u32 s5, s27, s28
	s_mul_i32 s28, s5, s7
	s_sub_i32 s27, s27, s28
	s_add_i32 s28, s5, 1
	s_sub_i32 s29, s27, s7
	s_cmp_ge_u32 s27, s7
	s_cselect_b32 s5, s28, s5
	s_cselect_b32 s27, s29, s27
	s_add_i32 s28, s5, 1
	s_cmp_ge_u32 s27, s7
	s_cselect_b32 s5, s28, s5
	s_xor_b32 s5, s5, s4
	s_sub_i32 s4, s5, s4
	s_mul_i32 s5, s4, s9
	s_sub_i32 s5, s40, s5
	s_mul_i32 s5, s5, s14
	s_mul_i32 s4, s4, s13
	v_mul_f32_e32 v23, 0x3b124925, v23
	s_add_i32 s28, s5, s4
	s_and_saveexec_b64 s[4:5], s[0:1]
	s_cbranch_execz .LBB64_18
; %bb.17:
	s_ashr_i32 s29, s28, 31
	s_lshl_b64 s[36:37], s[28:29], 2
	s_add_u32 s36, s18, s36
	s_addc_u32 s37, s19, s37
	v_mov_b32_e32 v24, 0
	global_store_dword v24, v23, s[36:37]
.LBB64_18:
	s_or_b64 exec, exec, s[4:5]
	s_and_saveexec_b64 s[4:5], s[2:3]
	s_cbranch_execz .LBB64_20
; %bb.19:
	v_rcp_f32_e32 v24, v23
	s_mul_i32 s27, s28, s15
	s_mul_hi_i32 s7, s28, s15
	s_add_u32 s36, s16, s27
	v_mov_b32_e32 v25, v24
	;;#ASMSTART
	v_pk_mul_f32 v[14:15], v[14:15], v[24:25]
	;;#ASMEND
	s_addc_u32 s7, s17, s7
	v_mov_b32_e32 v23, 0xc3e00000
	v_mov_b32_e32 v26, 0x43e00000
	;;#ASMSTART
	v_med3_f32 v14, v14, v23, v26
v_med3_f32 v15, v15, v23, v26
v_cvt_pk_fp8_f32 v27, v14, v15
	;;#ASMEND
	;;#ASMSTART
	v_pk_mul_f32 v[12:13], v[12:13], v[24:25]
	;;#ASMEND
	s_and_b32 s37, s7, 0xffff
	;;#ASMSTART
	v_med3_f32 v12, v12, v23, v26
v_med3_f32 v13, v13, v23, v26
v_cvt_pk_fp8_f32 v14, v12, v13
	;;#ASMEND
	s_mov_b32 s7, 0x5040100
	v_perm_b32 v13, v14, v27, s7
	s_movk_i32 s7, 0xff
	v_and_b32_e32 v12, 0xffffff00, v14
	v_and_b32_sdwa v14, v13, s7 dst_sel:DWORD dst_unused:UNUSED_PAD src0_sel:WORD_1 src1_sel:DWORD
	s_mov_b32 s27, 0xffff
	v_or_b32_sdwa v12, v14, v12 dst_sel:WORD_1 dst_unused:UNUSED_PAD src0_sel:DWORD src1_sel:DWORD
	;;#ASMSTART
	v_pk_mul_f32 v[10:11], v[10:11], v[24:25]
	;;#ASMEND
	v_and_or_b32 v12, v13, s27, v12
	;;#ASMSTART
	v_med3_f32 v10, v10, v23, v26
v_med3_f32 v11, v11, v23, v26
v_cvt_pk_fp8_f32 v13, v10, v11
	;;#ASMEND
	;;#ASMSTART
	v_pk_mul_f32 v[8:9], v[8:9], v[24:25]
	;;#ASMEND
	;;#ASMSTART
	v_med3_f32 v8, v8, v23, v26
v_med3_f32 v9, v9, v23, v26
v_cvt_pk_fp8_f32 v10, v8, v9
	;;#ASMEND
	v_lshlrev_b32_e32 v8, 16, v10
	s_mov_b32 s39, 0x20000
	v_and_or_b32 v13, v13, s27, v8
	buffer_store_dwordx2 v[12:13], v21, s[36:39], 0 offen
	;;#ASMSTART
	s_nop 0
	;;#ASMEND
.LBB64_20:
	s_or_b64 exec, exec, s[4:5]
	s_cmp_eq_u32 s8, 1
	s_mov_b32 s41, 1
	s_cbranch_scc1 .LBB64_35
.LBB64_21:
	s_abs_i32 s44, s9
	v_cvt_f32_u32_e32 v8, s44
	s_sub_i32 s4, 0, s44
	s_ashr_i32 s45, s9, 31
	v_add_u32_e32 v22, 4, v22
	v_rcp_iflag_f32_e32 v8, v8
	s_mov_b32 s46, 0xffff
	s_mov_b32 s31, 0x20000
	;; [unrolled: 1-line block ×3, first 2 shown]
	v_mul_f32_e32 v8, 0x4f7ffffe, v8
	v_cvt_u32_f32_e32 v8, v8
	v_mov_b32_e32 v23, 0
	v_mov_b32_e32 v24, 0xc3e00000
	;; [unrolled: 1-line block ×3, first 2 shown]
	v_readfirstlane_b32 s5, v8
	s_mul_i32 s4, s4, s5
	s_mul_hi_u32 s4, s5, s4
	s_add_i32 s48, s5, s4
	s_mov_b32 s49, 0x5040100
	s_movk_i32 s50, 0xff
	s_branch .LBB64_24
.LBB64_22:                              ;   in Loop: Header=BB64_24 Depth=1
	s_or_b64 exec, exec, s[4:5]
.LBB64_23:                              ;   in Loop: Header=BB64_24 Depth=1
	s_add_i32 s41, s41, 1
	s_cmp_eq_u32 s8, s41
	v_add_u32_e32 v22, 4, v22
	s_cbranch_scc1 .LBB64_35
.LBB64_24:                              ; =>This Inner Loop Header: Depth=1
	s_and_b32 s4, s41, 63
	s_cmp_lg_u32 s4, 0
	s_cbranch_scc1 .LBB64_26
; %bb.25:                               ;   in Loop: Header=BB64_24 Depth=1
	s_mov_b32 s27, s31
	buffer_load_dword v17, v22, s[24:27], 0 offen
	s_waitcnt vmcnt(0)
.LBB64_26:                              ;   in Loop: Header=BB64_24 Depth=1
	v_readlane_b32 s28, v17, s4
	s_cmp_lt_i32 s28, 0
	s_cbranch_scc1 .LBB64_23
; %bb.27:                               ;   in Loop: Header=BB64_24 Depth=1
	s_add_i32 s27, s40, s41
	s_abs_i32 s36, s27
	s_mul_hi_u32 s5, s36, s42
	s_mul_i32 s7, s5, s33
	s_ashr_i32 s37, s27, 31
	s_sub_i32 s7, s36, s7
	s_xor_b32 s4, s37, s34
	s_add_i32 s29, s5, 1
	s_sub_i32 s39, s7, s33
	s_cmp_ge_u32 s7, s33
	s_cselect_b32 s5, s29, s5
	s_cselect_b32 s7, s39, s7
	s_add_i32 s29, s5, 1
	s_cmp_ge_u32 s7, s33
	s_cselect_b32 s5, s29, s5
	s_xor_b32 s5, s5, s4
	s_sub_i32 s4, s5, s4
	s_mul_i32 s5, s4, s10
	s_sub_i32 s5, s27, s5
	s_mul_i32 s29, s5, s12
	s_mul_i32 s4, s4, s11
	s_add_i32 s29, s29, s4
	s_cmp_eq_u32 s29, s43
	s_cbranch_scc1 .LBB64_29
; %bb.28:                               ;   in Loop: Header=BB64_24 Depth=1
	s_mul_hi_i32 s5, s29, s15
	s_mul_i32 s4, s29, s15
	s_lshl_b64 s[4:5], s[4:5], 1
	s_add_u32 s4, s20, s4
	s_addc_u32 s5, s21, s5
	s_and_b32 s5, s5, 0xffff
	s_mov_b32 s7, s31
	buffer_load_dwordx4 v[4:7], v16, s[4:7], 0 offen
	s_mov_b32 s43, s29
	s_waitcnt vmcnt(0)
	v_cvt_f32_f16_e32 v0, v4
	v_cvt_f32_f16_sdwa v1, v4 dst_sel:DWORD dst_unused:UNUSED_PAD src0_sel:WORD_1
	v_cvt_f32_f16_e32 v2, v5
	v_cvt_f32_f16_sdwa v3, v5 dst_sel:DWORD dst_unused:UNUSED_PAD src0_sel:WORD_1
	;; [unrolled: 2-line block ×4, first 2 shown]
.LBB64_29:                              ;   in Loop: Header=BB64_24 Depth=1
	s_mul_i32 s4, s28, s35
	s_ashr_i32 s5, s4, 31
	s_lshl_b64 s[4:5], s[4:5], 2
	s_add_u32 s28, s22, s4
	s_addc_u32 s4, s23, s5
	s_and_b32 s29, s4, 0xffff
	buffer_load_dwordx4 v[8:11], v18, s[28:31], 0 offen
	buffer_load_dwordx4 v[26:29], v18, s[28:31], 16 offen
	s_waitcnt vmcnt(1)
	v_pk_mul_f32 v[14:15], v[0:1], v[8:9]
	v_pk_mul_f32 v[12:13], v[2:3], v[10:11]
	s_waitcnt vmcnt(0)
	v_pk_mul_f32 v[10:11], v[4:5], v[26:27]
	v_max3_f32 v26, |v14|, s47, |v15|
	v_max3_f32 v26, v26, |v12|, |v13|
	v_pk_mul_f32 v[8:9], v[6:7], v[28:29]
	v_max3_f32 v26, v26, |v10|, |v11|
	v_max3_f32 v26, v26, |v8|, |v9|
	s_nop 1
	v_mov_b32_dpp v27, v26 quad_perm:[1,0,3,2] row_mask:0xf bank_mask:0xf
	v_cmp_gt_f32_e64 s[4:5], v26, v27
	v_cndmask_b32_e64 v26, v27, v26, s[4:5]
	s_nop 1
	v_mov_b32_dpp v27, v26 quad_perm:[2,3,0,1] row_mask:0xf bank_mask:0xf
	v_cmp_gt_f32_e64 s[4:5], v26, v27
	v_cndmask_b32_e64 v26, v27, v26, s[4:5]
	s_nop 1
	v_mov_b32_dpp v27, v26 row_half_mirror row_mask:0xf bank_mask:0xf
	v_cmp_gt_f32_e64 s[4:5], v26, v27
	v_cndmask_b32_e64 v26, v27, v26, s[4:5]
	s_nop 1
	v_mov_b32_dpp v27, v26 row_mirror row_mask:0xf bank_mask:0xf
	v_cmp_gt_f32_e64 s[4:5], v26, v27
	v_cndmask_b32_e64 v26, v27, v26, s[4:5]
	s_nop 1
	v_mov_b32_dpp v27, v26 row_bcast:15 row_mask:0xf bank_mask:0xf
	v_cmp_gt_f32_e64 s[4:5], v26, v27
	v_cndmask_b32_e64 v26, v27, v26, s[4:5]
	s_nop 1
	v_mov_b32_dpp v27, v26 row_bcast:31 row_mask:0xf bank_mask:0xf
	s_and_saveexec_b64 s[28:29], vcc
	s_cbranch_execz .LBB64_31
; %bb.30:                               ;   in Loop: Header=BB64_24 Depth=1
	v_cmp_gt_f32_e64 s[4:5], v26, v27
	v_cndmask_b32_e64 v26, v27, v26, s[4:5]
	ds_write_b32 v19, v26
.LBB64_31:                              ;   in Loop: Header=BB64_24 Depth=1
	s_or_b64 exec, exec, s[28:29]
	s_waitcnt lgkmcnt(0)
	s_barrier
	ds_read_b32 v26, v20
	s_waitcnt lgkmcnt(0)
	s_nop 0
	v_mov_b32_dpp v27, v26 quad_perm:[1,0,3,2] row_mask:0xf bank_mask:0xf
	v_cmp_gt_f32_e64 s[4:5], v26, v27
	v_cndmask_b32_e64 v26, v27, v26, s[4:5]
	s_nop 1
	v_mov_b32_dpp v27, v26 quad_perm:[2,3,0,1] row_mask:0xf bank_mask:0xf
	v_cmp_gt_f32_e64 s[4:5], v26, v27
	v_cndmask_b32_e64 v26, v27, v26, s[4:5]
	s_mul_hi_u32 s5, s36, s48
	s_mul_i32 s7, s5, s44
	s_sub_i32 s7, s36, s7
	s_xor_b32 s4, s37, s45
	s_add_i32 s28, s5, 1
	s_sub_i32 s29, s7, s44
	s_cmp_ge_u32 s7, s44
	s_cselect_b32 s5, s28, s5
	s_cselect_b32 s7, s29, s7
	s_add_i32 s28, s5, 1
	s_cmp_ge_u32 s7, s44
	s_cselect_b32 s5, s28, s5
	s_xor_b32 s5, s5, s4
	s_sub_i32 s4, s5, s4
	s_mul_i32 s5, s4, s9
	s_sub_i32 s5, s27, s5
	s_mul_i32 s5, s5, s14
	s_mul_i32 s4, s4, s13
	v_mul_f32_e32 v26, 0x3b124925, v26
	s_add_i32 s28, s5, s4
	s_and_saveexec_b64 s[4:5], s[0:1]
	s_cbranch_execz .LBB64_33
; %bb.32:                               ;   in Loop: Header=BB64_24 Depth=1
	s_ashr_i32 s29, s28, 31
	s_lshl_b64 s[36:37], s[28:29], 2
	s_add_u32 s36, s18, s36
	s_addc_u32 s37, s19, s37
	global_store_dword v23, v26, s[36:37]
.LBB64_33:                              ;   in Loop: Header=BB64_24 Depth=1
	s_or_b64 exec, exec, s[4:5]
	s_and_saveexec_b64 s[4:5], s[2:3]
	s_cbranch_execz .LBB64_22
; %bb.34:                               ;   in Loop: Header=BB64_24 Depth=1
	v_rcp_f32_e32 v26, v26
	s_mul_i32 s27, s28, s15
	s_mul_hi_i32 s7, s28, s15
	s_add_u32 s36, s16, s27
	v_mov_b32_e32 v27, v26
	;;#ASMSTART
	v_pk_mul_f32 v[14:15], v[14:15], v[26:27]
	;;#ASMEND
	;;#ASMSTART
	v_med3_f32 v14, v14, v24, v25
v_med3_f32 v15, v15, v24, v25
v_cvt_pk_fp8_f32 v28, v14, v15
	;;#ASMEND
	;;#ASMSTART
	v_pk_mul_f32 v[12:13], v[12:13], v[26:27]
	;;#ASMEND
	;;#ASMSTART
	v_med3_f32 v12, v12, v24, v25
v_med3_f32 v13, v13, v24, v25
v_cvt_pk_fp8_f32 v14, v12, v13
	;;#ASMEND
	v_perm_b32 v13, v14, v28, s49
	v_and_b32_e32 v12, 0xffffff00, v14
	v_and_b32_sdwa v14, v13, s50 dst_sel:DWORD dst_unused:UNUSED_PAD src0_sel:WORD_1 src1_sel:DWORD
	v_or_b32_sdwa v12, v14, v12 dst_sel:WORD_1 dst_unused:UNUSED_PAD src0_sel:DWORD src1_sel:DWORD
	;;#ASMSTART
	v_pk_mul_f32 v[10:11], v[10:11], v[26:27]
	;;#ASMEND
	v_and_or_b32 v12, v13, s46, v12
	;;#ASMSTART
	v_med3_f32 v10, v10, v24, v25
v_med3_f32 v11, v11, v24, v25
v_cvt_pk_fp8_f32 v13, v10, v11
	;;#ASMEND
	;;#ASMSTART
	v_pk_mul_f32 v[8:9], v[8:9], v[26:27]
	;;#ASMEND
	;;#ASMSTART
	v_med3_f32 v8, v8, v24, v25
v_med3_f32 v9, v9, v24, v25
v_cvt_pk_fp8_f32 v10, v8, v9
	;;#ASMEND
	s_addc_u32 s7, s17, s7
	v_lshlrev_b32_e32 v8, 16, v10
	s_and_b32 s37, s7, 0xffff
	s_mov_b32 s39, s31
	v_and_or_b32 v13, v13, s46, v8
	buffer_store_dwordx2 v[12:13], v21, s[36:39], 0 offen
	;;#ASMSTART
	s_nop 0
	;;#ASMEND
	s_branch .LBB64_22
.LBB64_35:
	s_endpgm
	.section	.rodata,"a",@progbits
	.p2align	6, 0x0
	.amdhsa_kernel _ZN5aiter36smooth_per_token_scaled_quant_kernelIDF16_DB8_Li256ELi8ELb1ELb1ELb0ELi1024EEEvPT0_PfPT_S4_PiS7_iiPKiiiiiiiii
		.amdhsa_group_segment_fixed_size 16
		.amdhsa_private_segment_fixed_size 0
		.amdhsa_kernarg_size 96
		.amdhsa_user_sgpr_count 6
		.amdhsa_user_sgpr_private_segment_buffer 1
		.amdhsa_user_sgpr_dispatch_ptr 0
		.amdhsa_user_sgpr_queue_ptr 0
		.amdhsa_user_sgpr_kernarg_segment_ptr 1
		.amdhsa_user_sgpr_dispatch_id 0
		.amdhsa_user_sgpr_flat_scratch_init 0
		.amdhsa_user_sgpr_kernarg_preload_length 0
		.amdhsa_user_sgpr_kernarg_preload_offset 0
		.amdhsa_user_sgpr_private_segment_size 0
		.amdhsa_uses_dynamic_stack 0
		.amdhsa_system_sgpr_private_segment_wavefront_offset 0
		.amdhsa_system_sgpr_workgroup_id_x 1
		.amdhsa_system_sgpr_workgroup_id_y 0
		.amdhsa_system_sgpr_workgroup_id_z 0
		.amdhsa_system_sgpr_workgroup_info 0
		.amdhsa_system_vgpr_workitem_id 0
		.amdhsa_next_free_vgpr 30
		.amdhsa_next_free_sgpr 51
		.amdhsa_accum_offset 32
		.amdhsa_reserve_vcc 1
		.amdhsa_reserve_flat_scratch 0
		.amdhsa_float_round_mode_32 0
		.amdhsa_float_round_mode_16_64 0
		.amdhsa_float_denorm_mode_32 3
		.amdhsa_float_denorm_mode_16_64 3
		.amdhsa_dx10_clamp 1
		.amdhsa_ieee_mode 1
		.amdhsa_fp16_overflow 0
		.amdhsa_tg_split 0
		.amdhsa_exception_fp_ieee_invalid_op 0
		.amdhsa_exception_fp_denorm_src 0
		.amdhsa_exception_fp_ieee_div_zero 0
		.amdhsa_exception_fp_ieee_overflow 0
		.amdhsa_exception_fp_ieee_underflow 0
		.amdhsa_exception_fp_ieee_inexact 0
		.amdhsa_exception_int_div_zero 0
	.end_amdhsa_kernel
	.section	.text._ZN5aiter36smooth_per_token_scaled_quant_kernelIDF16_DB8_Li256ELi8ELb1ELb1ELb0ELi1024EEEvPT0_PfPT_S4_PiS7_iiPKiiiiiiiii,"axG",@progbits,_ZN5aiter36smooth_per_token_scaled_quant_kernelIDF16_DB8_Li256ELi8ELb1ELb1ELb0ELi1024EEEvPT0_PfPT_S4_PiS7_iiPKiiiiiiiii,comdat
.Lfunc_end64:
	.size	_ZN5aiter36smooth_per_token_scaled_quant_kernelIDF16_DB8_Li256ELi8ELb1ELb1ELb0ELi1024EEEvPT0_PfPT_S4_PiS7_iiPKiiiiiiiii, .Lfunc_end64-_ZN5aiter36smooth_per_token_scaled_quant_kernelIDF16_DB8_Li256ELi8ELb1ELb1ELb0ELi1024EEEvPT0_PfPT_S4_PiS7_iiPKiiiiiiiii
                                        ; -- End function
	.section	.AMDGPU.csdata,"",@progbits
; Kernel info:
; codeLenInByte = 2692
; NumSgprs: 55
; NumVgprs: 30
; NumAgprs: 0
; TotalNumVgprs: 30
; ScratchSize: 0
; MemoryBound: 0
; FloatMode: 240
; IeeeMode: 1
; LDSByteSize: 16 bytes/workgroup (compile time only)
; SGPRBlocks: 6
; VGPRBlocks: 3
; NumSGPRsForWavesPerEU: 55
; NumVGPRsForWavesPerEU: 30
; AccumOffset: 32
; Occupancy: 8
; WaveLimiterHint : 0
; COMPUTE_PGM_RSRC2:SCRATCH_EN: 0
; COMPUTE_PGM_RSRC2:USER_SGPR: 6
; COMPUTE_PGM_RSRC2:TRAP_HANDLER: 0
; COMPUTE_PGM_RSRC2:TGID_X_EN: 1
; COMPUTE_PGM_RSRC2:TGID_Y_EN: 0
; COMPUTE_PGM_RSRC2:TGID_Z_EN: 0
; COMPUTE_PGM_RSRC2:TIDIG_COMP_CNT: 0
; COMPUTE_PGM_RSRC3_GFX90A:ACCUM_OFFSET: 7
; COMPUTE_PGM_RSRC3_GFX90A:TG_SPLIT: 0
	.section	.text._ZN5aiter36smooth_per_token_scaled_quant_kernelItDB8_Li256ELi8ELb1ELb1ELb0ELi1024EEEvPT0_PfPT_S4_PiS7_iiPKiiiiiiiii,"axG",@progbits,_ZN5aiter36smooth_per_token_scaled_quant_kernelItDB8_Li256ELi8ELb1ELb1ELb0ELi1024EEEvPT0_PfPT_S4_PiS7_iiPKiiiiiiiii,comdat
	.protected	_ZN5aiter36smooth_per_token_scaled_quant_kernelItDB8_Li256ELi8ELb1ELb1ELb0ELi1024EEEvPT0_PfPT_S4_PiS7_iiPKiiiiiiiii ; -- Begin function _ZN5aiter36smooth_per_token_scaled_quant_kernelItDB8_Li256ELi8ELb1ELb1ELb0ELi1024EEEvPT0_PfPT_S4_PiS7_iiPKiiiiiiiii
	.globl	_ZN5aiter36smooth_per_token_scaled_quant_kernelItDB8_Li256ELi8ELb1ELb1ELb0ELi1024EEEvPT0_PfPT_S4_PiS7_iiPKiiiiiiiii
	.p2align	8
	.type	_ZN5aiter36smooth_per_token_scaled_quant_kernelItDB8_Li256ELi8ELb1ELb1ELb0ELi1024EEEvPT0_PfPT_S4_PiS7_iiPKiiiiiiiii,@function
_ZN5aiter36smooth_per_token_scaled_quant_kernelItDB8_Li256ELi8ELb1ELb1ELb0ELi1024EEEvPT0_PfPT_S4_PiS7_iiPKiiiiiiiii: ; @_ZN5aiter36smooth_per_token_scaled_quant_kernelItDB8_Li256ELi8ELb1ELb1ELb0ELi1024EEEvPT0_PfPT_S4_PiS7_iiPKiiiiiiiii
; %bb.0:
	s_load_dwordx2 s[2:3], s[4:5], 0x38
	s_load_dwordx8 s[8:15], s[4:5], 0x40
	s_mov_b64 s[0:1], 0
	s_waitcnt lgkmcnt(0)
	s_cmp_lg_u64 s[2:3], 0
	s_cbranch_scc0 .LBB65_11
; %bb.1:
	s_load_dword s2, s[2:3], 0x0
	s_waitcnt lgkmcnt(0)
	s_mul_i32 s2, s2, s8
	s_andn2_b64 vcc, exec, s[0:1]
	s_cbranch_vccnz .LBB65_3
.LBB65_2:
	s_mul_i32 s2, s10, s9
.LBB65_3:
	s_load_dwordx2 s[34:35], s[4:5], 0x30
	s_abs_i32 s1, s2
	s_waitcnt lgkmcnt(0)
	s_abs_i32 s0, s34
	v_cvt_f32_u32_e32 v1, s0
	s_sub_i32 s7, 0, s0
	s_xor_b32 s3, s2, s34
	s_ashr_i32 s3, s3, 31
	v_rcp_iflag_f32_e32 v1, v1
	v_mul_f32_e32 v1, 0x4f7ffffe, v1
	v_cvt_u32_f32_e32 v1, v1
	v_readfirstlane_b32 s8, v1
	s_mul_i32 s7, s7, s8
	s_mul_hi_u32 s7, s8, s7
	s_add_i32 s8, s8, s7
	s_mul_hi_u32 s7, s1, s8
	s_mul_i32 s8, s7, s0
	s_sub_i32 s1, s1, s8
	s_add_i32 s15, s7, 1
	s_sub_i32 s8, s1, s0
	s_cmp_ge_u32 s1, s0
	s_cselect_b32 s7, s15, s7
	s_cselect_b32 s1, s8, s1
	s_add_i32 s8, s7, 1
	s_cmp_ge_u32 s1, s0
	s_cselect_b32 s0, s8, s7
	s_xor_b32 s0, s0, s3
	s_sub_i32 s8, s0, s3
	s_mul_i32 s0, s8, s34
	s_sub_i32 s2, s2, s0
	s_cmp_lt_u32 s6, s2
	s_cselect_b64 s[0:1], -1, 0
	s_add_i32 s7, s8, 1
	s_cmp_ge_u32 s6, s2
	s_cbranch_scc0 .LBB65_5
; %bb.4:
	s_mul_i32 s3, s2, s7
	s_sub_i32 s2, s6, s2
	s_mul_i32 s2, s2, s8
	s_add_i32 s40, s2, s3
	s_cbranch_execz .LBB65_6
	s_branch .LBB65_7
.LBB65_5:
                                        ; implicit-def: $sgpr40
.LBB65_6:
	s_mul_i32 s40, s7, s6
.LBB65_7:
	v_cndmask_b32_e64 v1, 0, 1, s[0:1]
	v_readfirstlane_b32 s0, v1
	s_add_i32 s8, s8, s0
	s_cmp_lt_i32 s8, 1
	s_cbranch_scc1 .LBB65_35
; %bb.8:
	s_load_dwordx2 s[0:1], s[4:5], 0x20
	s_ashr_i32 s41, s40, 31
	s_lshl_b64 s[2:3], s[40:41], 2
	v_and_b32_e32 v1, 63, v0
	s_mov_b32 s27, 0x20000
	s_waitcnt lgkmcnt(0)
	s_add_u32 s24, s0, s2
	s_addc_u32 s0, s1, s3
	s_lshl_b32 s26, s8, 2
	s_and_b32 s25, s0, 0xffff
	v_lshlrev_b32_e32 v22, 2, v1
	buffer_load_dword v17, v22, s[24:27], 0 offen
	v_cmp_eq_u32_e32 vcc, 63, v1
	v_lshrrev_b32_e32 v1, 4, v0
	v_and_b32_e32 v19, 60, v1
	v_and_b32_e32 v1, 3, v0
	s_abs_i32 s33, s10
	v_lshlrev_b32_e32 v20, 2, v1
	v_cvt_f32_u32_e32 v1, s33
	s_add_i32 s2, s35, 7
	s_ashr_i32 s3, s2, 31
	s_lshr_b32 s3, s3, 29
	v_rcp_iflag_f32_e32 v1, v1
	s_add_i32 s2, s2, s3
	s_ashr_i32 s2, s2, 3
	v_lshlrev_b32_e32 v16, 4, v0
	v_lshlrev_b32_e32 v18, 5, v0
	v_cmp_eq_u32_e64 s[0:1], 0, v0
	v_cmp_gt_u32_e64 s[2:3], s2, v0
	v_lshlrev_b32_e32 v21, 3, v0
	v_mul_f32_e32 v0, 0x4f7ffffe, v1
	s_load_dwordx8 s[16:23], s[4:5], 0x0
	s_add_i32 s4, s35, 3
	v_cvt_u32_f32_e32 v0, v0
	s_ashr_i32 s5, s4, 31
	s_lshr_b32 s5, s5, 30
	s_add_i32 s4, s4, s5
	s_and_b32 s38, s4, -4
	s_sub_i32 s4, 0, s33
	v_readfirstlane_b32 s42, v0
	s_mul_i32 s4, s4, s42
	s_mul_hi_u32 s4, s42, s4
	s_lshl_b32 s6, s35, 1
	s_lshl_b32 s30, s35, 2
	s_ashr_i32 s34, s10, 31
	s_add_i32 s42, s42, s4
	s_mov_b32 s15, s35
	s_waitcnt vmcnt(0) lgkmcnt(0)
	s_barrier
	v_readlane_b32 s28, v17, 0
	s_cmp_lt_i32 s28, 0
	s_cbranch_scc1 .LBB65_12
; %bb.9:
	s_abs_i32 s27, s40
	s_mul_hi_u32 s4, s27, s42
	s_mul_i32 s7, s4, s33
	s_sub_i32 s7, s27, s7
	s_xor_b32 s5, s41, s34
	s_add_i32 s29, s4, 1
	s_sub_i32 s31, s7, s33
	s_cmp_ge_u32 s7, s33
	s_cselect_b32 s4, s29, s4
	s_cselect_b32 s7, s31, s7
	s_add_i32 s29, s4, 1
	s_cmp_ge_u32 s7, s33
	s_cselect_b32 s4, s29, s4
	s_xor_b32 s4, s4, s5
	s_sub_i32 s4, s4, s5
	s_mul_i32 s5, s4, s10
	s_sub_i32 s5, s40, s5
	s_mul_i32 s5, s5, s12
	s_mul_i32 s4, s4, s11
	s_add_i32 s43, s5, s4
	s_cmp_eq_u32 s43, -1
	s_cbranch_scc1 .LBB65_13
; %bb.10:
	s_mul_hi_i32 s5, s43, s15
	s_mul_i32 s4, s43, s15
	s_lshl_b64 s[4:5], s[4:5], 1
	s_add_u32 s4, s20, s4
	s_addc_u32 s5, s21, s5
	s_and_b32 s5, s5, 0xffff
	s_mov_b32 s7, 0x20000
	buffer_load_dwordx4 v[6:9], v16, s[4:7], 0 offen
	s_waitcnt vmcnt(0)
	v_cvt_f32_u32_sdwa v1, v6 dst_sel:DWORD dst_unused:UNUSED_PAD src0_sel:WORD_1
	v_cvt_f32_u32_sdwa v0, v6 dst_sel:DWORD dst_unused:UNUSED_PAD src0_sel:WORD_0
	v_cvt_f32_u32_sdwa v3, v7 dst_sel:DWORD dst_unused:UNUSED_PAD src0_sel:WORD_1
	v_cvt_f32_u32_sdwa v2, v7 dst_sel:DWORD dst_unused:UNUSED_PAD src0_sel:WORD_0
	;; [unrolled: 2-line block ×4, first 2 shown]
	s_branch .LBB65_14
.LBB65_11:
                                        ; implicit-def: $sgpr2
	s_branch .LBB65_2
.LBB65_12:
	s_mov_b32 s43, -1
                                        ; implicit-def: $vgpr0_vgpr1_vgpr2_vgpr3_vgpr4_vgpr5_vgpr6_vgpr7
	s_cmp_eq_u32 s8, 1
	s_mov_b32 s41, 1
	s_cbranch_scc0 .LBB65_21
	s_branch .LBB65_35
.LBB65_13:
                                        ; implicit-def: $vgpr0_vgpr1_vgpr2_vgpr3_vgpr4_vgpr5_vgpr6_vgpr7
.LBB65_14:
	s_mul_i32 s4, s28, s35
	s_ashr_i32 s5, s4, 31
	s_lshl_b64 s[4:5], s[4:5], 2
	s_add_u32 s28, s22, s4
	s_addc_u32 s4, s23, s5
	s_and_b32 s29, s4, 0xffff
	s_mov_b32 s31, 0x20000
	buffer_load_dwordx4 v[8:11], v18, s[28:31], 0 offen
	buffer_load_dwordx4 v[24:27], v18, s[28:31], 16 offen
	s_mov_b32 s4, 0x2edbe6ff
	s_waitcnt vmcnt(1)
	v_pk_mul_f32 v[14:15], v[0:1], v[8:9]
	v_pk_mul_f32 v[12:13], v[2:3], v[10:11]
	v_max3_f32 v23, |v14|, s4, |v15|
	s_waitcnt vmcnt(0)
	v_pk_mul_f32 v[10:11], v[4:5], v[24:25]
	v_max3_f32 v23, v23, |v12|, |v13|
	v_pk_mul_f32 v[8:9], v[6:7], v[26:27]
	v_max3_f32 v23, v23, |v10|, |v11|
	v_max3_f32 v23, v23, |v8|, |v9|
	s_nop 1
	v_mov_b32_dpp v24, v23 quad_perm:[1,0,3,2] row_mask:0xf bank_mask:0xf
	v_cmp_gt_f32_e64 s[4:5], v23, v24
	v_cndmask_b32_e64 v23, v24, v23, s[4:5]
	s_nop 1
	v_mov_b32_dpp v24, v23 quad_perm:[2,3,0,1] row_mask:0xf bank_mask:0xf
	v_cmp_gt_f32_e64 s[4:5], v23, v24
	v_cndmask_b32_e64 v23, v24, v23, s[4:5]
	s_nop 1
	v_mov_b32_dpp v24, v23 row_half_mirror row_mask:0xf bank_mask:0xf
	v_cmp_gt_f32_e64 s[4:5], v23, v24
	v_cndmask_b32_e64 v23, v24, v23, s[4:5]
	s_nop 1
	v_mov_b32_dpp v24, v23 row_mirror row_mask:0xf bank_mask:0xf
	v_cmp_gt_f32_e64 s[4:5], v23, v24
	v_cndmask_b32_e64 v23, v24, v23, s[4:5]
	s_nop 1
	v_mov_b32_dpp v24, v23 row_bcast:15 row_mask:0xf bank_mask:0xf
	v_cmp_gt_f32_e64 s[4:5], v23, v24
	v_cndmask_b32_e64 v23, v24, v23, s[4:5]
	s_nop 1
	v_mov_b32_dpp v24, v23 row_bcast:31 row_mask:0xf bank_mask:0xf
	s_and_saveexec_b64 s[28:29], vcc
	s_cbranch_execz .LBB65_16
; %bb.15:
	v_cmp_gt_f32_e64 s[4:5], v23, v24
	v_cndmask_b32_e64 v23, v24, v23, s[4:5]
	ds_write_b32 v19, v23
.LBB65_16:
	s_or_b64 exec, exec, s[28:29]
	s_waitcnt lgkmcnt(0)
	s_barrier
	ds_read_b32 v23, v20
	s_abs_i32 s7, s9
	v_cvt_f32_u32_e32 v25, s7
	s_waitcnt lgkmcnt(0)
	v_mov_b32_dpp v24, v23 quad_perm:[1,0,3,2] row_mask:0xf bank_mask:0xf
	v_cmp_gt_f32_e64 s[4:5], v23, v24
	v_rcp_iflag_f32_e32 v25, v25
	v_cndmask_b32_e64 v23, v24, v23, s[4:5]
	s_nop 1
	v_mov_b32_dpp v24, v23 quad_perm:[2,3,0,1] row_mask:0xf bank_mask:0xf
	v_cmp_gt_f32_e64 s[4:5], v23, v24
	v_cndmask_b32_e64 v23, v24, v23, s[4:5]
	v_mul_f32_e32 v24, 0x4f7ffffe, v25
	v_cvt_u32_f32_e32 v24, v24
	s_sub_i32 s5, 0, s7
	s_ashr_i32 s4, s9, 31
	s_xor_b32 s4, s41, s4
	v_readfirstlane_b32 s28, v24
	s_mul_i32 s5, s5, s28
	s_mul_hi_u32 s5, s28, s5
	s_add_i32 s28, s28, s5
	s_mul_hi_u32 s5, s27, s28
	s_mul_i32 s28, s5, s7
	s_sub_i32 s27, s27, s28
	s_add_i32 s28, s5, 1
	s_sub_i32 s29, s27, s7
	s_cmp_ge_u32 s27, s7
	s_cselect_b32 s5, s28, s5
	s_cselect_b32 s27, s29, s27
	s_add_i32 s28, s5, 1
	s_cmp_ge_u32 s27, s7
	s_cselect_b32 s5, s28, s5
	s_xor_b32 s5, s5, s4
	s_sub_i32 s4, s5, s4
	s_mul_i32 s5, s4, s9
	s_sub_i32 s5, s40, s5
	s_mul_i32 s5, s5, s14
	s_mul_i32 s4, s4, s13
	v_mul_f32_e32 v23, 0x3b124925, v23
	s_add_i32 s28, s5, s4
	s_and_saveexec_b64 s[4:5], s[0:1]
	s_cbranch_execz .LBB65_18
; %bb.17:
	s_ashr_i32 s29, s28, 31
	s_lshl_b64 s[36:37], s[28:29], 2
	s_add_u32 s36, s18, s36
	s_addc_u32 s37, s19, s37
	v_mov_b32_e32 v24, 0
	global_store_dword v24, v23, s[36:37]
.LBB65_18:
	s_or_b64 exec, exec, s[4:5]
	s_and_saveexec_b64 s[4:5], s[2:3]
	s_cbranch_execz .LBB65_20
; %bb.19:
	v_rcp_f32_e32 v24, v23
	s_mul_i32 s27, s28, s15
	s_mul_hi_i32 s7, s28, s15
	s_add_u32 s36, s16, s27
	v_mov_b32_e32 v25, v24
	;;#ASMSTART
	v_pk_mul_f32 v[14:15], v[14:15], v[24:25]
	;;#ASMEND
	s_addc_u32 s7, s17, s7
	v_mov_b32_e32 v23, 0xc3e00000
	v_mov_b32_e32 v26, 0x43e00000
	;;#ASMSTART
	v_med3_f32 v14, v14, v23, v26
v_med3_f32 v15, v15, v23, v26
v_cvt_pk_fp8_f32 v27, v14, v15
	;;#ASMEND
	;;#ASMSTART
	v_pk_mul_f32 v[12:13], v[12:13], v[24:25]
	;;#ASMEND
	s_and_b32 s37, s7, 0xffff
	;;#ASMSTART
	v_med3_f32 v12, v12, v23, v26
v_med3_f32 v13, v13, v23, v26
v_cvt_pk_fp8_f32 v14, v12, v13
	;;#ASMEND
	s_mov_b32 s7, 0x5040100
	v_perm_b32 v13, v14, v27, s7
	s_movk_i32 s7, 0xff
	v_and_b32_e32 v12, 0xffffff00, v14
	v_and_b32_sdwa v14, v13, s7 dst_sel:DWORD dst_unused:UNUSED_PAD src0_sel:WORD_1 src1_sel:DWORD
	s_mov_b32 s27, 0xffff
	v_or_b32_sdwa v12, v14, v12 dst_sel:WORD_1 dst_unused:UNUSED_PAD src0_sel:DWORD src1_sel:DWORD
	;;#ASMSTART
	v_pk_mul_f32 v[10:11], v[10:11], v[24:25]
	;;#ASMEND
	v_and_or_b32 v12, v13, s27, v12
	;;#ASMSTART
	v_med3_f32 v10, v10, v23, v26
v_med3_f32 v11, v11, v23, v26
v_cvt_pk_fp8_f32 v13, v10, v11
	;;#ASMEND
	;;#ASMSTART
	v_pk_mul_f32 v[8:9], v[8:9], v[24:25]
	;;#ASMEND
	;;#ASMSTART
	v_med3_f32 v8, v8, v23, v26
v_med3_f32 v9, v9, v23, v26
v_cvt_pk_fp8_f32 v10, v8, v9
	;;#ASMEND
	v_lshlrev_b32_e32 v8, 16, v10
	s_mov_b32 s39, 0x20000
	v_and_or_b32 v13, v13, s27, v8
	buffer_store_dwordx2 v[12:13], v21, s[36:39], 0 offen
	;;#ASMSTART
	s_nop 0
	;;#ASMEND
.LBB65_20:
	s_or_b64 exec, exec, s[4:5]
	s_cmp_eq_u32 s8, 1
	s_mov_b32 s41, 1
	s_cbranch_scc1 .LBB65_35
.LBB65_21:
	s_abs_i32 s44, s9
	v_cvt_f32_u32_e32 v8, s44
	s_sub_i32 s4, 0, s44
	s_ashr_i32 s45, s9, 31
	v_add_u32_e32 v22, 4, v22
	v_rcp_iflag_f32_e32 v8, v8
	s_mov_b32 s46, 0xffff
	s_mov_b32 s31, 0x20000
	;; [unrolled: 1-line block ×3, first 2 shown]
	v_mul_f32_e32 v8, 0x4f7ffffe, v8
	v_cvt_u32_f32_e32 v8, v8
	v_mov_b32_e32 v23, 0
	v_mov_b32_e32 v24, 0xc3e00000
	;; [unrolled: 1-line block ×3, first 2 shown]
	v_readfirstlane_b32 s5, v8
	s_mul_i32 s4, s4, s5
	s_mul_hi_u32 s4, s5, s4
	s_add_i32 s48, s5, s4
	s_mov_b32 s49, 0x5040100
	s_movk_i32 s50, 0xff
	s_branch .LBB65_24
.LBB65_22:                              ;   in Loop: Header=BB65_24 Depth=1
	s_or_b64 exec, exec, s[4:5]
.LBB65_23:                              ;   in Loop: Header=BB65_24 Depth=1
	s_add_i32 s41, s41, 1
	s_cmp_eq_u32 s8, s41
	v_add_u32_e32 v22, 4, v22
	s_cbranch_scc1 .LBB65_35
.LBB65_24:                              ; =>This Inner Loop Header: Depth=1
	s_and_b32 s4, s41, 63
	s_cmp_lg_u32 s4, 0
	s_cbranch_scc1 .LBB65_26
; %bb.25:                               ;   in Loop: Header=BB65_24 Depth=1
	s_mov_b32 s27, s31
	buffer_load_dword v17, v22, s[24:27], 0 offen
	s_waitcnt vmcnt(0)
.LBB65_26:                              ;   in Loop: Header=BB65_24 Depth=1
	v_readlane_b32 s28, v17, s4
	s_cmp_lt_i32 s28, 0
	s_cbranch_scc1 .LBB65_23
; %bb.27:                               ;   in Loop: Header=BB65_24 Depth=1
	s_add_i32 s27, s40, s41
	s_abs_i32 s36, s27
	s_mul_hi_u32 s5, s36, s42
	s_mul_i32 s7, s5, s33
	s_ashr_i32 s37, s27, 31
	s_sub_i32 s7, s36, s7
	s_xor_b32 s4, s37, s34
	s_add_i32 s29, s5, 1
	s_sub_i32 s39, s7, s33
	s_cmp_ge_u32 s7, s33
	s_cselect_b32 s5, s29, s5
	s_cselect_b32 s7, s39, s7
	s_add_i32 s29, s5, 1
	s_cmp_ge_u32 s7, s33
	s_cselect_b32 s5, s29, s5
	s_xor_b32 s5, s5, s4
	s_sub_i32 s4, s5, s4
	s_mul_i32 s5, s4, s10
	s_sub_i32 s5, s27, s5
	s_mul_i32 s29, s5, s12
	s_mul_i32 s4, s4, s11
	s_add_i32 s29, s29, s4
	s_cmp_eq_u32 s29, s43
	s_cbranch_scc1 .LBB65_29
; %bb.28:                               ;   in Loop: Header=BB65_24 Depth=1
	s_mul_hi_i32 s5, s29, s15
	s_mul_i32 s4, s29, s15
	s_lshl_b64 s[4:5], s[4:5], 1
	s_add_u32 s4, s20, s4
	s_addc_u32 s5, s21, s5
	s_and_b32 s5, s5, 0xffff
	s_mov_b32 s7, s31
	buffer_load_dwordx4 v[6:9], v16, s[4:7], 0 offen
	s_mov_b32 s43, s29
	s_waitcnt vmcnt(0)
	v_cvt_f32_u32_sdwa v1, v6 dst_sel:DWORD dst_unused:UNUSED_PAD src0_sel:WORD_1
	v_cvt_f32_u32_sdwa v0, v6 dst_sel:DWORD dst_unused:UNUSED_PAD src0_sel:WORD_0
	v_cvt_f32_u32_sdwa v3, v7 dst_sel:DWORD dst_unused:UNUSED_PAD src0_sel:WORD_1
	v_cvt_f32_u32_sdwa v2, v7 dst_sel:DWORD dst_unused:UNUSED_PAD src0_sel:WORD_0
	;; [unrolled: 2-line block ×4, first 2 shown]
.LBB65_29:                              ;   in Loop: Header=BB65_24 Depth=1
	s_mul_i32 s4, s28, s35
	s_ashr_i32 s5, s4, 31
	s_lshl_b64 s[4:5], s[4:5], 2
	s_add_u32 s28, s22, s4
	s_addc_u32 s4, s23, s5
	s_and_b32 s29, s4, 0xffff
	buffer_load_dwordx4 v[8:11], v18, s[28:31], 0 offen
	buffer_load_dwordx4 v[26:29], v18, s[28:31], 16 offen
	s_waitcnt vmcnt(1)
	v_pk_mul_f32 v[14:15], v[0:1], v[8:9]
	v_pk_mul_f32 v[12:13], v[2:3], v[10:11]
	s_waitcnt vmcnt(0)
	v_pk_mul_f32 v[10:11], v[4:5], v[26:27]
	v_max3_f32 v26, |v14|, s47, |v15|
	v_max3_f32 v26, v26, |v12|, |v13|
	v_pk_mul_f32 v[8:9], v[6:7], v[28:29]
	v_max3_f32 v26, v26, |v10|, |v11|
	v_max3_f32 v26, v26, |v8|, |v9|
	s_nop 1
	v_mov_b32_dpp v27, v26 quad_perm:[1,0,3,2] row_mask:0xf bank_mask:0xf
	v_cmp_gt_f32_e64 s[4:5], v26, v27
	v_cndmask_b32_e64 v26, v27, v26, s[4:5]
	s_nop 1
	v_mov_b32_dpp v27, v26 quad_perm:[2,3,0,1] row_mask:0xf bank_mask:0xf
	v_cmp_gt_f32_e64 s[4:5], v26, v27
	v_cndmask_b32_e64 v26, v27, v26, s[4:5]
	s_nop 1
	v_mov_b32_dpp v27, v26 row_half_mirror row_mask:0xf bank_mask:0xf
	v_cmp_gt_f32_e64 s[4:5], v26, v27
	v_cndmask_b32_e64 v26, v27, v26, s[4:5]
	s_nop 1
	v_mov_b32_dpp v27, v26 row_mirror row_mask:0xf bank_mask:0xf
	v_cmp_gt_f32_e64 s[4:5], v26, v27
	v_cndmask_b32_e64 v26, v27, v26, s[4:5]
	s_nop 1
	v_mov_b32_dpp v27, v26 row_bcast:15 row_mask:0xf bank_mask:0xf
	v_cmp_gt_f32_e64 s[4:5], v26, v27
	v_cndmask_b32_e64 v26, v27, v26, s[4:5]
	s_nop 1
	v_mov_b32_dpp v27, v26 row_bcast:31 row_mask:0xf bank_mask:0xf
	s_and_saveexec_b64 s[28:29], vcc
	s_cbranch_execz .LBB65_31
; %bb.30:                               ;   in Loop: Header=BB65_24 Depth=1
	v_cmp_gt_f32_e64 s[4:5], v26, v27
	v_cndmask_b32_e64 v26, v27, v26, s[4:5]
	ds_write_b32 v19, v26
.LBB65_31:                              ;   in Loop: Header=BB65_24 Depth=1
	s_or_b64 exec, exec, s[28:29]
	s_waitcnt lgkmcnt(0)
	s_barrier
	ds_read_b32 v26, v20
	s_waitcnt lgkmcnt(0)
	s_nop 0
	v_mov_b32_dpp v27, v26 quad_perm:[1,0,3,2] row_mask:0xf bank_mask:0xf
	v_cmp_gt_f32_e64 s[4:5], v26, v27
	v_cndmask_b32_e64 v26, v27, v26, s[4:5]
	s_nop 1
	v_mov_b32_dpp v27, v26 quad_perm:[2,3,0,1] row_mask:0xf bank_mask:0xf
	v_cmp_gt_f32_e64 s[4:5], v26, v27
	v_cndmask_b32_e64 v26, v27, v26, s[4:5]
	s_mul_hi_u32 s5, s36, s48
	s_mul_i32 s7, s5, s44
	s_sub_i32 s7, s36, s7
	s_xor_b32 s4, s37, s45
	s_add_i32 s28, s5, 1
	s_sub_i32 s29, s7, s44
	s_cmp_ge_u32 s7, s44
	s_cselect_b32 s5, s28, s5
	s_cselect_b32 s7, s29, s7
	s_add_i32 s28, s5, 1
	s_cmp_ge_u32 s7, s44
	s_cselect_b32 s5, s28, s5
	s_xor_b32 s5, s5, s4
	s_sub_i32 s4, s5, s4
	s_mul_i32 s5, s4, s9
	s_sub_i32 s5, s27, s5
	s_mul_i32 s5, s5, s14
	s_mul_i32 s4, s4, s13
	v_mul_f32_e32 v26, 0x3b124925, v26
	s_add_i32 s28, s5, s4
	s_and_saveexec_b64 s[4:5], s[0:1]
	s_cbranch_execz .LBB65_33
; %bb.32:                               ;   in Loop: Header=BB65_24 Depth=1
	s_ashr_i32 s29, s28, 31
	s_lshl_b64 s[36:37], s[28:29], 2
	s_add_u32 s36, s18, s36
	s_addc_u32 s37, s19, s37
	global_store_dword v23, v26, s[36:37]
.LBB65_33:                              ;   in Loop: Header=BB65_24 Depth=1
	s_or_b64 exec, exec, s[4:5]
	s_and_saveexec_b64 s[4:5], s[2:3]
	s_cbranch_execz .LBB65_22
; %bb.34:                               ;   in Loop: Header=BB65_24 Depth=1
	v_rcp_f32_e32 v26, v26
	s_mul_i32 s27, s28, s15
	s_mul_hi_i32 s7, s28, s15
	s_add_u32 s36, s16, s27
	v_mov_b32_e32 v27, v26
	;;#ASMSTART
	v_pk_mul_f32 v[14:15], v[14:15], v[26:27]
	;;#ASMEND
	;;#ASMSTART
	v_med3_f32 v14, v14, v24, v25
v_med3_f32 v15, v15, v24, v25
v_cvt_pk_fp8_f32 v28, v14, v15
	;;#ASMEND
	;;#ASMSTART
	v_pk_mul_f32 v[12:13], v[12:13], v[26:27]
	;;#ASMEND
	;;#ASMSTART
	v_med3_f32 v12, v12, v24, v25
v_med3_f32 v13, v13, v24, v25
v_cvt_pk_fp8_f32 v14, v12, v13
	;;#ASMEND
	v_perm_b32 v13, v14, v28, s49
	v_and_b32_e32 v12, 0xffffff00, v14
	v_and_b32_sdwa v14, v13, s50 dst_sel:DWORD dst_unused:UNUSED_PAD src0_sel:WORD_1 src1_sel:DWORD
	v_or_b32_sdwa v12, v14, v12 dst_sel:WORD_1 dst_unused:UNUSED_PAD src0_sel:DWORD src1_sel:DWORD
	;;#ASMSTART
	v_pk_mul_f32 v[10:11], v[10:11], v[26:27]
	;;#ASMEND
	v_and_or_b32 v12, v13, s46, v12
	;;#ASMSTART
	v_med3_f32 v10, v10, v24, v25
v_med3_f32 v11, v11, v24, v25
v_cvt_pk_fp8_f32 v13, v10, v11
	;;#ASMEND
	;;#ASMSTART
	v_pk_mul_f32 v[8:9], v[8:9], v[26:27]
	;;#ASMEND
	;;#ASMSTART
	v_med3_f32 v8, v8, v24, v25
v_med3_f32 v9, v9, v24, v25
v_cvt_pk_fp8_f32 v10, v8, v9
	;;#ASMEND
	s_addc_u32 s7, s17, s7
	v_lshlrev_b32_e32 v8, 16, v10
	s_and_b32 s37, s7, 0xffff
	s_mov_b32 s39, s31
	v_and_or_b32 v13, v13, s46, v8
	buffer_store_dwordx2 v[12:13], v21, s[36:39], 0 offen
	;;#ASMSTART
	s_nop 0
	;;#ASMEND
	s_branch .LBB65_22
.LBB65_35:
	s_endpgm
	.section	.rodata,"a",@progbits
	.p2align	6, 0x0
	.amdhsa_kernel _ZN5aiter36smooth_per_token_scaled_quant_kernelItDB8_Li256ELi8ELb1ELb1ELb0ELi1024EEEvPT0_PfPT_S4_PiS7_iiPKiiiiiiiii
		.amdhsa_group_segment_fixed_size 16
		.amdhsa_private_segment_fixed_size 0
		.amdhsa_kernarg_size 96
		.amdhsa_user_sgpr_count 6
		.amdhsa_user_sgpr_private_segment_buffer 1
		.amdhsa_user_sgpr_dispatch_ptr 0
		.amdhsa_user_sgpr_queue_ptr 0
		.amdhsa_user_sgpr_kernarg_segment_ptr 1
		.amdhsa_user_sgpr_dispatch_id 0
		.amdhsa_user_sgpr_flat_scratch_init 0
		.amdhsa_user_sgpr_kernarg_preload_length 0
		.amdhsa_user_sgpr_kernarg_preload_offset 0
		.amdhsa_user_sgpr_private_segment_size 0
		.amdhsa_uses_dynamic_stack 0
		.amdhsa_system_sgpr_private_segment_wavefront_offset 0
		.amdhsa_system_sgpr_workgroup_id_x 1
		.amdhsa_system_sgpr_workgroup_id_y 0
		.amdhsa_system_sgpr_workgroup_id_z 0
		.amdhsa_system_sgpr_workgroup_info 0
		.amdhsa_system_vgpr_workitem_id 0
		.amdhsa_next_free_vgpr 30
		.amdhsa_next_free_sgpr 51
		.amdhsa_accum_offset 32
		.amdhsa_reserve_vcc 1
		.amdhsa_reserve_flat_scratch 0
		.amdhsa_float_round_mode_32 0
		.amdhsa_float_round_mode_16_64 0
		.amdhsa_float_denorm_mode_32 3
		.amdhsa_float_denorm_mode_16_64 3
		.amdhsa_dx10_clamp 1
		.amdhsa_ieee_mode 1
		.amdhsa_fp16_overflow 0
		.amdhsa_tg_split 0
		.amdhsa_exception_fp_ieee_invalid_op 0
		.amdhsa_exception_fp_denorm_src 0
		.amdhsa_exception_fp_ieee_div_zero 0
		.amdhsa_exception_fp_ieee_overflow 0
		.amdhsa_exception_fp_ieee_underflow 0
		.amdhsa_exception_fp_ieee_inexact 0
		.amdhsa_exception_int_div_zero 0
	.end_amdhsa_kernel
	.section	.text._ZN5aiter36smooth_per_token_scaled_quant_kernelItDB8_Li256ELi8ELb1ELb1ELb0ELi1024EEEvPT0_PfPT_S4_PiS7_iiPKiiiiiiiii,"axG",@progbits,_ZN5aiter36smooth_per_token_scaled_quant_kernelItDB8_Li256ELi8ELb1ELb1ELb0ELi1024EEEvPT0_PfPT_S4_PiS7_iiPKiiiiiiiii,comdat
.Lfunc_end65:
	.size	_ZN5aiter36smooth_per_token_scaled_quant_kernelItDB8_Li256ELi8ELb1ELb1ELb0ELi1024EEEvPT0_PfPT_S4_PiS7_iiPKiiiiiiiii, .Lfunc_end65-_ZN5aiter36smooth_per_token_scaled_quant_kernelItDB8_Li256ELi8ELb1ELb1ELb0ELi1024EEEvPT0_PfPT_S4_PiS7_iiPKiiiiiiiii
                                        ; -- End function
	.section	.AMDGPU.csdata,"",@progbits
; Kernel info:
; codeLenInByte = 2724
; NumSgprs: 55
; NumVgprs: 30
; NumAgprs: 0
; TotalNumVgprs: 30
; ScratchSize: 0
; MemoryBound: 0
; FloatMode: 240
; IeeeMode: 1
; LDSByteSize: 16 bytes/workgroup (compile time only)
; SGPRBlocks: 6
; VGPRBlocks: 3
; NumSGPRsForWavesPerEU: 55
; NumVGPRsForWavesPerEU: 30
; AccumOffset: 32
; Occupancy: 8
; WaveLimiterHint : 0
; COMPUTE_PGM_RSRC2:SCRATCH_EN: 0
; COMPUTE_PGM_RSRC2:USER_SGPR: 6
; COMPUTE_PGM_RSRC2:TRAP_HANDLER: 0
; COMPUTE_PGM_RSRC2:TGID_X_EN: 1
; COMPUTE_PGM_RSRC2:TGID_Y_EN: 0
; COMPUTE_PGM_RSRC2:TGID_Z_EN: 0
; COMPUTE_PGM_RSRC2:TIDIG_COMP_CNT: 0
; COMPUTE_PGM_RSRC3_GFX90A:ACCUM_OFFSET: 7
; COMPUTE_PGM_RSRC3_GFX90A:TG_SPLIT: 0
	.section	.text._ZN5aiter36smooth_per_token_scaled_quant_kernelIDF16_DB8_Li256ELi8ELb1ELb0ELb0ELi1024EEEvPT0_PfPT_S4_PiS7_iiPKiiiiiiiii,"axG",@progbits,_ZN5aiter36smooth_per_token_scaled_quant_kernelIDF16_DB8_Li256ELi8ELb1ELb0ELb0ELi1024EEEvPT0_PfPT_S4_PiS7_iiPKiiiiiiiii,comdat
	.protected	_ZN5aiter36smooth_per_token_scaled_quant_kernelIDF16_DB8_Li256ELi8ELb1ELb0ELb0ELi1024EEEvPT0_PfPT_S4_PiS7_iiPKiiiiiiiii ; -- Begin function _ZN5aiter36smooth_per_token_scaled_quant_kernelIDF16_DB8_Li256ELi8ELb1ELb0ELb0ELi1024EEEvPT0_PfPT_S4_PiS7_iiPKiiiiiiiii
	.globl	_ZN5aiter36smooth_per_token_scaled_quant_kernelIDF16_DB8_Li256ELi8ELb1ELb0ELb0ELi1024EEEvPT0_PfPT_S4_PiS7_iiPKiiiiiiiii
	.p2align	8
	.type	_ZN5aiter36smooth_per_token_scaled_quant_kernelIDF16_DB8_Li256ELi8ELb1ELb0ELb0ELi1024EEEvPT0_PfPT_S4_PiS7_iiPKiiiiiiiii,@function
_ZN5aiter36smooth_per_token_scaled_quant_kernelIDF16_DB8_Li256ELi8ELb1ELb0ELb0ELi1024EEEvPT0_PfPT_S4_PiS7_iiPKiiiiiiiii: ; @_ZN5aiter36smooth_per_token_scaled_quant_kernelIDF16_DB8_Li256ELi8ELb1ELb0ELb0ELi1024EEEvPT0_PfPT_S4_PiS7_iiPKiiiiiiiii
; %bb.0:
	s_load_dwordx2 s[2:3], s[4:5], 0x38
	s_load_dwordx8 s[8:15], s[4:5], 0x40
	s_mov_b64 s[0:1], 0
	s_waitcnt lgkmcnt(0)
	s_cmp_lg_u64 s[2:3], 0
	s_cbranch_scc0 .LBB66_19
; %bb.1:
	s_load_dword s2, s[2:3], 0x0
	s_waitcnt lgkmcnt(0)
	s_mul_i32 s2, s2, s8
	s_andn2_b64 vcc, exec, s[0:1]
	s_cbranch_vccnz .LBB66_3
.LBB66_2:
	s_mul_i32 s2, s10, s9
.LBB66_3:
	s_load_dwordx2 s[24:25], s[4:5], 0x30
	s_abs_i32 s1, s2
	s_waitcnt lgkmcnt(0)
	s_abs_i32 s0, s24
	v_cvt_f32_u32_e32 v1, s0
	s_sub_i32 s7, 0, s0
	s_xor_b32 s3, s2, s24
	s_ashr_i32 s3, s3, 31
	v_rcp_iflag_f32_e32 v1, v1
	v_mul_f32_e32 v1, 0x4f7ffffe, v1
	v_cvt_u32_f32_e32 v1, v1
	v_readfirstlane_b32 s8, v1
	s_mul_i32 s7, s7, s8
	s_mul_hi_u32 s7, s8, s7
	s_add_i32 s8, s8, s7
	s_mul_hi_u32 s7, s1, s8
	s_mul_i32 s8, s7, s0
	s_sub_i32 s1, s1, s8
	s_add_i32 s15, s7, 1
	s_sub_i32 s8, s1, s0
	s_cmp_ge_u32 s1, s0
	s_cselect_b32 s7, s15, s7
	s_cselect_b32 s1, s8, s1
	s_add_i32 s8, s7, 1
	s_cmp_ge_u32 s1, s0
	s_cselect_b32 s0, s8, s7
	s_xor_b32 s0, s0, s3
	s_sub_i32 s7, s0, s3
	s_mul_i32 s0, s7, s24
	s_sub_i32 s2, s2, s0
	s_cmp_lt_u32 s6, s2
	s_cselect_b64 s[0:1], -1, 0
	s_add_i32 s15, s7, 1
	s_cmp_ge_u32 s6, s2
	s_cbranch_scc0 .LBB66_5
; %bb.4:
	s_mul_i32 s3, s2, s15
	s_sub_i32 s2, s6, s2
	s_mul_i32 s2, s2, s7
	s_add_i32 s8, s2, s3
	s_cbranch_execz .LBB66_6
	s_branch .LBB66_7
.LBB66_5:
                                        ; implicit-def: $sgpr8
.LBB66_6:
	s_mul_i32 s8, s15, s6
.LBB66_7:
	v_cndmask_b32_e64 v1, 0, 1, s[0:1]
	v_readfirstlane_b32 s0, v1
	s_add_i32 s15, s7, s0
	s_cmp_lt_i32 s15, 1
	s_cbranch_scc1 .LBB66_18
; %bb.8:
	v_and_b32_e32 v1, 63, v0
	v_cmp_eq_u32_e32 vcc, 63, v1
	v_lshrrev_b32_e32 v1, 4, v0
	v_and_b32_e32 v22, 60, v1
	v_and_b32_e32 v1, 3, v0
	s_abs_i32 s35, s10
	v_lshlrev_b32_e32 v23, 2, v1
	v_cvt_f32_u32_e32 v1, s35
	s_add_i32 s2, s25, 7
	s_ashr_i32 s3, s2, 31
	s_lshr_b32 s3, s3, 29
	v_rcp_iflag_f32_e32 v1, v1
	s_add_i32 s2, s2, s3
	s_ashr_i32 s2, s2, 3
	s_abs_i32 s36, s9
	v_lshlrev_b32_e32 v20, 4, v0
	v_lshlrev_b32_e32 v21, 5, v0
	v_cmp_eq_u32_e64 s[0:1], 0, v0
	v_cmp_gt_u32_e64 s[2:3], s2, v0
	v_lshlrev_b32_e32 v24, 3, v0
	v_mul_f32_e32 v0, 0x4f7ffffe, v1
	v_cvt_f32_u32_e32 v1, s36
	v_cvt_u32_f32_e32 v0, v0
	s_load_dwordx8 s[16:23], s[4:5], 0x0
	s_add_i32 s4, s25, 3
	v_rcp_iflag_f32_e32 v1, v1
	s_ashr_i32 s5, s4, 31
	s_lshr_b32 s5, s5, 30
	s_add_i32 s4, s4, s5
	v_readfirstlane_b32 s5, v0
	v_mul_f32_e32 v0, 0x4f7ffffe, v1
	v_cvt_u32_f32_e32 v0, v0
	s_and_b32 s30, s4, -4
	s_sub_i32 s4, 0, s35
	s_mul_i32 s4, s4, s5
	s_mul_hi_u32 s4, s5, s4
	s_add_i32 s38, s5, s4
	s_sub_i32 s4, 0, s36
	v_readfirstlane_b32 s5, v0
	s_mul_i32 s4, s4, s5
	s_mov_b32 s7, 0x20000
	s_waitcnt lgkmcnt(0)
	s_and_b32 s23, s23, 0xffff
	s_mul_hi_u32 s4, s5, s4
                                        ; implicit-def: $vgpr0_vgpr1_vgpr2_vgpr3_vgpr4_vgpr5_vgpr6_vgpr7
	s_mov_b32 s33, s25
	s_lshl_b32 s6, s25, 1
	s_lshl_b32 s26, s25, 2
	s_mov_b32 s27, s7
	s_mov_b32 s34, 0xffff
	s_ashr_i32 s37, s10, 31
	s_ashr_i32 s39, s9, 31
	s_add_i32 s40, s5, s4
	s_mov_b32 s44, -1
	s_mov_b32 s41, 0x2edbe6ff
	v_mov_b32_e32 v25, 0
	v_mov_b32_e32 v26, 0xc3e00000
	;; [unrolled: 1-line block ×3, first 2 shown]
	s_mov_b32 s42, 0x5040100
	s_movk_i32 s43, 0xff
	s_mov_b32 s24, s22
	s_mov_b32 s25, s23
                                        ; implicit-def: $vgpr4_vgpr5_vgpr6_vgpr7_vgpr8_vgpr9_vgpr10_vgpr11
                                        ; implicit-def: $vgpr18
                                        ; implicit-def: $vgpr10_vgpr11_vgpr12_vgpr13_vgpr14_vgpr15_vgpr16_vgpr17
	s_branch .LBB66_10
.LBB66_9:                               ;   in Loop: Header=BB66_10 Depth=1
	s_or_b64 exec, exec, s[4:5]
	s_add_i32 s15, s15, -1
	s_add_i32 s8, s8, 1
	s_cmp_eq_u32 s15, 0
	s_cbranch_scc1 .LBB66_18
.LBB66_10:                              ; =>This Inner Loop Header: Depth=1
	s_abs_i32 s28, s8
	s_mul_hi_u32 s5, s28, s38
	s_mul_i32 s22, s5, s35
	s_ashr_i32 s29, s8, 31
	s_sub_i32 s22, s28, s22
	s_xor_b32 s4, s29, s37
	s_add_i32 s23, s5, 1
	s_sub_i32 s31, s22, s35
	s_cmp_ge_u32 s22, s35
	s_cselect_b32 s5, s23, s5
	s_cselect_b32 s22, s31, s22
	s_add_i32 s23, s5, 1
	s_cmp_ge_u32 s22, s35
	s_cselect_b32 s5, s23, s5
	s_xor_b32 s5, s5, s4
	s_sub_i32 s4, s5, s4
	s_mul_i32 s5, s4, s10
	s_sub_i32 s5, s8, s5
	s_mul_i32 s22, s5, s12
	s_mul_i32 s4, s4, s11
	s_add_i32 s22, s22, s4
	s_cmp_eq_u32 s22, s44
	s_cbranch_scc1 .LBB66_12
; %bb.11:                               ;   in Loop: Header=BB66_10 Depth=1
	s_mul_hi_i32 s5, s22, s33
	s_mul_i32 s4, s22, s33
	s_lshl_b64 s[4:5], s[4:5], 1
	s_add_u32 s4, s20, s4
	s_addc_u32 s5, s21, s5
	s_and_b32 s5, s5, 0xffff
	buffer_load_dwordx4 v[2:5], v20, s[4:7], 0 offen
	s_mov_b32 s44, s22
	s_waitcnt vmcnt(0)
	v_cvt_f32_f16_e32 v18, v2
	v_cvt_f32_f16_sdwa v19, v2 dst_sel:DWORD dst_unused:UNUSED_PAD src0_sel:WORD_1
	v_cvt_f32_f16_e32 v2, v3
	v_cvt_f32_f16_sdwa v3, v3 dst_sel:DWORD dst_unused:UNUSED_PAD src0_sel:WORD_1
	;; [unrolled: 2-line block ×4, first 2 shown]
.LBB66_12:                              ;   in Loop: Header=BB66_10 Depth=1
	buffer_load_dwordx4 v[4:7], v21, s[24:27], 0 offen
	buffer_load_dwordx4 v[12:15], v21, s[24:27], 16 offen
	s_waitcnt vmcnt(1)
	v_pk_mul_f32 v[10:11], v[18:19], v[4:5]
	v_pk_mul_f32 v[6:7], v[2:3], v[6:7]
	s_waitcnt vmcnt(0)
	v_pk_mul_f32 v[4:5], v[8:9], v[12:13]
	v_max3_f32 v12, |v10|, s41, |v11|
	v_max3_f32 v12, v12, |v6|, |v7|
	v_pk_mul_f32 v[0:1], v[16:17], v[14:15]
	v_max3_f32 v12, v12, |v4|, |v5|
	v_max3_f32 v12, v12, |v0|, |v1|
	s_nop 1
	v_mov_b32_dpp v13, v12 quad_perm:[1,0,3,2] row_mask:0xf bank_mask:0xf
	v_cmp_gt_f32_e64 s[4:5], v12, v13
	v_cndmask_b32_e64 v12, v13, v12, s[4:5]
	s_nop 1
	v_mov_b32_dpp v13, v12 quad_perm:[2,3,0,1] row_mask:0xf bank_mask:0xf
	v_cmp_gt_f32_e64 s[4:5], v12, v13
	v_cndmask_b32_e64 v12, v13, v12, s[4:5]
	s_nop 1
	v_mov_b32_dpp v13, v12 row_half_mirror row_mask:0xf bank_mask:0xf
	v_cmp_gt_f32_e64 s[4:5], v12, v13
	v_cndmask_b32_e64 v12, v13, v12, s[4:5]
	s_nop 1
	v_mov_b32_dpp v13, v12 row_mirror row_mask:0xf bank_mask:0xf
	v_cmp_gt_f32_e64 s[4:5], v12, v13
	v_cndmask_b32_e64 v12, v13, v12, s[4:5]
	s_nop 1
	v_mov_b32_dpp v13, v12 row_bcast:15 row_mask:0xf bank_mask:0xf
	v_cmp_gt_f32_e64 s[4:5], v12, v13
	v_cndmask_b32_e64 v12, v13, v12, s[4:5]
	s_nop 1
	v_mov_b32_dpp v13, v12 row_bcast:31 row_mask:0xf bank_mask:0xf
	s_and_saveexec_b64 s[22:23], vcc
	s_cbranch_execz .LBB66_14
; %bb.13:                               ;   in Loop: Header=BB66_10 Depth=1
	v_cmp_gt_f32_e64 s[4:5], v12, v13
	v_cndmask_b32_e64 v12, v13, v12, s[4:5]
	ds_write_b32 v22, v12
.LBB66_14:                              ;   in Loop: Header=BB66_10 Depth=1
	s_or_b64 exec, exec, s[22:23]
	s_waitcnt lgkmcnt(0)
	s_barrier
	ds_read_b32 v12, v23
	s_waitcnt lgkmcnt(0)
	s_nop 0
	v_mov_b32_dpp v13, v12 quad_perm:[1,0,3,2] row_mask:0xf bank_mask:0xf
	v_cmp_gt_f32_e64 s[4:5], v12, v13
	v_cndmask_b32_e64 v12, v13, v12, s[4:5]
	s_nop 1
	v_mov_b32_dpp v13, v12 quad_perm:[2,3,0,1] row_mask:0xf bank_mask:0xf
	v_cmp_gt_f32_e64 s[4:5], v12, v13
	v_cndmask_b32_e64 v12, v13, v12, s[4:5]
	s_mul_hi_u32 s5, s28, s40
	s_mul_i32 s22, s5, s36
	s_sub_i32 s22, s28, s22
	s_xor_b32 s4, s29, s39
	s_add_i32 s23, s5, 1
	s_sub_i32 s28, s22, s36
	s_cmp_ge_u32 s22, s36
	s_cselect_b32 s5, s23, s5
	s_cselect_b32 s22, s28, s22
	s_add_i32 s23, s5, 1
	s_cmp_ge_u32 s22, s36
	s_cselect_b32 s5, s23, s5
	s_xor_b32 s5, s5, s4
	s_sub_i32 s4, s5, s4
	s_mul_i32 s5, s4, s9
	s_sub_i32 s5, s8, s5
	s_mul_i32 s5, s5, s14
	s_mul_i32 s4, s4, s13
	v_mul_f32_e32 v12, 0x3b124925, v12
	s_add_i32 s22, s5, s4
	s_and_saveexec_b64 s[4:5], s[0:1]
	s_cbranch_execz .LBB66_16
; %bb.15:                               ;   in Loop: Header=BB66_10 Depth=1
	s_ashr_i32 s23, s22, 31
	s_lshl_b64 s[28:29], s[22:23], 2
	s_add_u32 s28, s18, s28
	s_addc_u32 s29, s19, s29
	global_store_dword v25, v12, s[28:29]
.LBB66_16:                              ;   in Loop: Header=BB66_10 Depth=1
	s_or_b64 exec, exec, s[4:5]
	s_and_saveexec_b64 s[4:5], s[2:3]
	s_cbranch_execz .LBB66_9
; %bb.17:                               ;   in Loop: Header=BB66_10 Depth=1
	v_rcp_f32_e32 v12, v12
	s_mul_hi_i32 s23, s22, s33
	s_mul_i32 s22, s22, s33
	s_add_u32 s28, s16, s22
	v_mov_b32_e32 v13, v12
	;;#ASMSTART
	v_pk_mul_f32 v[10:11], v[10:11], v[12:13]
	;;#ASMEND
	;;#ASMSTART
	v_med3_f32 v10, v10, v26, v27
v_med3_f32 v11, v11, v26, v27
v_cvt_pk_fp8_f32 v14, v10, v11
	;;#ASMEND
	;;#ASMSTART
	v_pk_mul_f32 v[6:7], v[6:7], v[12:13]
	;;#ASMEND
	;;#ASMSTART
	v_med3_f32 v6, v6, v26, v27
v_med3_f32 v7, v7, v26, v27
v_cvt_pk_fp8_f32 v10, v6, v7
	;;#ASMEND
	v_perm_b32 v7, v10, v14, s42
	v_and_b32_e32 v6, 0xffffff00, v10
	v_and_b32_sdwa v10, v7, s43 dst_sel:DWORD dst_unused:UNUSED_PAD src0_sel:WORD_1 src1_sel:DWORD
	v_or_b32_sdwa v6, v10, v6 dst_sel:WORD_1 dst_unused:UNUSED_PAD src0_sel:DWORD src1_sel:DWORD
	;;#ASMSTART
	v_pk_mul_f32 v[4:5], v[4:5], v[12:13]
	;;#ASMEND
	v_and_or_b32 v6, v7, s34, v6
	;;#ASMSTART
	v_med3_f32 v4, v4, v26, v27
v_med3_f32 v5, v5, v26, v27
v_cvt_pk_fp8_f32 v7, v4, v5
	;;#ASMEND
	;;#ASMSTART
	v_pk_mul_f32 v[0:1], v[0:1], v[12:13]
	;;#ASMEND
	;;#ASMSTART
	v_med3_f32 v0, v0, v26, v27
v_med3_f32 v1, v1, v26, v27
v_cvt_pk_fp8_f32 v4, v0, v1
	;;#ASMEND
	s_addc_u32 s22, s17, s23
	v_lshlrev_b32_e32 v0, 16, v4
	s_and_b32 s29, s22, 0xffff
	s_mov_b32 s31, s7
	v_and_or_b32 v7, v7, s34, v0
	buffer_store_dwordx2 v[6:7], v24, s[28:31], 0 offen
	;;#ASMSTART
	s_nop 0
	;;#ASMEND
	s_branch .LBB66_9
.LBB66_18:
	s_endpgm
.LBB66_19:
                                        ; implicit-def: $sgpr2
	s_branch .LBB66_2
	.section	.rodata,"a",@progbits
	.p2align	6, 0x0
	.amdhsa_kernel _ZN5aiter36smooth_per_token_scaled_quant_kernelIDF16_DB8_Li256ELi8ELb1ELb0ELb0ELi1024EEEvPT0_PfPT_S4_PiS7_iiPKiiiiiiiii
		.amdhsa_group_segment_fixed_size 16
		.amdhsa_private_segment_fixed_size 0
		.amdhsa_kernarg_size 96
		.amdhsa_user_sgpr_count 6
		.amdhsa_user_sgpr_private_segment_buffer 1
		.amdhsa_user_sgpr_dispatch_ptr 0
		.amdhsa_user_sgpr_queue_ptr 0
		.amdhsa_user_sgpr_kernarg_segment_ptr 1
		.amdhsa_user_sgpr_dispatch_id 0
		.amdhsa_user_sgpr_flat_scratch_init 0
		.amdhsa_user_sgpr_kernarg_preload_length 0
		.amdhsa_user_sgpr_kernarg_preload_offset 0
		.amdhsa_user_sgpr_private_segment_size 0
		.amdhsa_uses_dynamic_stack 0
		.amdhsa_system_sgpr_private_segment_wavefront_offset 0
		.amdhsa_system_sgpr_workgroup_id_x 1
		.amdhsa_system_sgpr_workgroup_id_y 0
		.amdhsa_system_sgpr_workgroup_id_z 0
		.amdhsa_system_sgpr_workgroup_info 0
		.amdhsa_system_vgpr_workitem_id 0
		.amdhsa_next_free_vgpr 28
		.amdhsa_next_free_sgpr 45
		.amdhsa_accum_offset 28
		.amdhsa_reserve_vcc 1
		.amdhsa_reserve_flat_scratch 0
		.amdhsa_float_round_mode_32 0
		.amdhsa_float_round_mode_16_64 0
		.amdhsa_float_denorm_mode_32 3
		.amdhsa_float_denorm_mode_16_64 3
		.amdhsa_dx10_clamp 1
		.amdhsa_ieee_mode 1
		.amdhsa_fp16_overflow 0
		.amdhsa_tg_split 0
		.amdhsa_exception_fp_ieee_invalid_op 0
		.amdhsa_exception_fp_denorm_src 0
		.amdhsa_exception_fp_ieee_div_zero 0
		.amdhsa_exception_fp_ieee_overflow 0
		.amdhsa_exception_fp_ieee_underflow 0
		.amdhsa_exception_fp_ieee_inexact 0
		.amdhsa_exception_int_div_zero 0
	.end_amdhsa_kernel
	.section	.text._ZN5aiter36smooth_per_token_scaled_quant_kernelIDF16_DB8_Li256ELi8ELb1ELb0ELb0ELi1024EEEvPT0_PfPT_S4_PiS7_iiPKiiiiiiiii,"axG",@progbits,_ZN5aiter36smooth_per_token_scaled_quant_kernelIDF16_DB8_Li256ELi8ELb1ELb0ELb0ELi1024EEEvPT0_PfPT_S4_PiS7_iiPKiiiiiiiii,comdat
.Lfunc_end66:
	.size	_ZN5aiter36smooth_per_token_scaled_quant_kernelIDF16_DB8_Li256ELi8ELb1ELb0ELb0ELi1024EEEvPT0_PfPT_S4_PiS7_iiPKiiiiiiiii, .Lfunc_end66-_ZN5aiter36smooth_per_token_scaled_quant_kernelIDF16_DB8_Li256ELi8ELb1ELb0ELb0ELi1024EEEvPT0_PfPT_S4_PiS7_iiPKiiiiiiiii
                                        ; -- End function
	.section	.AMDGPU.csdata,"",@progbits
; Kernel info:
; codeLenInByte = 1484
; NumSgprs: 49
; NumVgprs: 28
; NumAgprs: 0
; TotalNumVgprs: 28
; ScratchSize: 0
; MemoryBound: 0
; FloatMode: 240
; IeeeMode: 1
; LDSByteSize: 16 bytes/workgroup (compile time only)
; SGPRBlocks: 6
; VGPRBlocks: 3
; NumSGPRsForWavesPerEU: 49
; NumVGPRsForWavesPerEU: 28
; AccumOffset: 28
; Occupancy: 8
; WaveLimiterHint : 0
; COMPUTE_PGM_RSRC2:SCRATCH_EN: 0
; COMPUTE_PGM_RSRC2:USER_SGPR: 6
; COMPUTE_PGM_RSRC2:TRAP_HANDLER: 0
; COMPUTE_PGM_RSRC2:TGID_X_EN: 1
; COMPUTE_PGM_RSRC2:TGID_Y_EN: 0
; COMPUTE_PGM_RSRC2:TGID_Z_EN: 0
; COMPUTE_PGM_RSRC2:TIDIG_COMP_CNT: 0
; COMPUTE_PGM_RSRC3_GFX90A:ACCUM_OFFSET: 6
; COMPUTE_PGM_RSRC3_GFX90A:TG_SPLIT: 0
	.section	.text._ZN5aiter36smooth_per_token_scaled_quant_kernelItDB8_Li256ELi8ELb1ELb0ELb0ELi1024EEEvPT0_PfPT_S4_PiS7_iiPKiiiiiiiii,"axG",@progbits,_ZN5aiter36smooth_per_token_scaled_quant_kernelItDB8_Li256ELi8ELb1ELb0ELb0ELi1024EEEvPT0_PfPT_S4_PiS7_iiPKiiiiiiiii,comdat
	.protected	_ZN5aiter36smooth_per_token_scaled_quant_kernelItDB8_Li256ELi8ELb1ELb0ELb0ELi1024EEEvPT0_PfPT_S4_PiS7_iiPKiiiiiiiii ; -- Begin function _ZN5aiter36smooth_per_token_scaled_quant_kernelItDB8_Li256ELi8ELb1ELb0ELb0ELi1024EEEvPT0_PfPT_S4_PiS7_iiPKiiiiiiiii
	.globl	_ZN5aiter36smooth_per_token_scaled_quant_kernelItDB8_Li256ELi8ELb1ELb0ELb0ELi1024EEEvPT0_PfPT_S4_PiS7_iiPKiiiiiiiii
	.p2align	8
	.type	_ZN5aiter36smooth_per_token_scaled_quant_kernelItDB8_Li256ELi8ELb1ELb0ELb0ELi1024EEEvPT0_PfPT_S4_PiS7_iiPKiiiiiiiii,@function
_ZN5aiter36smooth_per_token_scaled_quant_kernelItDB8_Li256ELi8ELb1ELb0ELb0ELi1024EEEvPT0_PfPT_S4_PiS7_iiPKiiiiiiiii: ; @_ZN5aiter36smooth_per_token_scaled_quant_kernelItDB8_Li256ELi8ELb1ELb0ELb0ELi1024EEEvPT0_PfPT_S4_PiS7_iiPKiiiiiiiii
; %bb.0:
	s_load_dwordx2 s[2:3], s[4:5], 0x38
	s_load_dwordx8 s[8:15], s[4:5], 0x40
	s_mov_b64 s[0:1], 0
	s_waitcnt lgkmcnt(0)
	s_cmp_lg_u64 s[2:3], 0
	s_cbranch_scc0 .LBB67_19
; %bb.1:
	s_load_dword s2, s[2:3], 0x0
	s_waitcnt lgkmcnt(0)
	s_mul_i32 s2, s2, s8
	s_andn2_b64 vcc, exec, s[0:1]
	s_cbranch_vccnz .LBB67_3
.LBB67_2:
	s_mul_i32 s2, s10, s9
.LBB67_3:
	s_load_dwordx2 s[24:25], s[4:5], 0x30
	s_abs_i32 s1, s2
	s_waitcnt lgkmcnt(0)
	s_abs_i32 s0, s24
	v_cvt_f32_u32_e32 v1, s0
	s_sub_i32 s7, 0, s0
	s_xor_b32 s3, s2, s24
	s_ashr_i32 s3, s3, 31
	v_rcp_iflag_f32_e32 v1, v1
	v_mul_f32_e32 v1, 0x4f7ffffe, v1
	v_cvt_u32_f32_e32 v1, v1
	v_readfirstlane_b32 s8, v1
	s_mul_i32 s7, s7, s8
	s_mul_hi_u32 s7, s8, s7
	s_add_i32 s8, s8, s7
	s_mul_hi_u32 s7, s1, s8
	s_mul_i32 s8, s7, s0
	s_sub_i32 s1, s1, s8
	s_add_i32 s15, s7, 1
	s_sub_i32 s8, s1, s0
	s_cmp_ge_u32 s1, s0
	s_cselect_b32 s7, s15, s7
	s_cselect_b32 s1, s8, s1
	s_add_i32 s8, s7, 1
	s_cmp_ge_u32 s1, s0
	s_cselect_b32 s0, s8, s7
	s_xor_b32 s0, s0, s3
	s_sub_i32 s7, s0, s3
	s_mul_i32 s0, s7, s24
	s_sub_i32 s2, s2, s0
	s_cmp_lt_u32 s6, s2
	s_cselect_b64 s[0:1], -1, 0
	s_add_i32 s15, s7, 1
	s_cmp_ge_u32 s6, s2
	s_cbranch_scc0 .LBB67_5
; %bb.4:
	s_mul_i32 s3, s2, s15
	s_sub_i32 s2, s6, s2
	s_mul_i32 s2, s2, s7
	s_add_i32 s8, s2, s3
	s_cbranch_execz .LBB67_6
	s_branch .LBB67_7
.LBB67_5:
                                        ; implicit-def: $sgpr8
.LBB67_6:
	s_mul_i32 s8, s15, s6
.LBB67_7:
	v_cndmask_b32_e64 v1, 0, 1, s[0:1]
	v_readfirstlane_b32 s0, v1
	s_add_i32 s15, s7, s0
	s_cmp_lt_i32 s15, 1
	s_cbranch_scc1 .LBB67_18
; %bb.8:
	v_and_b32_e32 v1, 63, v0
	v_cmp_eq_u32_e32 vcc, 63, v1
	v_lshrrev_b32_e32 v1, 4, v0
	v_and_b32_e32 v22, 60, v1
	v_and_b32_e32 v1, 3, v0
	s_abs_i32 s35, s10
	v_lshlrev_b32_e32 v23, 2, v1
	v_cvt_f32_u32_e32 v1, s35
	s_add_i32 s2, s25, 7
	s_ashr_i32 s3, s2, 31
	s_lshr_b32 s3, s3, 29
	v_rcp_iflag_f32_e32 v1, v1
	s_add_i32 s2, s2, s3
	s_ashr_i32 s2, s2, 3
	s_abs_i32 s36, s9
	v_lshlrev_b32_e32 v20, 4, v0
	v_lshlrev_b32_e32 v21, 5, v0
	v_cmp_eq_u32_e64 s[0:1], 0, v0
	v_cmp_gt_u32_e64 s[2:3], s2, v0
	v_lshlrev_b32_e32 v24, 3, v0
	v_mul_f32_e32 v0, 0x4f7ffffe, v1
	v_cvt_f32_u32_e32 v1, s36
	v_cvt_u32_f32_e32 v0, v0
	s_load_dwordx8 s[16:23], s[4:5], 0x0
	s_add_i32 s4, s25, 3
	v_rcp_iflag_f32_e32 v1, v1
	s_ashr_i32 s5, s4, 31
	s_lshr_b32 s5, s5, 30
	s_add_i32 s4, s4, s5
	v_readfirstlane_b32 s5, v0
	v_mul_f32_e32 v0, 0x4f7ffffe, v1
	v_cvt_u32_f32_e32 v0, v0
	s_and_b32 s30, s4, -4
	s_sub_i32 s4, 0, s35
	s_mul_i32 s4, s4, s5
	s_mul_hi_u32 s4, s5, s4
	s_add_i32 s38, s5, s4
	s_sub_i32 s4, 0, s36
	v_readfirstlane_b32 s5, v0
	s_mul_i32 s4, s4, s5
	s_mov_b32 s7, 0x20000
	s_waitcnt lgkmcnt(0)
	s_and_b32 s23, s23, 0xffff
	s_mul_hi_u32 s4, s5, s4
                                        ; implicit-def: $vgpr0_vgpr1_vgpr2_vgpr3_vgpr4_vgpr5_vgpr6_vgpr7
	s_mov_b32 s33, s25
	s_lshl_b32 s6, s25, 1
	s_lshl_b32 s26, s25, 2
	s_mov_b32 s27, s7
	s_mov_b32 s34, 0xffff
	s_ashr_i32 s37, s10, 31
	s_ashr_i32 s39, s9, 31
	s_add_i32 s40, s5, s4
	s_mov_b32 s44, -1
	s_mov_b32 s41, 0x2edbe6ff
	v_mov_b32_e32 v25, 0
	v_mov_b32_e32 v26, 0xc3e00000
	;; [unrolled: 1-line block ×3, first 2 shown]
	s_mov_b32 s42, 0x5040100
	s_movk_i32 s43, 0xff
	s_mov_b32 s24, s22
	s_mov_b32 s25, s23
                                        ; implicit-def: $vgpr4_vgpr5_vgpr6_vgpr7_vgpr8_vgpr9_vgpr10_vgpr11
                                        ; implicit-def: $vgpr18
                                        ; implicit-def: $vgpr10_vgpr11_vgpr12_vgpr13_vgpr14_vgpr15_vgpr16_vgpr17
	s_branch .LBB67_10
.LBB67_9:                               ;   in Loop: Header=BB67_10 Depth=1
	s_or_b64 exec, exec, s[4:5]
	s_add_i32 s15, s15, -1
	s_add_i32 s8, s8, 1
	s_cmp_eq_u32 s15, 0
	s_cbranch_scc1 .LBB67_18
.LBB67_10:                              ; =>This Inner Loop Header: Depth=1
	s_abs_i32 s28, s8
	s_mul_hi_u32 s5, s28, s38
	s_mul_i32 s22, s5, s35
	s_ashr_i32 s29, s8, 31
	s_sub_i32 s22, s28, s22
	s_xor_b32 s4, s29, s37
	s_add_i32 s23, s5, 1
	s_sub_i32 s31, s22, s35
	s_cmp_ge_u32 s22, s35
	s_cselect_b32 s5, s23, s5
	s_cselect_b32 s22, s31, s22
	s_add_i32 s23, s5, 1
	s_cmp_ge_u32 s22, s35
	s_cselect_b32 s5, s23, s5
	s_xor_b32 s5, s5, s4
	s_sub_i32 s4, s5, s4
	s_mul_i32 s5, s4, s10
	s_sub_i32 s5, s8, s5
	s_mul_i32 s22, s5, s12
	s_mul_i32 s4, s4, s11
	s_add_i32 s22, s22, s4
	s_cmp_eq_u32 s22, s44
	s_cbranch_scc1 .LBB67_12
; %bb.11:                               ;   in Loop: Header=BB67_10 Depth=1
	s_mul_hi_i32 s5, s22, s33
	s_mul_i32 s4, s22, s33
	s_lshl_b64 s[4:5], s[4:5], 1
	s_add_u32 s4, s20, s4
	s_addc_u32 s5, s21, s5
	s_and_b32 s5, s5, 0xffff
	buffer_load_dwordx4 v[4:7], v20, s[4:7], 0 offen
	s_mov_b32 s44, s22
	s_waitcnt vmcnt(0)
	v_cvt_f32_u32_sdwa v19, v4 dst_sel:DWORD dst_unused:UNUSED_PAD src0_sel:WORD_1
	v_cvt_f32_u32_sdwa v18, v4 dst_sel:DWORD dst_unused:UNUSED_PAD src0_sel:WORD_0
	v_cvt_f32_u32_sdwa v3, v5 dst_sel:DWORD dst_unused:UNUSED_PAD src0_sel:WORD_1
	v_cvt_f32_u32_sdwa v2, v5 dst_sel:DWORD dst_unused:UNUSED_PAD src0_sel:WORD_0
	;; [unrolled: 2-line block ×4, first 2 shown]
.LBB67_12:                              ;   in Loop: Header=BB67_10 Depth=1
	buffer_load_dwordx4 v[4:7], v21, s[24:27], 0 offen
	buffer_load_dwordx4 v[12:15], v21, s[24:27], 16 offen
	s_waitcnt vmcnt(1)
	v_pk_mul_f32 v[10:11], v[18:19], v[4:5]
	v_pk_mul_f32 v[6:7], v[2:3], v[6:7]
	s_waitcnt vmcnt(0)
	v_pk_mul_f32 v[4:5], v[8:9], v[12:13]
	v_max3_f32 v12, |v10|, s41, |v11|
	v_max3_f32 v12, v12, |v6|, |v7|
	v_pk_mul_f32 v[0:1], v[16:17], v[14:15]
	v_max3_f32 v12, v12, |v4|, |v5|
	v_max3_f32 v12, v12, |v0|, |v1|
	s_nop 1
	v_mov_b32_dpp v13, v12 quad_perm:[1,0,3,2] row_mask:0xf bank_mask:0xf
	v_cmp_gt_f32_e64 s[4:5], v12, v13
	v_cndmask_b32_e64 v12, v13, v12, s[4:5]
	s_nop 1
	v_mov_b32_dpp v13, v12 quad_perm:[2,3,0,1] row_mask:0xf bank_mask:0xf
	v_cmp_gt_f32_e64 s[4:5], v12, v13
	v_cndmask_b32_e64 v12, v13, v12, s[4:5]
	s_nop 1
	v_mov_b32_dpp v13, v12 row_half_mirror row_mask:0xf bank_mask:0xf
	v_cmp_gt_f32_e64 s[4:5], v12, v13
	v_cndmask_b32_e64 v12, v13, v12, s[4:5]
	s_nop 1
	v_mov_b32_dpp v13, v12 row_mirror row_mask:0xf bank_mask:0xf
	v_cmp_gt_f32_e64 s[4:5], v12, v13
	v_cndmask_b32_e64 v12, v13, v12, s[4:5]
	s_nop 1
	v_mov_b32_dpp v13, v12 row_bcast:15 row_mask:0xf bank_mask:0xf
	v_cmp_gt_f32_e64 s[4:5], v12, v13
	v_cndmask_b32_e64 v12, v13, v12, s[4:5]
	s_nop 1
	v_mov_b32_dpp v13, v12 row_bcast:31 row_mask:0xf bank_mask:0xf
	s_and_saveexec_b64 s[22:23], vcc
	s_cbranch_execz .LBB67_14
; %bb.13:                               ;   in Loop: Header=BB67_10 Depth=1
	v_cmp_gt_f32_e64 s[4:5], v12, v13
	v_cndmask_b32_e64 v12, v13, v12, s[4:5]
	ds_write_b32 v22, v12
.LBB67_14:                              ;   in Loop: Header=BB67_10 Depth=1
	s_or_b64 exec, exec, s[22:23]
	s_waitcnt lgkmcnt(0)
	s_barrier
	ds_read_b32 v12, v23
	s_waitcnt lgkmcnt(0)
	s_nop 0
	v_mov_b32_dpp v13, v12 quad_perm:[1,0,3,2] row_mask:0xf bank_mask:0xf
	v_cmp_gt_f32_e64 s[4:5], v12, v13
	v_cndmask_b32_e64 v12, v13, v12, s[4:5]
	s_nop 1
	v_mov_b32_dpp v13, v12 quad_perm:[2,3,0,1] row_mask:0xf bank_mask:0xf
	v_cmp_gt_f32_e64 s[4:5], v12, v13
	v_cndmask_b32_e64 v12, v13, v12, s[4:5]
	s_mul_hi_u32 s5, s28, s40
	s_mul_i32 s22, s5, s36
	s_sub_i32 s22, s28, s22
	s_xor_b32 s4, s29, s39
	s_add_i32 s23, s5, 1
	s_sub_i32 s28, s22, s36
	s_cmp_ge_u32 s22, s36
	s_cselect_b32 s5, s23, s5
	s_cselect_b32 s22, s28, s22
	s_add_i32 s23, s5, 1
	s_cmp_ge_u32 s22, s36
	s_cselect_b32 s5, s23, s5
	s_xor_b32 s5, s5, s4
	s_sub_i32 s4, s5, s4
	s_mul_i32 s5, s4, s9
	s_sub_i32 s5, s8, s5
	s_mul_i32 s5, s5, s14
	s_mul_i32 s4, s4, s13
	v_mul_f32_e32 v12, 0x3b124925, v12
	s_add_i32 s22, s5, s4
	s_and_saveexec_b64 s[4:5], s[0:1]
	s_cbranch_execz .LBB67_16
; %bb.15:                               ;   in Loop: Header=BB67_10 Depth=1
	s_ashr_i32 s23, s22, 31
	s_lshl_b64 s[28:29], s[22:23], 2
	s_add_u32 s28, s18, s28
	s_addc_u32 s29, s19, s29
	global_store_dword v25, v12, s[28:29]
.LBB67_16:                              ;   in Loop: Header=BB67_10 Depth=1
	s_or_b64 exec, exec, s[4:5]
	s_and_saveexec_b64 s[4:5], s[2:3]
	s_cbranch_execz .LBB67_9
; %bb.17:                               ;   in Loop: Header=BB67_10 Depth=1
	v_rcp_f32_e32 v12, v12
	s_mul_hi_i32 s23, s22, s33
	s_mul_i32 s22, s22, s33
	s_add_u32 s28, s16, s22
	v_mov_b32_e32 v13, v12
	;;#ASMSTART
	v_pk_mul_f32 v[10:11], v[10:11], v[12:13]
	;;#ASMEND
	;;#ASMSTART
	v_med3_f32 v10, v10, v26, v27
v_med3_f32 v11, v11, v26, v27
v_cvt_pk_fp8_f32 v14, v10, v11
	;;#ASMEND
	;;#ASMSTART
	v_pk_mul_f32 v[6:7], v[6:7], v[12:13]
	;;#ASMEND
	;;#ASMSTART
	v_med3_f32 v6, v6, v26, v27
v_med3_f32 v7, v7, v26, v27
v_cvt_pk_fp8_f32 v10, v6, v7
	;;#ASMEND
	v_perm_b32 v7, v10, v14, s42
	v_and_b32_e32 v6, 0xffffff00, v10
	v_and_b32_sdwa v10, v7, s43 dst_sel:DWORD dst_unused:UNUSED_PAD src0_sel:WORD_1 src1_sel:DWORD
	v_or_b32_sdwa v6, v10, v6 dst_sel:WORD_1 dst_unused:UNUSED_PAD src0_sel:DWORD src1_sel:DWORD
	;;#ASMSTART
	v_pk_mul_f32 v[4:5], v[4:5], v[12:13]
	;;#ASMEND
	v_and_or_b32 v6, v7, s34, v6
	;;#ASMSTART
	v_med3_f32 v4, v4, v26, v27
v_med3_f32 v5, v5, v26, v27
v_cvt_pk_fp8_f32 v7, v4, v5
	;;#ASMEND
	;;#ASMSTART
	v_pk_mul_f32 v[0:1], v[0:1], v[12:13]
	;;#ASMEND
	;;#ASMSTART
	v_med3_f32 v0, v0, v26, v27
v_med3_f32 v1, v1, v26, v27
v_cvt_pk_fp8_f32 v4, v0, v1
	;;#ASMEND
	s_addc_u32 s22, s17, s23
	v_lshlrev_b32_e32 v0, 16, v4
	s_and_b32 s29, s22, 0xffff
	s_mov_b32 s31, s7
	v_and_or_b32 v7, v7, s34, v0
	buffer_store_dwordx2 v[6:7], v24, s[28:31], 0 offen
	;;#ASMSTART
	s_nop 0
	;;#ASMEND
	s_branch .LBB67_9
.LBB67_18:
	s_endpgm
.LBB67_19:
                                        ; implicit-def: $sgpr2
	s_branch .LBB67_2
	.section	.rodata,"a",@progbits
	.p2align	6, 0x0
	.amdhsa_kernel _ZN5aiter36smooth_per_token_scaled_quant_kernelItDB8_Li256ELi8ELb1ELb0ELb0ELi1024EEEvPT0_PfPT_S4_PiS7_iiPKiiiiiiiii
		.amdhsa_group_segment_fixed_size 16
		.amdhsa_private_segment_fixed_size 0
		.amdhsa_kernarg_size 96
		.amdhsa_user_sgpr_count 6
		.amdhsa_user_sgpr_private_segment_buffer 1
		.amdhsa_user_sgpr_dispatch_ptr 0
		.amdhsa_user_sgpr_queue_ptr 0
		.amdhsa_user_sgpr_kernarg_segment_ptr 1
		.amdhsa_user_sgpr_dispatch_id 0
		.amdhsa_user_sgpr_flat_scratch_init 0
		.amdhsa_user_sgpr_kernarg_preload_length 0
		.amdhsa_user_sgpr_kernarg_preload_offset 0
		.amdhsa_user_sgpr_private_segment_size 0
		.amdhsa_uses_dynamic_stack 0
		.amdhsa_system_sgpr_private_segment_wavefront_offset 0
		.amdhsa_system_sgpr_workgroup_id_x 1
		.amdhsa_system_sgpr_workgroup_id_y 0
		.amdhsa_system_sgpr_workgroup_id_z 0
		.amdhsa_system_sgpr_workgroup_info 0
		.amdhsa_system_vgpr_workitem_id 0
		.amdhsa_next_free_vgpr 28
		.amdhsa_next_free_sgpr 45
		.amdhsa_accum_offset 28
		.amdhsa_reserve_vcc 1
		.amdhsa_reserve_flat_scratch 0
		.amdhsa_float_round_mode_32 0
		.amdhsa_float_round_mode_16_64 0
		.amdhsa_float_denorm_mode_32 3
		.amdhsa_float_denorm_mode_16_64 3
		.amdhsa_dx10_clamp 1
		.amdhsa_ieee_mode 1
		.amdhsa_fp16_overflow 0
		.amdhsa_tg_split 0
		.amdhsa_exception_fp_ieee_invalid_op 0
		.amdhsa_exception_fp_denorm_src 0
		.amdhsa_exception_fp_ieee_div_zero 0
		.amdhsa_exception_fp_ieee_overflow 0
		.amdhsa_exception_fp_ieee_underflow 0
		.amdhsa_exception_fp_ieee_inexact 0
		.amdhsa_exception_int_div_zero 0
	.end_amdhsa_kernel
	.section	.text._ZN5aiter36smooth_per_token_scaled_quant_kernelItDB8_Li256ELi8ELb1ELb0ELb0ELi1024EEEvPT0_PfPT_S4_PiS7_iiPKiiiiiiiii,"axG",@progbits,_ZN5aiter36smooth_per_token_scaled_quant_kernelItDB8_Li256ELi8ELb1ELb0ELb0ELi1024EEEvPT0_PfPT_S4_PiS7_iiPKiiiiiiiii,comdat
.Lfunc_end67:
	.size	_ZN5aiter36smooth_per_token_scaled_quant_kernelItDB8_Li256ELi8ELb1ELb0ELb0ELi1024EEEvPT0_PfPT_S4_PiS7_iiPKiiiiiiiii, .Lfunc_end67-_ZN5aiter36smooth_per_token_scaled_quant_kernelItDB8_Li256ELi8ELb1ELb0ELb0ELi1024EEEvPT0_PfPT_S4_PiS7_iiPKiiiiiiiii
                                        ; -- End function
	.section	.AMDGPU.csdata,"",@progbits
; Kernel info:
; codeLenInByte = 1500
; NumSgprs: 49
; NumVgprs: 28
; NumAgprs: 0
; TotalNumVgprs: 28
; ScratchSize: 0
; MemoryBound: 0
; FloatMode: 240
; IeeeMode: 1
; LDSByteSize: 16 bytes/workgroup (compile time only)
; SGPRBlocks: 6
; VGPRBlocks: 3
; NumSGPRsForWavesPerEU: 49
; NumVGPRsForWavesPerEU: 28
; AccumOffset: 28
; Occupancy: 8
; WaveLimiterHint : 0
; COMPUTE_PGM_RSRC2:SCRATCH_EN: 0
; COMPUTE_PGM_RSRC2:USER_SGPR: 6
; COMPUTE_PGM_RSRC2:TRAP_HANDLER: 0
; COMPUTE_PGM_RSRC2:TGID_X_EN: 1
; COMPUTE_PGM_RSRC2:TGID_Y_EN: 0
; COMPUTE_PGM_RSRC2:TGID_Z_EN: 0
; COMPUTE_PGM_RSRC2:TIDIG_COMP_CNT: 0
; COMPUTE_PGM_RSRC3_GFX90A:ACCUM_OFFSET: 6
; COMPUTE_PGM_RSRC3_GFX90A:TG_SPLIT: 0
	.section	.text._ZN5aiter36smooth_per_token_scaled_quant_kernelIDF16_DB8_Li256ELi8ELb0ELb1ELb1ELi1024EEEvPT0_PfPT_S4_PiS7_iiPKiiiiiiiii,"axG",@progbits,_ZN5aiter36smooth_per_token_scaled_quant_kernelIDF16_DB8_Li256ELi8ELb0ELb1ELb1ELi1024EEEvPT0_PfPT_S4_PiS7_iiPKiiiiiiiii,comdat
	.protected	_ZN5aiter36smooth_per_token_scaled_quant_kernelIDF16_DB8_Li256ELi8ELb0ELb1ELb1ELi1024EEEvPT0_PfPT_S4_PiS7_iiPKiiiiiiiii ; -- Begin function _ZN5aiter36smooth_per_token_scaled_quant_kernelIDF16_DB8_Li256ELi8ELb0ELb1ELb1ELi1024EEEvPT0_PfPT_S4_PiS7_iiPKiiiiiiiii
	.globl	_ZN5aiter36smooth_per_token_scaled_quant_kernelIDF16_DB8_Li256ELi8ELb0ELb1ELb1ELi1024EEEvPT0_PfPT_S4_PiS7_iiPKiiiiiiiii
	.p2align	8
	.type	_ZN5aiter36smooth_per_token_scaled_quant_kernelIDF16_DB8_Li256ELi8ELb0ELb1ELb1ELi1024EEEvPT0_PfPT_S4_PiS7_iiPKiiiiiiiii,@function
_ZN5aiter36smooth_per_token_scaled_quant_kernelIDF16_DB8_Li256ELi8ELb0ELb1ELb1ELi1024EEEvPT0_PfPT_S4_PiS7_iiPKiiiiiiiii: ; @_ZN5aiter36smooth_per_token_scaled_quant_kernelIDF16_DB8_Li256ELi8ELb0ELb1ELb1ELi1024EEEvPT0_PfPT_S4_PiS7_iiPKiiiiiiiii
; %bb.0:
	s_load_dwordx2 s[16:17], s[4:5], 0x38
	s_load_dwordx2 s[0:1], s[4:5], 0x28
	s_load_dwordx8 s[8:15], s[4:5], 0x40
	s_mov_b64 s[2:3], 0
	s_waitcnt lgkmcnt(0)
	s_cmp_lg_u64 s[16:17], 0
	s_cbranch_scc0 .LBB68_11
; %bb.1:
	s_load_dword s7, s[16:17], 0x0
	s_waitcnt lgkmcnt(0)
	s_mul_i32 s7, s7, s8
	s_andn2_b64 vcc, exec, s[2:3]
	s_cbranch_vccnz .LBB68_3
.LBB68_2:
	s_mul_i32 s7, s10, s9
.LBB68_3:
	s_load_dwordx2 s[8:9], s[4:5], 0x30
	v_and_b32_e32 v1, 0x3c0, v0
	v_lshlrev_b32_e32 v1, 2, v1
	s_lshl_b32 s2, s15, 2
	v_lshlrev_b32_e32 v2, 2, v0
	v_readfirstlane_b32 s15, v1
	v_add_u32_e32 v3, 0x400, v1
	s_and_b32 s1, s1, 0xffff
	s_mov_b32 s3, 0x20000
	;;#ASMSTART
	s_mov_b32 m0 s15
	buffer_load_dword v2, s[0:3], 0 offen offset:0 lds
	
	;;#ASMEND
	v_readfirstlane_b32 s15, v3
	v_add_u32_e32 v3, 0x400, v2
	;;#ASMSTART
	s_mov_b32 m0 s15
	buffer_load_dword v3, s[0:3], 0 offen offset:0 lds
	
	;;#ASMEND
	v_add_u32_e32 v3, 0x800, v1
	s_waitcnt lgkmcnt(0)
	s_abs_i32 s16, s8
	v_readfirstlane_b32 s15, v3
	v_cvt_f32_u32_e32 v3, s16
	v_add_u32_e32 v1, 0xc00, v1
	v_add_u32_e32 v4, 0x800, v2
	v_readfirstlane_b32 s18, v1
	v_rcp_iflag_f32_e32 v3, v3
	v_add_u32_e32 v1, 0xc00, v2
	s_sub_i32 s19, 0, s16
	s_abs_i32 s17, s7
	v_mul_f32_e32 v2, 0x4f7ffffe, v3
	v_cvt_u32_f32_e32 v2, v2
	;;#ASMSTART
	s_mov_b32 m0 s15
	buffer_load_dword v4, s[0:3], 0 offen offset:0 lds
	
	;;#ASMEND
	s_xor_b32 s15, s7, s8
	s_ashr_i32 s15, s15, 31
	v_readfirstlane_b32 s20, v2
	s_mul_i32 s19, s19, s20
	s_mul_hi_u32 s19, s20, s19
	s_add_i32 s20, s20, s19
	s_mul_hi_u32 s19, s17, s20
	s_mul_i32 s20, s19, s16
	s_sub_i32 s17, s17, s20
	s_add_i32 s20, s19, 1
	s_sub_i32 s21, s17, s16
	s_cmp_ge_u32 s17, s16
	s_cselect_b32 s19, s20, s19
	s_cselect_b32 s17, s21, s17
	s_add_i32 s20, s19, 1
	s_cmp_ge_u32 s17, s16
	s_cselect_b32 s16, s20, s19
	s_xor_b32 s16, s16, s15
	s_sub_i32 s15, s16, s15
	s_mul_i32 s8, s15, s8
	s_sub_i32 s8, s7, s8
	s_cmp_lt_u32 s6, s8
	;;#ASMSTART
	s_mov_b32 m0 s18
	buffer_load_dword v1, s[0:3], 0 offen offset:0 lds
	
	;;#ASMEND
	s_cselect_b64 s[16:17], -1, 0
	s_add_i32 s7, s15, 1
	s_cmp_ge_u32 s6, s8
	s_cbranch_scc0 .LBB68_5
; %bb.4:
	s_sub_i32 s1, s6, s8
	s_mul_i32 s0, s8, s7
	s_mul_i32 s1, s1, s15
	s_add_i32 s34, s1, s0
	s_cbranch_execz .LBB68_6
	s_branch .LBB68_7
.LBB68_5:
                                        ; implicit-def: $sgpr34
.LBB68_6:
	s_mul_i32 s34, s7, s6
.LBB68_7:
	v_cndmask_b32_e64 v1, 0, 1, s[16:17]
	v_readfirstlane_b32 s0, v1
	s_add_i32 s8, s15, s0
	s_cmp_lt_i32 s8, 1
	s_cbranch_scc1 .LBB68_35
; %bb.8:
	s_load_dwordx2 s[0:1], s[4:5], 0x20
	s_ashr_i32 s35, s34, 31
	s_lshl_b64 s[2:3], s[34:35], 2
	v_and_b32_e32 v1, 63, v0
	s_mov_b32 s27, 0x20000
	s_waitcnt lgkmcnt(0)
	s_add_u32 s24, s0, s2
	s_addc_u32 s0, s1, s3
	s_lshl_b32 s26, s8, 2
	s_and_b32 s25, s0, 0xffff
	v_lshlrev_b32_e32 v22, 2, v1
	buffer_load_dword v2, v22, s[24:27], 0 offen
	s_abs_i32 s40, s10
	v_cmp_eq_u32_e64 s[0:1], 63, v1
	v_cvt_f32_u32_e32 v1, s40
	s_add_i32 s2, s9, 7
	s_load_dwordx8 s[16:23], s[4:5], 0x0
	s_ashr_i32 s4, s2, 31
	v_rcp_iflag_f32_e32 v1, v1
	s_waitcnt vmcnt(0) lgkmcnt(0)
	s_barrier
	v_mul_f32_e32 v1, 0x4f7ffffe, v1
	v_cvt_u32_f32_e32 v1, v1
	s_add_i32 s3, s9, 3
	s_lshr_b32 s4, s4, 29
	s_ashr_i32 s5, s3, 31
	s_add_i32 s2, s2, s4
	s_sub_i32 s4, 0, s40
	v_readfirstlane_b32 s41, v1
	s_lshr_b32 s5, s5, 30
	s_mul_i32 s4, s4, s41
	s_add_i32 s3, s3, s5
	s_mul_hi_u32 s4, s41, s4
	v_lshrrev_b32_e32 v3, 4, v0
	v_mov_b32_e32 v4, 0x1000
	v_and_b32_e32 v5, 3, v0
	s_lshl_b32 s6, s9, 1
	s_lshl_b32 s30, s9, 2
	s_ashr_i32 s33, s10, 31
	s_ashr_i32 s2, s2, 3
	s_and_b32 s38, s3, -4
	s_add_i32 s41, s41, s4
	s_mov_b32 s15, s9
	v_lshlrev_b32_e32 v16, 4, v0
	v_lshlrev_b32_e32 v17, 5, v0
	v_cmp_eq_u32_e32 vcc, 0, v0
	v_and_or_b32 v18, v3, 60, v4
	v_lshl_or_b32 v19, v5, 2, v4
	v_cmp_gt_u32_e64 s[2:3], s2, v0
	v_lshlrev_b32_e32 v20, 3, v0
	v_lshlrev_b32_e32 v2, 2, v2
	ds_read_b32 v21, v2
	s_waitcnt lgkmcnt(0)
	v_readlane_b32 s28, v21, 0
	s_cmp_lt_i32 s28, 0
	s_cbranch_scc1 .LBB68_12
; %bb.9:
	s_abs_i32 s4, s34
	s_mul_hi_u32 s5, s4, s41
	s_mul_i32 s27, s5, s40
	s_sub_i32 s4, s4, s27
	s_xor_b32 s7, s35, s33
	s_add_i32 s27, s5, 1
	s_sub_i32 s29, s4, s40
	s_cmp_ge_u32 s4, s40
	s_cselect_b32 s5, s27, s5
	s_cselect_b32 s4, s29, s4
	s_add_i32 s27, s5, 1
	s_cmp_ge_u32 s4, s40
	s_cselect_b32 s4, s27, s5
	s_xor_b32 s4, s4, s7
	s_sub_i32 s27, s4, s7
	s_mul_i32 s4, s27, s10
	s_sub_i32 s36, s34, s4
	s_mul_i32 s4, s36, s12
	s_mul_i32 s5, s27, s11
	s_add_i32 s35, s4, s5
	s_cmp_eq_u32 s35, -1
	s_cbranch_scc1 .LBB68_13
; %bb.10:
	s_mul_hi_i32 s5, s35, s15
	s_mul_i32 s4, s35, s15
	s_lshl_b64 s[4:5], s[4:5], 1
	s_add_u32 s4, s20, s4
	s_addc_u32 s5, s21, s5
	s_and_b32 s5, s5, 0xffff
	s_mov_b32 s7, 0x20000
	buffer_load_dwordx4 v[4:7], v16, s[4:7], 0 offen
	s_waitcnt vmcnt(0)
	v_cvt_f32_f16_e32 v0, v4
	v_cvt_f32_f16_sdwa v1, v4 dst_sel:DWORD dst_unused:UNUSED_PAD src0_sel:WORD_1
	v_cvt_f32_f16_e32 v2, v5
	v_cvt_f32_f16_sdwa v3, v5 dst_sel:DWORD dst_unused:UNUSED_PAD src0_sel:WORD_1
	;; [unrolled: 2-line block ×4, first 2 shown]
	s_branch .LBB68_14
.LBB68_11:
                                        ; implicit-def: $sgpr7
	s_branch .LBB68_2
.LBB68_12:
	s_mov_b32 s35, -1
                                        ; implicit-def: $vgpr0_vgpr1_vgpr2_vgpr3_vgpr4_vgpr5_vgpr6_vgpr7
	s_cmp_eq_u32 s8, 1
	s_mov_b32 s42, 1
	s_cbranch_scc0 .LBB68_21
	s_branch .LBB68_35
.LBB68_13:
                                        ; implicit-def: $vgpr0_vgpr1_vgpr2_vgpr3_vgpr4_vgpr5_vgpr6_vgpr7
.LBB68_14:
	s_mul_i32 s4, s28, s9
	s_ashr_i32 s5, s4, 31
	s_lshl_b64 s[4:5], s[4:5], 2
	s_add_u32 s28, s22, s4
	s_addc_u32 s4, s23, s5
	s_and_b32 s29, s4, 0xffff
	s_mov_b32 s31, 0x20000
	buffer_load_dwordx4 v[8:11], v17, s[28:31], 0 offen
	buffer_load_dwordx4 v[24:27], v17, s[28:31], 16 offen
	s_mov_b32 s4, 0x2edbe6ff
	s_waitcnt vmcnt(1)
	v_pk_mul_f32 v[14:15], v[0:1], v[8:9]
	v_pk_mul_f32 v[12:13], v[2:3], v[10:11]
	v_max3_f32 v23, |v14|, s4, |v15|
	s_waitcnt vmcnt(0)
	v_pk_mul_f32 v[10:11], v[4:5], v[24:25]
	v_max3_f32 v23, v23, |v12|, |v13|
	v_pk_mul_f32 v[8:9], v[6:7], v[26:27]
	v_max3_f32 v23, v23, |v10|, |v11|
	v_max3_f32 v23, v23, |v8|, |v9|
	s_nop 1
	v_mov_b32_dpp v24, v23 quad_perm:[1,0,3,2] row_mask:0xf bank_mask:0xf
	v_cmp_gt_f32_e64 s[4:5], v23, v24
	v_cndmask_b32_e64 v23, v24, v23, s[4:5]
	s_nop 1
	v_mov_b32_dpp v24, v23 quad_perm:[2,3,0,1] row_mask:0xf bank_mask:0xf
	v_cmp_gt_f32_e64 s[4:5], v23, v24
	v_cndmask_b32_e64 v23, v24, v23, s[4:5]
	s_nop 1
	v_mov_b32_dpp v24, v23 row_half_mirror row_mask:0xf bank_mask:0xf
	v_cmp_gt_f32_e64 s[4:5], v23, v24
	v_cndmask_b32_e64 v23, v24, v23, s[4:5]
	s_nop 1
	v_mov_b32_dpp v24, v23 row_mirror row_mask:0xf bank_mask:0xf
	v_cmp_gt_f32_e64 s[4:5], v23, v24
	v_cndmask_b32_e64 v23, v24, v23, s[4:5]
	s_nop 1
	v_mov_b32_dpp v24, v23 row_bcast:15 row_mask:0xf bank_mask:0xf
	v_cmp_gt_f32_e64 s[4:5], v23, v24
	v_cndmask_b32_e64 v23, v24, v23, s[4:5]
	s_nop 1
	v_mov_b32_dpp v24, v23 row_bcast:31 row_mask:0xf bank_mask:0xf
	s_and_saveexec_b64 s[28:29], s[0:1]
	s_cbranch_execz .LBB68_16
; %bb.15:
	v_cmp_gt_f32_e64 s[4:5], v23, v24
	v_cndmask_b32_e64 v23, v24, v23, s[4:5]
	ds_write_b32 v18, v23
.LBB68_16:
	s_or_b64 exec, exec, s[28:29]
	s_waitcnt lgkmcnt(0)
	s_barrier
	ds_read_b32 v23, v19
	s_mul_i32 s27, s27, s13
	s_waitcnt lgkmcnt(0)
	v_mov_b32_dpp v24, v23 quad_perm:[1,0,3,2] row_mask:0xf bank_mask:0xf
	v_cmp_gt_f32_e64 s[4:5], v23, v24
	v_cndmask_b32_e64 v23, v24, v23, s[4:5]
	s_nop 1
	v_mov_b32_dpp v24, v23 quad_perm:[2,3,0,1] row_mask:0xf bank_mask:0xf
	v_cmp_gt_f32_e64 s[4:5], v23, v24
	v_cndmask_b32_e64 v23, v24, v23, s[4:5]
	s_mul_i32 s4, s36, s14
	v_mul_f32_e32 v23, 0x3b124925, v23
	s_add_i32 s28, s4, s27
	s_and_saveexec_b64 s[4:5], vcc
	s_cbranch_execz .LBB68_18
; %bb.17:
	s_ashr_i32 s29, s28, 31
	s_lshl_b64 s[36:37], s[28:29], 2
	s_add_u32 s36, s18, s36
	s_addc_u32 s37, s19, s37
	v_mov_b32_e32 v24, 0
	global_store_dword v24, v23, s[36:37]
.LBB68_18:
	s_or_b64 exec, exec, s[4:5]
	s_and_saveexec_b64 s[4:5], s[2:3]
	s_cbranch_execz .LBB68_20
; %bb.19:
	v_rcp_f32_e32 v24, v23
	s_mul_i32 s27, s28, s15
	s_mul_hi_i32 s7, s28, s15
	s_add_u32 s36, s16, s27
	v_mov_b32_e32 v25, v24
	;;#ASMSTART
	v_pk_mul_f32 v[14:15], v[14:15], v[24:25]
	;;#ASMEND
	s_addc_u32 s7, s17, s7
	v_mov_b32_e32 v23, 0xc3e00000
	v_mov_b32_e32 v26, 0x43e00000
	;;#ASMSTART
	v_med3_f32 v14, v14, v23, v26
v_med3_f32 v15, v15, v23, v26
v_cvt_pk_fp8_f32 v27, v14, v15
	;;#ASMEND
	;;#ASMSTART
	v_pk_mul_f32 v[12:13], v[12:13], v[24:25]
	;;#ASMEND
	s_and_b32 s37, s7, 0xffff
	;;#ASMSTART
	v_med3_f32 v12, v12, v23, v26
v_med3_f32 v13, v13, v23, v26
v_cvt_pk_fp8_f32 v14, v12, v13
	;;#ASMEND
	s_mov_b32 s7, 0x5040100
	v_perm_b32 v13, v14, v27, s7
	s_movk_i32 s7, 0xff
	v_and_b32_e32 v12, 0xffffff00, v14
	v_and_b32_sdwa v14, v13, s7 dst_sel:DWORD dst_unused:UNUSED_PAD src0_sel:WORD_1 src1_sel:DWORD
	s_mov_b32 s27, 0xffff
	v_or_b32_sdwa v12, v14, v12 dst_sel:WORD_1 dst_unused:UNUSED_PAD src0_sel:DWORD src1_sel:DWORD
	;;#ASMSTART
	v_pk_mul_f32 v[10:11], v[10:11], v[24:25]
	;;#ASMEND
	v_and_or_b32 v12, v13, s27, v12
	;;#ASMSTART
	v_med3_f32 v10, v10, v23, v26
v_med3_f32 v11, v11, v23, v26
v_cvt_pk_fp8_f32 v13, v10, v11
	;;#ASMEND
	;;#ASMSTART
	v_pk_mul_f32 v[8:9], v[8:9], v[24:25]
	;;#ASMEND
	;;#ASMSTART
	v_med3_f32 v8, v8, v23, v26
v_med3_f32 v9, v9, v23, v26
v_cvt_pk_fp8_f32 v10, v8, v9
	;;#ASMEND
	v_lshlrev_b32_e32 v8, 16, v10
	s_mov_b32 s39, 0x20000
	v_and_or_b32 v13, v13, s27, v8
	buffer_store_dwordx2 v[12:13], v20, s[36:39], 0 offen
	;;#ASMSTART
	s_nop 0
	;;#ASMEND
.LBB68_20:
	s_or_b64 exec, exec, s[4:5]
	s_cmp_eq_u32 s8, 1
	s_mov_b32 s42, 1
	s_cbranch_scc1 .LBB68_35
.LBB68_21:
	v_add_u32_e32 v22, 4, v22
	s_mov_b32 s43, 0xffff
	s_mov_b32 s31, 0x20000
	;; [unrolled: 1-line block ×3, first 2 shown]
	v_mov_b32_e32 v23, 0
	v_mov_b32_e32 v24, 0xc3e00000
	v_mov_b32_e32 v25, 0x43e00000
	s_mov_b32 s45, 0x5040100
	s_movk_i32 s46, 0xff
	s_branch .LBB68_24
.LBB68_22:                              ;   in Loop: Header=BB68_24 Depth=1
	s_or_b64 exec, exec, s[4:5]
.LBB68_23:                              ;   in Loop: Header=BB68_24 Depth=1
	s_add_i32 s42, s42, 1
	s_cmp_eq_u32 s8, s42
	v_add_u32_e32 v22, 4, v22
	s_cbranch_scc1 .LBB68_35
.LBB68_24:                              ; =>This Inner Loop Header: Depth=1
	s_and_b32 s4, s42, 63
	s_cmp_lg_u32 s4, 0
	s_cbranch_scc1 .LBB68_26
; %bb.25:                               ;   in Loop: Header=BB68_24 Depth=1
	s_mov_b32 s27, s31
	buffer_load_dword v8, v22, s[24:27], 0 offen
	s_waitcnt vmcnt(0)
	v_lshlrev_b32_e32 v8, 2, v8
	ds_read_b32 v21, v8
.LBB68_26:                              ;   in Loop: Header=BB68_24 Depth=1
	s_waitcnt lgkmcnt(0)
	v_readlane_b32 s28, v21, s4
	s_cmp_lt_i32 s28, 0
	s_cbranch_scc1 .LBB68_23
; %bb.27:                               ;   in Loop: Header=BB68_24 Depth=1
	s_add_i32 s4, s34, s42
	s_abs_i32 s7, s4
	s_mul_hi_u32 s27, s7, s41
	s_mul_i32 s29, s27, s40
	s_ashr_i32 s5, s4, 31
	s_sub_i32 s7, s7, s29
	s_xor_b32 s5, s5, s33
	s_add_i32 s29, s27, 1
	s_sub_i32 s36, s7, s40
	s_cmp_ge_u32 s7, s40
	s_cselect_b32 s27, s29, s27
	s_cselect_b32 s7, s36, s7
	s_add_i32 s29, s27, 1
	s_cmp_ge_u32 s7, s40
	s_cselect_b32 s7, s29, s27
	s_xor_b32 s7, s7, s5
	s_sub_i32 s27, s7, s5
	s_mul_i32 s5, s27, s10
	s_sub_i32 s36, s4, s5
	s_mul_i32 s29, s36, s12
	s_mul_i32 s4, s27, s11
	s_add_i32 s29, s29, s4
	s_cmp_eq_u32 s29, s35
	s_cbranch_scc1 .LBB68_29
; %bb.28:                               ;   in Loop: Header=BB68_24 Depth=1
	s_mul_hi_i32 s5, s29, s15
	s_mul_i32 s4, s29, s15
	s_lshl_b64 s[4:5], s[4:5], 1
	s_add_u32 s4, s20, s4
	s_addc_u32 s5, s21, s5
	s_and_b32 s5, s5, 0xffff
	s_mov_b32 s7, s31
	buffer_load_dwordx4 v[4:7], v16, s[4:7], 0 offen
	s_mov_b32 s35, s29
	s_waitcnt vmcnt(0)
	v_cvt_f32_f16_e32 v0, v4
	v_cvt_f32_f16_sdwa v1, v4 dst_sel:DWORD dst_unused:UNUSED_PAD src0_sel:WORD_1
	v_cvt_f32_f16_e32 v2, v5
	v_cvt_f32_f16_sdwa v3, v5 dst_sel:DWORD dst_unused:UNUSED_PAD src0_sel:WORD_1
	;; [unrolled: 2-line block ×4, first 2 shown]
.LBB68_29:                              ;   in Loop: Header=BB68_24 Depth=1
	s_mul_i32 s4, s28, s9
	s_ashr_i32 s5, s4, 31
	s_lshl_b64 s[4:5], s[4:5], 2
	s_add_u32 s28, s22, s4
	s_addc_u32 s4, s23, s5
	s_and_b32 s29, s4, 0xffff
	buffer_load_dwordx4 v[8:11], v17, s[28:31], 0 offen
	buffer_load_dwordx4 v[26:29], v17, s[28:31], 16 offen
	s_waitcnt vmcnt(1)
	v_pk_mul_f32 v[14:15], v[0:1], v[8:9]
	v_pk_mul_f32 v[12:13], v[2:3], v[10:11]
	s_waitcnt vmcnt(0)
	v_pk_mul_f32 v[10:11], v[4:5], v[26:27]
	v_max3_f32 v26, |v14|, s44, |v15|
	v_max3_f32 v26, v26, |v12|, |v13|
	v_pk_mul_f32 v[8:9], v[6:7], v[28:29]
	v_max3_f32 v26, v26, |v10|, |v11|
	v_max3_f32 v26, v26, |v8|, |v9|
	s_nop 1
	v_mov_b32_dpp v27, v26 quad_perm:[1,0,3,2] row_mask:0xf bank_mask:0xf
	v_cmp_gt_f32_e64 s[4:5], v26, v27
	v_cndmask_b32_e64 v26, v27, v26, s[4:5]
	s_nop 1
	v_mov_b32_dpp v27, v26 quad_perm:[2,3,0,1] row_mask:0xf bank_mask:0xf
	v_cmp_gt_f32_e64 s[4:5], v26, v27
	v_cndmask_b32_e64 v26, v27, v26, s[4:5]
	s_nop 1
	v_mov_b32_dpp v27, v26 row_half_mirror row_mask:0xf bank_mask:0xf
	v_cmp_gt_f32_e64 s[4:5], v26, v27
	v_cndmask_b32_e64 v26, v27, v26, s[4:5]
	s_nop 1
	v_mov_b32_dpp v27, v26 row_mirror row_mask:0xf bank_mask:0xf
	v_cmp_gt_f32_e64 s[4:5], v26, v27
	v_cndmask_b32_e64 v26, v27, v26, s[4:5]
	s_nop 1
	v_mov_b32_dpp v27, v26 row_bcast:15 row_mask:0xf bank_mask:0xf
	v_cmp_gt_f32_e64 s[4:5], v26, v27
	v_cndmask_b32_e64 v26, v27, v26, s[4:5]
	s_nop 1
	v_mov_b32_dpp v27, v26 row_bcast:31 row_mask:0xf bank_mask:0xf
	s_and_saveexec_b64 s[28:29], s[0:1]
	s_cbranch_execz .LBB68_31
; %bb.30:                               ;   in Loop: Header=BB68_24 Depth=1
	v_cmp_gt_f32_e64 s[4:5], v26, v27
	v_cndmask_b32_e64 v26, v27, v26, s[4:5]
	ds_write_b32 v18, v26
.LBB68_31:                              ;   in Loop: Header=BB68_24 Depth=1
	s_or_b64 exec, exec, s[28:29]
	s_waitcnt lgkmcnt(0)
	s_barrier
	ds_read_b32 v26, v19
	s_mul_i32 s27, s27, s13
	s_waitcnt lgkmcnt(0)
	v_mov_b32_dpp v27, v26 quad_perm:[1,0,3,2] row_mask:0xf bank_mask:0xf
	v_cmp_gt_f32_e64 s[4:5], v26, v27
	v_cndmask_b32_e64 v26, v27, v26, s[4:5]
	s_nop 1
	v_mov_b32_dpp v27, v26 quad_perm:[2,3,0,1] row_mask:0xf bank_mask:0xf
	v_cmp_gt_f32_e64 s[4:5], v26, v27
	v_cndmask_b32_e64 v26, v27, v26, s[4:5]
	s_mul_i32 s4, s36, s14
	v_mul_f32_e32 v26, 0x3b124925, v26
	s_add_i32 s28, s4, s27
	s_and_saveexec_b64 s[4:5], vcc
	s_cbranch_execz .LBB68_33
; %bb.32:                               ;   in Loop: Header=BB68_24 Depth=1
	s_ashr_i32 s29, s28, 31
	s_lshl_b64 s[36:37], s[28:29], 2
	s_add_u32 s36, s18, s36
	s_addc_u32 s37, s19, s37
	global_store_dword v23, v26, s[36:37]
.LBB68_33:                              ;   in Loop: Header=BB68_24 Depth=1
	s_or_b64 exec, exec, s[4:5]
	s_and_saveexec_b64 s[4:5], s[2:3]
	s_cbranch_execz .LBB68_22
; %bb.34:                               ;   in Loop: Header=BB68_24 Depth=1
	v_rcp_f32_e32 v26, v26
	s_mul_i32 s27, s28, s15
	s_mul_hi_i32 s7, s28, s15
	s_add_u32 s36, s16, s27
	v_mov_b32_e32 v27, v26
	;;#ASMSTART
	v_pk_mul_f32 v[14:15], v[14:15], v[26:27]
	;;#ASMEND
	;;#ASMSTART
	v_med3_f32 v14, v14, v24, v25
v_med3_f32 v15, v15, v24, v25
v_cvt_pk_fp8_f32 v28, v14, v15
	;;#ASMEND
	;;#ASMSTART
	v_pk_mul_f32 v[12:13], v[12:13], v[26:27]
	;;#ASMEND
	;;#ASMSTART
	v_med3_f32 v12, v12, v24, v25
v_med3_f32 v13, v13, v24, v25
v_cvt_pk_fp8_f32 v14, v12, v13
	;;#ASMEND
	v_perm_b32 v13, v14, v28, s45
	v_and_b32_e32 v12, 0xffffff00, v14
	v_and_b32_sdwa v14, v13, s46 dst_sel:DWORD dst_unused:UNUSED_PAD src0_sel:WORD_1 src1_sel:DWORD
	v_or_b32_sdwa v12, v14, v12 dst_sel:WORD_1 dst_unused:UNUSED_PAD src0_sel:DWORD src1_sel:DWORD
	;;#ASMSTART
	v_pk_mul_f32 v[10:11], v[10:11], v[26:27]
	;;#ASMEND
	v_and_or_b32 v12, v13, s43, v12
	;;#ASMSTART
	v_med3_f32 v10, v10, v24, v25
v_med3_f32 v11, v11, v24, v25
v_cvt_pk_fp8_f32 v13, v10, v11
	;;#ASMEND
	;;#ASMSTART
	v_pk_mul_f32 v[8:9], v[8:9], v[26:27]
	;;#ASMEND
	;;#ASMSTART
	v_med3_f32 v8, v8, v24, v25
v_med3_f32 v9, v9, v24, v25
v_cvt_pk_fp8_f32 v10, v8, v9
	;;#ASMEND
	s_addc_u32 s7, s17, s7
	v_lshlrev_b32_e32 v8, 16, v10
	s_and_b32 s37, s7, 0xffff
	s_mov_b32 s39, s31
	v_and_or_b32 v13, v13, s43, v8
	buffer_store_dwordx2 v[12:13], v20, s[36:39], 0 offen
	;;#ASMSTART
	s_nop 0
	;;#ASMEND
	s_branch .LBB68_22
.LBB68_35:
	s_endpgm
	.section	.rodata,"a",@progbits
	.p2align	6, 0x0
	.amdhsa_kernel _ZN5aiter36smooth_per_token_scaled_quant_kernelIDF16_DB8_Li256ELi8ELb0ELb1ELb1ELi1024EEEvPT0_PfPT_S4_PiS7_iiPKiiiiiiiii
		.amdhsa_group_segment_fixed_size 4112
		.amdhsa_private_segment_fixed_size 0
		.amdhsa_kernarg_size 96
		.amdhsa_user_sgpr_count 6
		.amdhsa_user_sgpr_private_segment_buffer 1
		.amdhsa_user_sgpr_dispatch_ptr 0
		.amdhsa_user_sgpr_queue_ptr 0
		.amdhsa_user_sgpr_kernarg_segment_ptr 1
		.amdhsa_user_sgpr_dispatch_id 0
		.amdhsa_user_sgpr_flat_scratch_init 0
		.amdhsa_user_sgpr_kernarg_preload_length 0
		.amdhsa_user_sgpr_kernarg_preload_offset 0
		.amdhsa_user_sgpr_private_segment_size 0
		.amdhsa_uses_dynamic_stack 0
		.amdhsa_system_sgpr_private_segment_wavefront_offset 0
		.amdhsa_system_sgpr_workgroup_id_x 1
		.amdhsa_system_sgpr_workgroup_id_y 0
		.amdhsa_system_sgpr_workgroup_id_z 0
		.amdhsa_system_sgpr_workgroup_info 0
		.amdhsa_system_vgpr_workitem_id 0
		.amdhsa_next_free_vgpr 30
		.amdhsa_next_free_sgpr 47
		.amdhsa_accum_offset 32
		.amdhsa_reserve_vcc 1
		.amdhsa_reserve_flat_scratch 0
		.amdhsa_float_round_mode_32 0
		.amdhsa_float_round_mode_16_64 0
		.amdhsa_float_denorm_mode_32 3
		.amdhsa_float_denorm_mode_16_64 3
		.amdhsa_dx10_clamp 1
		.amdhsa_ieee_mode 1
		.amdhsa_fp16_overflow 0
		.amdhsa_tg_split 0
		.amdhsa_exception_fp_ieee_invalid_op 0
		.amdhsa_exception_fp_denorm_src 0
		.amdhsa_exception_fp_ieee_div_zero 0
		.amdhsa_exception_fp_ieee_overflow 0
		.amdhsa_exception_fp_ieee_underflow 0
		.amdhsa_exception_fp_ieee_inexact 0
		.amdhsa_exception_int_div_zero 0
	.end_amdhsa_kernel
	.section	.text._ZN5aiter36smooth_per_token_scaled_quant_kernelIDF16_DB8_Li256ELi8ELb0ELb1ELb1ELi1024EEEvPT0_PfPT_S4_PiS7_iiPKiiiiiiiii,"axG",@progbits,_ZN5aiter36smooth_per_token_scaled_quant_kernelIDF16_DB8_Li256ELi8ELb0ELb1ELb1ELi1024EEEvPT0_PfPT_S4_PiS7_iiPKiiiiiiiii,comdat
.Lfunc_end68:
	.size	_ZN5aiter36smooth_per_token_scaled_quant_kernelIDF16_DB8_Li256ELi8ELb0ELb1ELb1ELi1024EEEvPT0_PfPT_S4_PiS7_iiPKiiiiiiiii, .Lfunc_end68-_ZN5aiter36smooth_per_token_scaled_quant_kernelIDF16_DB8_Li256ELi8ELb0ELb1ELb1ELi1024EEEvPT0_PfPT_S4_PiS7_iiPKiiiiiiiii
                                        ; -- End function
	.section	.AMDGPU.csdata,"",@progbits
; Kernel info:
; codeLenInByte = 2684
; NumSgprs: 51
; NumVgprs: 30
; NumAgprs: 0
; TotalNumVgprs: 30
; ScratchSize: 0
; MemoryBound: 0
; FloatMode: 240
; IeeeMode: 1
; LDSByteSize: 4112 bytes/workgroup (compile time only)
; SGPRBlocks: 6
; VGPRBlocks: 3
; NumSGPRsForWavesPerEU: 51
; NumVGPRsForWavesPerEU: 30
; AccumOffset: 32
; Occupancy: 8
; WaveLimiterHint : 0
; COMPUTE_PGM_RSRC2:SCRATCH_EN: 0
; COMPUTE_PGM_RSRC2:USER_SGPR: 6
; COMPUTE_PGM_RSRC2:TRAP_HANDLER: 0
; COMPUTE_PGM_RSRC2:TGID_X_EN: 1
; COMPUTE_PGM_RSRC2:TGID_Y_EN: 0
; COMPUTE_PGM_RSRC2:TGID_Z_EN: 0
; COMPUTE_PGM_RSRC2:TIDIG_COMP_CNT: 0
; COMPUTE_PGM_RSRC3_GFX90A:ACCUM_OFFSET: 7
; COMPUTE_PGM_RSRC3_GFX90A:TG_SPLIT: 0
	.section	.text._ZN5aiter36smooth_per_token_scaled_quant_kernelItDB8_Li256ELi8ELb0ELb1ELb1ELi1024EEEvPT0_PfPT_S4_PiS7_iiPKiiiiiiiii,"axG",@progbits,_ZN5aiter36smooth_per_token_scaled_quant_kernelItDB8_Li256ELi8ELb0ELb1ELb1ELi1024EEEvPT0_PfPT_S4_PiS7_iiPKiiiiiiiii,comdat
	.protected	_ZN5aiter36smooth_per_token_scaled_quant_kernelItDB8_Li256ELi8ELb0ELb1ELb1ELi1024EEEvPT0_PfPT_S4_PiS7_iiPKiiiiiiiii ; -- Begin function _ZN5aiter36smooth_per_token_scaled_quant_kernelItDB8_Li256ELi8ELb0ELb1ELb1ELi1024EEEvPT0_PfPT_S4_PiS7_iiPKiiiiiiiii
	.globl	_ZN5aiter36smooth_per_token_scaled_quant_kernelItDB8_Li256ELi8ELb0ELb1ELb1ELi1024EEEvPT0_PfPT_S4_PiS7_iiPKiiiiiiiii
	.p2align	8
	.type	_ZN5aiter36smooth_per_token_scaled_quant_kernelItDB8_Li256ELi8ELb0ELb1ELb1ELi1024EEEvPT0_PfPT_S4_PiS7_iiPKiiiiiiiii,@function
_ZN5aiter36smooth_per_token_scaled_quant_kernelItDB8_Li256ELi8ELb0ELb1ELb1ELi1024EEEvPT0_PfPT_S4_PiS7_iiPKiiiiiiiii: ; @_ZN5aiter36smooth_per_token_scaled_quant_kernelItDB8_Li256ELi8ELb0ELb1ELb1ELi1024EEEvPT0_PfPT_S4_PiS7_iiPKiiiiiiiii
; %bb.0:
	s_load_dwordx2 s[16:17], s[4:5], 0x38
	s_load_dwordx2 s[0:1], s[4:5], 0x28
	s_load_dwordx8 s[8:15], s[4:5], 0x40
	s_mov_b64 s[2:3], 0
	s_waitcnt lgkmcnt(0)
	s_cmp_lg_u64 s[16:17], 0
	s_cbranch_scc0 .LBB69_11
; %bb.1:
	s_load_dword s7, s[16:17], 0x0
	s_waitcnt lgkmcnt(0)
	s_mul_i32 s7, s7, s8
	s_andn2_b64 vcc, exec, s[2:3]
	s_cbranch_vccnz .LBB69_3
.LBB69_2:
	s_mul_i32 s7, s10, s9
.LBB69_3:
	s_load_dwordx2 s[8:9], s[4:5], 0x30
	v_and_b32_e32 v1, 0x3c0, v0
	v_lshlrev_b32_e32 v1, 2, v1
	s_lshl_b32 s2, s15, 2
	v_lshlrev_b32_e32 v2, 2, v0
	v_readfirstlane_b32 s15, v1
	v_add_u32_e32 v3, 0x400, v1
	s_and_b32 s1, s1, 0xffff
	s_mov_b32 s3, 0x20000
	;;#ASMSTART
	s_mov_b32 m0 s15
	buffer_load_dword v2, s[0:3], 0 offen offset:0 lds
	
	;;#ASMEND
	v_readfirstlane_b32 s15, v3
	v_add_u32_e32 v3, 0x400, v2
	;;#ASMSTART
	s_mov_b32 m0 s15
	buffer_load_dword v3, s[0:3], 0 offen offset:0 lds
	
	;;#ASMEND
	v_add_u32_e32 v3, 0x800, v1
	s_waitcnt lgkmcnt(0)
	s_abs_i32 s16, s8
	v_readfirstlane_b32 s15, v3
	v_cvt_f32_u32_e32 v3, s16
	v_add_u32_e32 v1, 0xc00, v1
	v_add_u32_e32 v4, 0x800, v2
	v_readfirstlane_b32 s18, v1
	v_rcp_iflag_f32_e32 v3, v3
	v_add_u32_e32 v1, 0xc00, v2
	s_sub_i32 s19, 0, s16
	s_abs_i32 s17, s7
	v_mul_f32_e32 v2, 0x4f7ffffe, v3
	v_cvt_u32_f32_e32 v2, v2
	;;#ASMSTART
	s_mov_b32 m0 s15
	buffer_load_dword v4, s[0:3], 0 offen offset:0 lds
	
	;;#ASMEND
	s_xor_b32 s15, s7, s8
	s_ashr_i32 s15, s15, 31
	v_readfirstlane_b32 s20, v2
	s_mul_i32 s19, s19, s20
	s_mul_hi_u32 s19, s20, s19
	s_add_i32 s20, s20, s19
	s_mul_hi_u32 s19, s17, s20
	s_mul_i32 s20, s19, s16
	s_sub_i32 s17, s17, s20
	s_add_i32 s20, s19, 1
	s_sub_i32 s21, s17, s16
	s_cmp_ge_u32 s17, s16
	s_cselect_b32 s19, s20, s19
	s_cselect_b32 s17, s21, s17
	s_add_i32 s20, s19, 1
	s_cmp_ge_u32 s17, s16
	s_cselect_b32 s16, s20, s19
	s_xor_b32 s16, s16, s15
	s_sub_i32 s15, s16, s15
	s_mul_i32 s8, s15, s8
	s_sub_i32 s8, s7, s8
	s_cmp_lt_u32 s6, s8
	;;#ASMSTART
	s_mov_b32 m0 s18
	buffer_load_dword v1, s[0:3], 0 offen offset:0 lds
	
	;;#ASMEND
	s_cselect_b64 s[16:17], -1, 0
	s_add_i32 s7, s15, 1
	s_cmp_ge_u32 s6, s8
	s_cbranch_scc0 .LBB69_5
; %bb.4:
	s_sub_i32 s1, s6, s8
	s_mul_i32 s0, s8, s7
	s_mul_i32 s1, s1, s15
	s_add_i32 s34, s1, s0
	s_cbranch_execz .LBB69_6
	s_branch .LBB69_7
.LBB69_5:
                                        ; implicit-def: $sgpr34
.LBB69_6:
	s_mul_i32 s34, s7, s6
.LBB69_7:
	v_cndmask_b32_e64 v1, 0, 1, s[16:17]
	v_readfirstlane_b32 s0, v1
	s_add_i32 s8, s15, s0
	s_cmp_lt_i32 s8, 1
	s_cbranch_scc1 .LBB69_35
; %bb.8:
	s_load_dwordx2 s[0:1], s[4:5], 0x20
	s_ashr_i32 s35, s34, 31
	s_lshl_b64 s[2:3], s[34:35], 2
	v_and_b32_e32 v1, 63, v0
	s_mov_b32 s27, 0x20000
	s_waitcnt lgkmcnt(0)
	s_add_u32 s24, s0, s2
	s_addc_u32 s0, s1, s3
	s_lshl_b32 s26, s8, 2
	s_and_b32 s25, s0, 0xffff
	v_lshlrev_b32_e32 v22, 2, v1
	buffer_load_dword v2, v22, s[24:27], 0 offen
	s_abs_i32 s40, s10
	v_cmp_eq_u32_e64 s[0:1], 63, v1
	v_cvt_f32_u32_e32 v1, s40
	s_add_i32 s2, s9, 7
	s_load_dwordx8 s[16:23], s[4:5], 0x0
	s_ashr_i32 s4, s2, 31
	v_rcp_iflag_f32_e32 v1, v1
	s_waitcnt vmcnt(0) lgkmcnt(0)
	s_barrier
	v_mul_f32_e32 v1, 0x4f7ffffe, v1
	v_cvt_u32_f32_e32 v1, v1
	s_add_i32 s3, s9, 3
	s_lshr_b32 s4, s4, 29
	s_ashr_i32 s5, s3, 31
	s_add_i32 s2, s2, s4
	s_sub_i32 s4, 0, s40
	v_readfirstlane_b32 s41, v1
	s_lshr_b32 s5, s5, 30
	s_mul_i32 s4, s4, s41
	s_add_i32 s3, s3, s5
	s_mul_hi_u32 s4, s41, s4
	v_lshrrev_b32_e32 v3, 4, v0
	v_mov_b32_e32 v4, 0x1000
	v_and_b32_e32 v5, 3, v0
	s_lshl_b32 s6, s9, 1
	s_lshl_b32 s30, s9, 2
	s_ashr_i32 s33, s10, 31
	s_ashr_i32 s2, s2, 3
	s_and_b32 s38, s3, -4
	s_add_i32 s41, s41, s4
	s_mov_b32 s15, s9
	v_lshlrev_b32_e32 v16, 4, v0
	v_lshlrev_b32_e32 v17, 5, v0
	v_cmp_eq_u32_e32 vcc, 0, v0
	v_and_or_b32 v18, v3, 60, v4
	v_lshl_or_b32 v19, v5, 2, v4
	v_cmp_gt_u32_e64 s[2:3], s2, v0
	v_lshlrev_b32_e32 v20, 3, v0
	v_lshlrev_b32_e32 v2, 2, v2
	ds_read_b32 v21, v2
	s_waitcnt lgkmcnt(0)
	v_readlane_b32 s28, v21, 0
	s_cmp_lt_i32 s28, 0
	s_cbranch_scc1 .LBB69_12
; %bb.9:
	s_abs_i32 s4, s34
	s_mul_hi_u32 s5, s4, s41
	s_mul_i32 s27, s5, s40
	s_sub_i32 s4, s4, s27
	s_xor_b32 s7, s35, s33
	s_add_i32 s27, s5, 1
	s_sub_i32 s29, s4, s40
	s_cmp_ge_u32 s4, s40
	s_cselect_b32 s5, s27, s5
	s_cselect_b32 s4, s29, s4
	s_add_i32 s27, s5, 1
	s_cmp_ge_u32 s4, s40
	s_cselect_b32 s4, s27, s5
	s_xor_b32 s4, s4, s7
	s_sub_i32 s27, s4, s7
	s_mul_i32 s4, s27, s10
	s_sub_i32 s36, s34, s4
	s_mul_i32 s4, s36, s12
	s_mul_i32 s5, s27, s11
	s_add_i32 s35, s4, s5
	s_cmp_eq_u32 s35, -1
	s_cbranch_scc1 .LBB69_13
; %bb.10:
	s_mul_hi_i32 s5, s35, s15
	s_mul_i32 s4, s35, s15
	s_lshl_b64 s[4:5], s[4:5], 1
	s_add_u32 s4, s20, s4
	s_addc_u32 s5, s21, s5
	s_and_b32 s5, s5, 0xffff
	s_mov_b32 s7, 0x20000
	buffer_load_dwordx4 v[6:9], v16, s[4:7], 0 offen
	s_waitcnt vmcnt(0)
	v_cvt_f32_u32_sdwa v1, v6 dst_sel:DWORD dst_unused:UNUSED_PAD src0_sel:WORD_1
	v_cvt_f32_u32_sdwa v0, v6 dst_sel:DWORD dst_unused:UNUSED_PAD src0_sel:WORD_0
	v_cvt_f32_u32_sdwa v3, v7 dst_sel:DWORD dst_unused:UNUSED_PAD src0_sel:WORD_1
	v_cvt_f32_u32_sdwa v2, v7 dst_sel:DWORD dst_unused:UNUSED_PAD src0_sel:WORD_0
	;; [unrolled: 2-line block ×4, first 2 shown]
	s_branch .LBB69_14
.LBB69_11:
                                        ; implicit-def: $sgpr7
	s_branch .LBB69_2
.LBB69_12:
	s_mov_b32 s35, -1
                                        ; implicit-def: $vgpr0_vgpr1_vgpr2_vgpr3_vgpr4_vgpr5_vgpr6_vgpr7
	s_cmp_eq_u32 s8, 1
	s_mov_b32 s42, 1
	s_cbranch_scc0 .LBB69_21
	s_branch .LBB69_35
.LBB69_13:
                                        ; implicit-def: $vgpr0_vgpr1_vgpr2_vgpr3_vgpr4_vgpr5_vgpr6_vgpr7
.LBB69_14:
	s_mul_i32 s4, s28, s9
	s_ashr_i32 s5, s4, 31
	s_lshl_b64 s[4:5], s[4:5], 2
	s_add_u32 s28, s22, s4
	s_addc_u32 s4, s23, s5
	s_and_b32 s29, s4, 0xffff
	s_mov_b32 s31, 0x20000
	buffer_load_dwordx4 v[8:11], v17, s[28:31], 0 offen
	buffer_load_dwordx4 v[24:27], v17, s[28:31], 16 offen
	s_mov_b32 s4, 0x2edbe6ff
	s_waitcnt vmcnt(1)
	v_pk_mul_f32 v[14:15], v[0:1], v[8:9]
	v_pk_mul_f32 v[12:13], v[2:3], v[10:11]
	v_max3_f32 v23, |v14|, s4, |v15|
	s_waitcnt vmcnt(0)
	v_pk_mul_f32 v[10:11], v[4:5], v[24:25]
	v_max3_f32 v23, v23, |v12|, |v13|
	v_pk_mul_f32 v[8:9], v[6:7], v[26:27]
	v_max3_f32 v23, v23, |v10|, |v11|
	v_max3_f32 v23, v23, |v8|, |v9|
	s_nop 1
	v_mov_b32_dpp v24, v23 quad_perm:[1,0,3,2] row_mask:0xf bank_mask:0xf
	v_cmp_gt_f32_e64 s[4:5], v23, v24
	v_cndmask_b32_e64 v23, v24, v23, s[4:5]
	s_nop 1
	v_mov_b32_dpp v24, v23 quad_perm:[2,3,0,1] row_mask:0xf bank_mask:0xf
	v_cmp_gt_f32_e64 s[4:5], v23, v24
	v_cndmask_b32_e64 v23, v24, v23, s[4:5]
	s_nop 1
	v_mov_b32_dpp v24, v23 row_half_mirror row_mask:0xf bank_mask:0xf
	v_cmp_gt_f32_e64 s[4:5], v23, v24
	v_cndmask_b32_e64 v23, v24, v23, s[4:5]
	s_nop 1
	v_mov_b32_dpp v24, v23 row_mirror row_mask:0xf bank_mask:0xf
	v_cmp_gt_f32_e64 s[4:5], v23, v24
	v_cndmask_b32_e64 v23, v24, v23, s[4:5]
	s_nop 1
	v_mov_b32_dpp v24, v23 row_bcast:15 row_mask:0xf bank_mask:0xf
	v_cmp_gt_f32_e64 s[4:5], v23, v24
	v_cndmask_b32_e64 v23, v24, v23, s[4:5]
	s_nop 1
	v_mov_b32_dpp v24, v23 row_bcast:31 row_mask:0xf bank_mask:0xf
	s_and_saveexec_b64 s[28:29], s[0:1]
	s_cbranch_execz .LBB69_16
; %bb.15:
	v_cmp_gt_f32_e64 s[4:5], v23, v24
	v_cndmask_b32_e64 v23, v24, v23, s[4:5]
	ds_write_b32 v18, v23
.LBB69_16:
	s_or_b64 exec, exec, s[28:29]
	s_waitcnt lgkmcnt(0)
	s_barrier
	ds_read_b32 v23, v19
	s_mul_i32 s27, s27, s13
	s_waitcnt lgkmcnt(0)
	v_mov_b32_dpp v24, v23 quad_perm:[1,0,3,2] row_mask:0xf bank_mask:0xf
	v_cmp_gt_f32_e64 s[4:5], v23, v24
	v_cndmask_b32_e64 v23, v24, v23, s[4:5]
	s_nop 1
	v_mov_b32_dpp v24, v23 quad_perm:[2,3,0,1] row_mask:0xf bank_mask:0xf
	v_cmp_gt_f32_e64 s[4:5], v23, v24
	v_cndmask_b32_e64 v23, v24, v23, s[4:5]
	s_mul_i32 s4, s36, s14
	v_mul_f32_e32 v23, 0x3b124925, v23
	s_add_i32 s28, s4, s27
	s_and_saveexec_b64 s[4:5], vcc
	s_cbranch_execz .LBB69_18
; %bb.17:
	s_ashr_i32 s29, s28, 31
	s_lshl_b64 s[36:37], s[28:29], 2
	s_add_u32 s36, s18, s36
	s_addc_u32 s37, s19, s37
	v_mov_b32_e32 v24, 0
	global_store_dword v24, v23, s[36:37]
.LBB69_18:
	s_or_b64 exec, exec, s[4:5]
	s_and_saveexec_b64 s[4:5], s[2:3]
	s_cbranch_execz .LBB69_20
; %bb.19:
	v_rcp_f32_e32 v24, v23
	s_mul_i32 s27, s28, s15
	s_mul_hi_i32 s7, s28, s15
	s_add_u32 s36, s16, s27
	v_mov_b32_e32 v25, v24
	;;#ASMSTART
	v_pk_mul_f32 v[14:15], v[14:15], v[24:25]
	;;#ASMEND
	s_addc_u32 s7, s17, s7
	v_mov_b32_e32 v23, 0xc3e00000
	v_mov_b32_e32 v26, 0x43e00000
	;;#ASMSTART
	v_med3_f32 v14, v14, v23, v26
v_med3_f32 v15, v15, v23, v26
v_cvt_pk_fp8_f32 v27, v14, v15
	;;#ASMEND
	;;#ASMSTART
	v_pk_mul_f32 v[12:13], v[12:13], v[24:25]
	;;#ASMEND
	s_and_b32 s37, s7, 0xffff
	;;#ASMSTART
	v_med3_f32 v12, v12, v23, v26
v_med3_f32 v13, v13, v23, v26
v_cvt_pk_fp8_f32 v14, v12, v13
	;;#ASMEND
	s_mov_b32 s7, 0x5040100
	v_perm_b32 v13, v14, v27, s7
	s_movk_i32 s7, 0xff
	v_and_b32_e32 v12, 0xffffff00, v14
	v_and_b32_sdwa v14, v13, s7 dst_sel:DWORD dst_unused:UNUSED_PAD src0_sel:WORD_1 src1_sel:DWORD
	s_mov_b32 s27, 0xffff
	v_or_b32_sdwa v12, v14, v12 dst_sel:WORD_1 dst_unused:UNUSED_PAD src0_sel:DWORD src1_sel:DWORD
	;;#ASMSTART
	v_pk_mul_f32 v[10:11], v[10:11], v[24:25]
	;;#ASMEND
	v_and_or_b32 v12, v13, s27, v12
	;;#ASMSTART
	v_med3_f32 v10, v10, v23, v26
v_med3_f32 v11, v11, v23, v26
v_cvt_pk_fp8_f32 v13, v10, v11
	;;#ASMEND
	;;#ASMSTART
	v_pk_mul_f32 v[8:9], v[8:9], v[24:25]
	;;#ASMEND
	;;#ASMSTART
	v_med3_f32 v8, v8, v23, v26
v_med3_f32 v9, v9, v23, v26
v_cvt_pk_fp8_f32 v10, v8, v9
	;;#ASMEND
	v_lshlrev_b32_e32 v8, 16, v10
	s_mov_b32 s39, 0x20000
	v_and_or_b32 v13, v13, s27, v8
	buffer_store_dwordx2 v[12:13], v20, s[36:39], 0 offen
	;;#ASMSTART
	s_nop 0
	;;#ASMEND
.LBB69_20:
	s_or_b64 exec, exec, s[4:5]
	s_cmp_eq_u32 s8, 1
	s_mov_b32 s42, 1
	s_cbranch_scc1 .LBB69_35
.LBB69_21:
	v_add_u32_e32 v22, 4, v22
	s_mov_b32 s43, 0xffff
	s_mov_b32 s31, 0x20000
	;; [unrolled: 1-line block ×3, first 2 shown]
	v_mov_b32_e32 v23, 0
	v_mov_b32_e32 v24, 0xc3e00000
	;; [unrolled: 1-line block ×3, first 2 shown]
	s_mov_b32 s45, 0x5040100
	s_movk_i32 s46, 0xff
	s_branch .LBB69_24
.LBB69_22:                              ;   in Loop: Header=BB69_24 Depth=1
	s_or_b64 exec, exec, s[4:5]
.LBB69_23:                              ;   in Loop: Header=BB69_24 Depth=1
	s_add_i32 s42, s42, 1
	s_cmp_eq_u32 s8, s42
	v_add_u32_e32 v22, 4, v22
	s_cbranch_scc1 .LBB69_35
.LBB69_24:                              ; =>This Inner Loop Header: Depth=1
	s_and_b32 s4, s42, 63
	s_cmp_lg_u32 s4, 0
	s_cbranch_scc1 .LBB69_26
; %bb.25:                               ;   in Loop: Header=BB69_24 Depth=1
	s_mov_b32 s27, s31
	buffer_load_dword v8, v22, s[24:27], 0 offen
	s_waitcnt vmcnt(0)
	v_lshlrev_b32_e32 v8, 2, v8
	ds_read_b32 v21, v8
.LBB69_26:                              ;   in Loop: Header=BB69_24 Depth=1
	s_waitcnt lgkmcnt(0)
	v_readlane_b32 s28, v21, s4
	s_cmp_lt_i32 s28, 0
	s_cbranch_scc1 .LBB69_23
; %bb.27:                               ;   in Loop: Header=BB69_24 Depth=1
	s_add_i32 s4, s34, s42
	s_abs_i32 s7, s4
	s_mul_hi_u32 s27, s7, s41
	s_mul_i32 s29, s27, s40
	s_ashr_i32 s5, s4, 31
	s_sub_i32 s7, s7, s29
	s_xor_b32 s5, s5, s33
	s_add_i32 s29, s27, 1
	s_sub_i32 s36, s7, s40
	s_cmp_ge_u32 s7, s40
	s_cselect_b32 s27, s29, s27
	s_cselect_b32 s7, s36, s7
	s_add_i32 s29, s27, 1
	s_cmp_ge_u32 s7, s40
	s_cselect_b32 s7, s29, s27
	s_xor_b32 s7, s7, s5
	s_sub_i32 s27, s7, s5
	s_mul_i32 s5, s27, s10
	s_sub_i32 s36, s4, s5
	s_mul_i32 s29, s36, s12
	s_mul_i32 s4, s27, s11
	s_add_i32 s29, s29, s4
	s_cmp_eq_u32 s29, s35
	s_cbranch_scc1 .LBB69_29
; %bb.28:                               ;   in Loop: Header=BB69_24 Depth=1
	s_mul_hi_i32 s5, s29, s15
	s_mul_i32 s4, s29, s15
	s_lshl_b64 s[4:5], s[4:5], 1
	s_add_u32 s4, s20, s4
	s_addc_u32 s5, s21, s5
	s_and_b32 s5, s5, 0xffff
	s_mov_b32 s7, s31
	buffer_load_dwordx4 v[6:9], v16, s[4:7], 0 offen
	s_mov_b32 s35, s29
	s_waitcnt vmcnt(0)
	v_cvt_f32_u32_sdwa v1, v6 dst_sel:DWORD dst_unused:UNUSED_PAD src0_sel:WORD_1
	v_cvt_f32_u32_sdwa v0, v6 dst_sel:DWORD dst_unused:UNUSED_PAD src0_sel:WORD_0
	v_cvt_f32_u32_sdwa v3, v7 dst_sel:DWORD dst_unused:UNUSED_PAD src0_sel:WORD_1
	v_cvt_f32_u32_sdwa v2, v7 dst_sel:DWORD dst_unused:UNUSED_PAD src0_sel:WORD_0
	;; [unrolled: 2-line block ×4, first 2 shown]
.LBB69_29:                              ;   in Loop: Header=BB69_24 Depth=1
	s_mul_i32 s4, s28, s9
	s_ashr_i32 s5, s4, 31
	s_lshl_b64 s[4:5], s[4:5], 2
	s_add_u32 s28, s22, s4
	s_addc_u32 s4, s23, s5
	s_and_b32 s29, s4, 0xffff
	buffer_load_dwordx4 v[8:11], v17, s[28:31], 0 offen
	buffer_load_dwordx4 v[26:29], v17, s[28:31], 16 offen
	s_waitcnt vmcnt(1)
	v_pk_mul_f32 v[14:15], v[0:1], v[8:9]
	v_pk_mul_f32 v[12:13], v[2:3], v[10:11]
	s_waitcnt vmcnt(0)
	v_pk_mul_f32 v[10:11], v[4:5], v[26:27]
	v_max3_f32 v26, |v14|, s44, |v15|
	v_max3_f32 v26, v26, |v12|, |v13|
	v_pk_mul_f32 v[8:9], v[6:7], v[28:29]
	v_max3_f32 v26, v26, |v10|, |v11|
	v_max3_f32 v26, v26, |v8|, |v9|
	s_nop 1
	v_mov_b32_dpp v27, v26 quad_perm:[1,0,3,2] row_mask:0xf bank_mask:0xf
	v_cmp_gt_f32_e64 s[4:5], v26, v27
	v_cndmask_b32_e64 v26, v27, v26, s[4:5]
	s_nop 1
	v_mov_b32_dpp v27, v26 quad_perm:[2,3,0,1] row_mask:0xf bank_mask:0xf
	v_cmp_gt_f32_e64 s[4:5], v26, v27
	v_cndmask_b32_e64 v26, v27, v26, s[4:5]
	s_nop 1
	v_mov_b32_dpp v27, v26 row_half_mirror row_mask:0xf bank_mask:0xf
	v_cmp_gt_f32_e64 s[4:5], v26, v27
	v_cndmask_b32_e64 v26, v27, v26, s[4:5]
	s_nop 1
	v_mov_b32_dpp v27, v26 row_mirror row_mask:0xf bank_mask:0xf
	v_cmp_gt_f32_e64 s[4:5], v26, v27
	v_cndmask_b32_e64 v26, v27, v26, s[4:5]
	s_nop 1
	v_mov_b32_dpp v27, v26 row_bcast:15 row_mask:0xf bank_mask:0xf
	v_cmp_gt_f32_e64 s[4:5], v26, v27
	v_cndmask_b32_e64 v26, v27, v26, s[4:5]
	s_nop 1
	v_mov_b32_dpp v27, v26 row_bcast:31 row_mask:0xf bank_mask:0xf
	s_and_saveexec_b64 s[28:29], s[0:1]
	s_cbranch_execz .LBB69_31
; %bb.30:                               ;   in Loop: Header=BB69_24 Depth=1
	v_cmp_gt_f32_e64 s[4:5], v26, v27
	v_cndmask_b32_e64 v26, v27, v26, s[4:5]
	ds_write_b32 v18, v26
.LBB69_31:                              ;   in Loop: Header=BB69_24 Depth=1
	s_or_b64 exec, exec, s[28:29]
	s_waitcnt lgkmcnt(0)
	s_barrier
	ds_read_b32 v26, v19
	s_mul_i32 s27, s27, s13
	s_waitcnt lgkmcnt(0)
	v_mov_b32_dpp v27, v26 quad_perm:[1,0,3,2] row_mask:0xf bank_mask:0xf
	v_cmp_gt_f32_e64 s[4:5], v26, v27
	v_cndmask_b32_e64 v26, v27, v26, s[4:5]
	s_nop 1
	v_mov_b32_dpp v27, v26 quad_perm:[2,3,0,1] row_mask:0xf bank_mask:0xf
	v_cmp_gt_f32_e64 s[4:5], v26, v27
	v_cndmask_b32_e64 v26, v27, v26, s[4:5]
	s_mul_i32 s4, s36, s14
	v_mul_f32_e32 v26, 0x3b124925, v26
	s_add_i32 s28, s4, s27
	s_and_saveexec_b64 s[4:5], vcc
	s_cbranch_execz .LBB69_33
; %bb.32:                               ;   in Loop: Header=BB69_24 Depth=1
	s_ashr_i32 s29, s28, 31
	s_lshl_b64 s[36:37], s[28:29], 2
	s_add_u32 s36, s18, s36
	s_addc_u32 s37, s19, s37
	global_store_dword v23, v26, s[36:37]
.LBB69_33:                              ;   in Loop: Header=BB69_24 Depth=1
	s_or_b64 exec, exec, s[4:5]
	s_and_saveexec_b64 s[4:5], s[2:3]
	s_cbranch_execz .LBB69_22
; %bb.34:                               ;   in Loop: Header=BB69_24 Depth=1
	v_rcp_f32_e32 v26, v26
	s_mul_i32 s27, s28, s15
	s_mul_hi_i32 s7, s28, s15
	s_add_u32 s36, s16, s27
	v_mov_b32_e32 v27, v26
	;;#ASMSTART
	v_pk_mul_f32 v[14:15], v[14:15], v[26:27]
	;;#ASMEND
	;;#ASMSTART
	v_med3_f32 v14, v14, v24, v25
v_med3_f32 v15, v15, v24, v25
v_cvt_pk_fp8_f32 v28, v14, v15
	;;#ASMEND
	;;#ASMSTART
	v_pk_mul_f32 v[12:13], v[12:13], v[26:27]
	;;#ASMEND
	;;#ASMSTART
	v_med3_f32 v12, v12, v24, v25
v_med3_f32 v13, v13, v24, v25
v_cvt_pk_fp8_f32 v14, v12, v13
	;;#ASMEND
	v_perm_b32 v13, v14, v28, s45
	v_and_b32_e32 v12, 0xffffff00, v14
	v_and_b32_sdwa v14, v13, s46 dst_sel:DWORD dst_unused:UNUSED_PAD src0_sel:WORD_1 src1_sel:DWORD
	v_or_b32_sdwa v12, v14, v12 dst_sel:WORD_1 dst_unused:UNUSED_PAD src0_sel:DWORD src1_sel:DWORD
	;;#ASMSTART
	v_pk_mul_f32 v[10:11], v[10:11], v[26:27]
	;;#ASMEND
	v_and_or_b32 v12, v13, s43, v12
	;;#ASMSTART
	v_med3_f32 v10, v10, v24, v25
v_med3_f32 v11, v11, v24, v25
v_cvt_pk_fp8_f32 v13, v10, v11
	;;#ASMEND
	;;#ASMSTART
	v_pk_mul_f32 v[8:9], v[8:9], v[26:27]
	;;#ASMEND
	;;#ASMSTART
	v_med3_f32 v8, v8, v24, v25
v_med3_f32 v9, v9, v24, v25
v_cvt_pk_fp8_f32 v10, v8, v9
	;;#ASMEND
	s_addc_u32 s7, s17, s7
	v_lshlrev_b32_e32 v8, 16, v10
	s_and_b32 s37, s7, 0xffff
	s_mov_b32 s39, s31
	v_and_or_b32 v13, v13, s43, v8
	buffer_store_dwordx2 v[12:13], v20, s[36:39], 0 offen
	;;#ASMSTART
	s_nop 0
	;;#ASMEND
	s_branch .LBB69_22
.LBB69_35:
	s_endpgm
	.section	.rodata,"a",@progbits
	.p2align	6, 0x0
	.amdhsa_kernel _ZN5aiter36smooth_per_token_scaled_quant_kernelItDB8_Li256ELi8ELb0ELb1ELb1ELi1024EEEvPT0_PfPT_S4_PiS7_iiPKiiiiiiiii
		.amdhsa_group_segment_fixed_size 4112
		.amdhsa_private_segment_fixed_size 0
		.amdhsa_kernarg_size 96
		.amdhsa_user_sgpr_count 6
		.amdhsa_user_sgpr_private_segment_buffer 1
		.amdhsa_user_sgpr_dispatch_ptr 0
		.amdhsa_user_sgpr_queue_ptr 0
		.amdhsa_user_sgpr_kernarg_segment_ptr 1
		.amdhsa_user_sgpr_dispatch_id 0
		.amdhsa_user_sgpr_flat_scratch_init 0
		.amdhsa_user_sgpr_kernarg_preload_length 0
		.amdhsa_user_sgpr_kernarg_preload_offset 0
		.amdhsa_user_sgpr_private_segment_size 0
		.amdhsa_uses_dynamic_stack 0
		.amdhsa_system_sgpr_private_segment_wavefront_offset 0
		.amdhsa_system_sgpr_workgroup_id_x 1
		.amdhsa_system_sgpr_workgroup_id_y 0
		.amdhsa_system_sgpr_workgroup_id_z 0
		.amdhsa_system_sgpr_workgroup_info 0
		.amdhsa_system_vgpr_workitem_id 0
		.amdhsa_next_free_vgpr 30
		.amdhsa_next_free_sgpr 47
		.amdhsa_accum_offset 32
		.amdhsa_reserve_vcc 1
		.amdhsa_reserve_flat_scratch 0
		.amdhsa_float_round_mode_32 0
		.amdhsa_float_round_mode_16_64 0
		.amdhsa_float_denorm_mode_32 3
		.amdhsa_float_denorm_mode_16_64 3
		.amdhsa_dx10_clamp 1
		.amdhsa_ieee_mode 1
		.amdhsa_fp16_overflow 0
		.amdhsa_tg_split 0
		.amdhsa_exception_fp_ieee_invalid_op 0
		.amdhsa_exception_fp_denorm_src 0
		.amdhsa_exception_fp_ieee_div_zero 0
		.amdhsa_exception_fp_ieee_overflow 0
		.amdhsa_exception_fp_ieee_underflow 0
		.amdhsa_exception_fp_ieee_inexact 0
		.amdhsa_exception_int_div_zero 0
	.end_amdhsa_kernel
	.section	.text._ZN5aiter36smooth_per_token_scaled_quant_kernelItDB8_Li256ELi8ELb0ELb1ELb1ELi1024EEEvPT0_PfPT_S4_PiS7_iiPKiiiiiiiii,"axG",@progbits,_ZN5aiter36smooth_per_token_scaled_quant_kernelItDB8_Li256ELi8ELb0ELb1ELb1ELi1024EEEvPT0_PfPT_S4_PiS7_iiPKiiiiiiiii,comdat
.Lfunc_end69:
	.size	_ZN5aiter36smooth_per_token_scaled_quant_kernelItDB8_Li256ELi8ELb0ELb1ELb1ELi1024EEEvPT0_PfPT_S4_PiS7_iiPKiiiiiiiii, .Lfunc_end69-_ZN5aiter36smooth_per_token_scaled_quant_kernelItDB8_Li256ELi8ELb0ELb1ELb1ELi1024EEEvPT0_PfPT_S4_PiS7_iiPKiiiiiiiii
                                        ; -- End function
	.section	.AMDGPU.csdata,"",@progbits
; Kernel info:
; codeLenInByte = 2716
; NumSgprs: 51
; NumVgprs: 30
; NumAgprs: 0
; TotalNumVgprs: 30
; ScratchSize: 0
; MemoryBound: 0
; FloatMode: 240
; IeeeMode: 1
; LDSByteSize: 4112 bytes/workgroup (compile time only)
; SGPRBlocks: 6
; VGPRBlocks: 3
; NumSGPRsForWavesPerEU: 51
; NumVGPRsForWavesPerEU: 30
; AccumOffset: 32
; Occupancy: 8
; WaveLimiterHint : 0
; COMPUTE_PGM_RSRC2:SCRATCH_EN: 0
; COMPUTE_PGM_RSRC2:USER_SGPR: 6
; COMPUTE_PGM_RSRC2:TRAP_HANDLER: 0
; COMPUTE_PGM_RSRC2:TGID_X_EN: 1
; COMPUTE_PGM_RSRC2:TGID_Y_EN: 0
; COMPUTE_PGM_RSRC2:TGID_Z_EN: 0
; COMPUTE_PGM_RSRC2:TIDIG_COMP_CNT: 0
; COMPUTE_PGM_RSRC3_GFX90A:ACCUM_OFFSET: 7
; COMPUTE_PGM_RSRC3_GFX90A:TG_SPLIT: 0
	.section	.text._ZN5aiter36smooth_per_token_scaled_quant_kernelIDF16_DB8_Li256ELi8ELb0ELb1ELb0ELi1024EEEvPT0_PfPT_S4_PiS7_iiPKiiiiiiiii,"axG",@progbits,_ZN5aiter36smooth_per_token_scaled_quant_kernelIDF16_DB8_Li256ELi8ELb0ELb1ELb0ELi1024EEEvPT0_PfPT_S4_PiS7_iiPKiiiiiiiii,comdat
	.protected	_ZN5aiter36smooth_per_token_scaled_quant_kernelIDF16_DB8_Li256ELi8ELb0ELb1ELb0ELi1024EEEvPT0_PfPT_S4_PiS7_iiPKiiiiiiiii ; -- Begin function _ZN5aiter36smooth_per_token_scaled_quant_kernelIDF16_DB8_Li256ELi8ELb0ELb1ELb0ELi1024EEEvPT0_PfPT_S4_PiS7_iiPKiiiiiiiii
	.globl	_ZN5aiter36smooth_per_token_scaled_quant_kernelIDF16_DB8_Li256ELi8ELb0ELb1ELb0ELi1024EEEvPT0_PfPT_S4_PiS7_iiPKiiiiiiiii
	.p2align	8
	.type	_ZN5aiter36smooth_per_token_scaled_quant_kernelIDF16_DB8_Li256ELi8ELb0ELb1ELb0ELi1024EEEvPT0_PfPT_S4_PiS7_iiPKiiiiiiiii,@function
_ZN5aiter36smooth_per_token_scaled_quant_kernelIDF16_DB8_Li256ELi8ELb0ELb1ELb0ELi1024EEEvPT0_PfPT_S4_PiS7_iiPKiiiiiiiii: ; @_ZN5aiter36smooth_per_token_scaled_quant_kernelIDF16_DB8_Li256ELi8ELb0ELb1ELb0ELi1024EEEvPT0_PfPT_S4_PiS7_iiPKiiiiiiiii
; %bb.0:
	s_load_dwordx2 s[2:3], s[4:5], 0x38
	s_load_dwordx8 s[8:15], s[4:5], 0x40
	s_mov_b64 s[0:1], 0
	s_waitcnt lgkmcnt(0)
	s_cmp_lg_u64 s[2:3], 0
	s_cbranch_scc0 .LBB70_11
; %bb.1:
	s_load_dword s2, s[2:3], 0x0
	s_waitcnt lgkmcnt(0)
	s_mul_i32 s2, s2, s8
	s_andn2_b64 vcc, exec, s[0:1]
	s_cbranch_vccnz .LBB70_3
.LBB70_2:
	s_mul_i32 s2, s10, s9
.LBB70_3:
	s_load_dwordx2 s[8:9], s[4:5], 0x30
	s_abs_i32 s1, s2
	s_waitcnt lgkmcnt(0)
	s_abs_i32 s0, s8
	v_cvt_f32_u32_e32 v1, s0
	s_sub_i32 s7, 0, s0
	s_xor_b32 s3, s2, s8
	s_ashr_i32 s3, s3, 31
	v_rcp_iflag_f32_e32 v1, v1
	v_mul_f32_e32 v1, 0x4f7ffffe, v1
	v_cvt_u32_f32_e32 v1, v1
	v_readfirstlane_b32 s15, v1
	s_mul_i32 s7, s7, s15
	s_mul_hi_u32 s7, s15, s7
	s_add_i32 s15, s15, s7
	s_mul_hi_u32 s7, s1, s15
	s_mul_i32 s15, s7, s0
	s_sub_i32 s1, s1, s15
	s_add_i32 s16, s7, 1
	s_sub_i32 s15, s1, s0
	s_cmp_ge_u32 s1, s0
	s_cselect_b32 s7, s16, s7
	s_cselect_b32 s1, s15, s1
	s_add_i32 s15, s7, 1
	s_cmp_ge_u32 s1, s0
	s_cselect_b32 s0, s15, s7
	s_xor_b32 s0, s0, s3
	s_sub_i32 s7, s0, s3
	s_mul_i32 s0, s7, s8
	s_sub_i32 s2, s2, s0
	s_cmp_lt_u32 s6, s2
	s_cselect_b64 s[0:1], -1, 0
	s_add_i32 s8, s7, 1
	s_cmp_ge_u32 s6, s2
	s_cbranch_scc0 .LBB70_5
; %bb.4:
	s_mul_i32 s3, s2, s8
	s_sub_i32 s2, s6, s2
	s_mul_i32 s2, s2, s7
	s_add_i32 s34, s2, s3
	s_cbranch_execz .LBB70_6
	s_branch .LBB70_7
.LBB70_5:
                                        ; implicit-def: $sgpr34
.LBB70_6:
	s_mul_i32 s34, s8, s6
.LBB70_7:
	v_cndmask_b32_e64 v1, 0, 1, s[0:1]
	v_readfirstlane_b32 s0, v1
	s_add_i32 s8, s7, s0
	s_cmp_lt_i32 s8, 1
	s_cbranch_scc1 .LBB70_35
; %bb.8:
	s_load_dwordx2 s[0:1], s[4:5], 0x20
	s_ashr_i32 s35, s34, 31
	s_lshl_b64 s[2:3], s[34:35], 2
	v_and_b32_e32 v1, 63, v0
	s_mov_b32 s27, 0x20000
	s_waitcnt lgkmcnt(0)
	s_add_u32 s24, s0, s2
	s_addc_u32 s0, s1, s3
	s_lshl_b32 s26, s8, 2
	s_and_b32 s25, s0, 0xffff
	v_lshlrev_b32_e32 v22, 2, v1
	buffer_load_dword v17, v22, s[24:27], 0 offen
	v_cmp_eq_u32_e32 vcc, 63, v1
	v_lshrrev_b32_e32 v1, 4, v0
	v_and_b32_e32 v19, 60, v1
	v_and_b32_e32 v1, 3, v0
	s_abs_i32 s33, s10
	v_lshlrev_b32_e32 v20, 2, v1
	v_cvt_f32_u32_e32 v1, s33
	s_add_i32 s2, s9, 7
	s_ashr_i32 s3, s2, 31
	s_lshr_b32 s3, s3, 29
	v_rcp_iflag_f32_e32 v1, v1
	s_add_i32 s2, s2, s3
	s_ashr_i32 s2, s2, 3
	v_lshlrev_b32_e32 v16, 4, v0
	v_lshlrev_b32_e32 v18, 5, v0
	v_cmp_eq_u32_e64 s[0:1], 0, v0
	v_cmp_gt_u32_e64 s[2:3], s2, v0
	v_lshlrev_b32_e32 v21, 3, v0
	v_mul_f32_e32 v0, 0x4f7ffffe, v1
	s_load_dwordx8 s[16:23], s[4:5], 0x0
	s_add_i32 s4, s9, 3
	v_cvt_u32_f32_e32 v0, v0
	s_ashr_i32 s5, s4, 31
	s_lshr_b32 s5, s5, 30
	s_add_i32 s4, s4, s5
	s_and_b32 s38, s4, -4
	s_sub_i32 s4, 0, s33
	v_readfirstlane_b32 s41, v0
	s_mul_i32 s4, s4, s41
	s_mul_hi_u32 s4, s41, s4
	s_lshl_b32 s6, s9, 1
	s_lshl_b32 s30, s9, 2
	s_ashr_i32 s40, s10, 31
	s_add_i32 s41, s41, s4
	s_mov_b32 s15, s9
	s_waitcnt vmcnt(0) lgkmcnt(0)
	s_barrier
	v_readlane_b32 s28, v17, 0
	s_cmp_lt_i32 s28, 0
	s_cbranch_scc1 .LBB70_12
; %bb.9:
	s_abs_i32 s4, s34
	s_mul_hi_u32 s5, s4, s41
	s_mul_i32 s27, s5, s33
	s_sub_i32 s4, s4, s27
	s_xor_b32 s7, s35, s40
	s_add_i32 s27, s5, 1
	s_sub_i32 s29, s4, s33
	s_cmp_ge_u32 s4, s33
	s_cselect_b32 s5, s27, s5
	s_cselect_b32 s4, s29, s4
	s_add_i32 s27, s5, 1
	s_cmp_ge_u32 s4, s33
	s_cselect_b32 s4, s27, s5
	s_xor_b32 s4, s4, s7
	s_sub_i32 s27, s4, s7
	s_mul_i32 s4, s27, s10
	s_sub_i32 s36, s34, s4
	s_mul_i32 s4, s36, s12
	s_mul_i32 s5, s27, s11
	s_add_i32 s35, s4, s5
	s_cmp_eq_u32 s35, -1
	s_cbranch_scc1 .LBB70_13
; %bb.10:
	s_mul_hi_i32 s5, s35, s15
	s_mul_i32 s4, s35, s15
	s_lshl_b64 s[4:5], s[4:5], 1
	s_add_u32 s4, s20, s4
	s_addc_u32 s5, s21, s5
	s_and_b32 s5, s5, 0xffff
	s_mov_b32 s7, 0x20000
	buffer_load_dwordx4 v[4:7], v16, s[4:7], 0 offen
	s_waitcnt vmcnt(0)
	v_cvt_f32_f16_e32 v0, v4
	v_cvt_f32_f16_sdwa v1, v4 dst_sel:DWORD dst_unused:UNUSED_PAD src0_sel:WORD_1
	v_cvt_f32_f16_e32 v2, v5
	v_cvt_f32_f16_sdwa v3, v5 dst_sel:DWORD dst_unused:UNUSED_PAD src0_sel:WORD_1
	;; [unrolled: 2-line block ×4, first 2 shown]
	s_branch .LBB70_14
.LBB70_11:
                                        ; implicit-def: $sgpr2
	s_branch .LBB70_2
.LBB70_12:
	s_mov_b32 s35, -1
                                        ; implicit-def: $vgpr0_vgpr1_vgpr2_vgpr3_vgpr4_vgpr5_vgpr6_vgpr7
	s_cmp_eq_u32 s8, 1
	s_mov_b32 s42, 1
	s_cbranch_scc0 .LBB70_21
	s_branch .LBB70_35
.LBB70_13:
                                        ; implicit-def: $vgpr0_vgpr1_vgpr2_vgpr3_vgpr4_vgpr5_vgpr6_vgpr7
.LBB70_14:
	s_mul_i32 s4, s28, s9
	s_ashr_i32 s5, s4, 31
	s_lshl_b64 s[4:5], s[4:5], 2
	s_add_u32 s28, s22, s4
	s_addc_u32 s4, s23, s5
	s_and_b32 s29, s4, 0xffff
	s_mov_b32 s31, 0x20000
	buffer_load_dwordx4 v[8:11], v18, s[28:31], 0 offen
	buffer_load_dwordx4 v[24:27], v18, s[28:31], 16 offen
	s_mov_b32 s4, 0x2edbe6ff
	s_waitcnt vmcnt(1)
	v_pk_mul_f32 v[14:15], v[0:1], v[8:9]
	v_pk_mul_f32 v[12:13], v[2:3], v[10:11]
	v_max3_f32 v23, |v14|, s4, |v15|
	s_waitcnt vmcnt(0)
	v_pk_mul_f32 v[10:11], v[4:5], v[24:25]
	v_max3_f32 v23, v23, |v12|, |v13|
	v_pk_mul_f32 v[8:9], v[6:7], v[26:27]
	v_max3_f32 v23, v23, |v10|, |v11|
	v_max3_f32 v23, v23, |v8|, |v9|
	s_nop 1
	v_mov_b32_dpp v24, v23 quad_perm:[1,0,3,2] row_mask:0xf bank_mask:0xf
	v_cmp_gt_f32_e64 s[4:5], v23, v24
	v_cndmask_b32_e64 v23, v24, v23, s[4:5]
	s_nop 1
	v_mov_b32_dpp v24, v23 quad_perm:[2,3,0,1] row_mask:0xf bank_mask:0xf
	v_cmp_gt_f32_e64 s[4:5], v23, v24
	v_cndmask_b32_e64 v23, v24, v23, s[4:5]
	s_nop 1
	v_mov_b32_dpp v24, v23 row_half_mirror row_mask:0xf bank_mask:0xf
	v_cmp_gt_f32_e64 s[4:5], v23, v24
	v_cndmask_b32_e64 v23, v24, v23, s[4:5]
	s_nop 1
	v_mov_b32_dpp v24, v23 row_mirror row_mask:0xf bank_mask:0xf
	v_cmp_gt_f32_e64 s[4:5], v23, v24
	v_cndmask_b32_e64 v23, v24, v23, s[4:5]
	s_nop 1
	v_mov_b32_dpp v24, v23 row_bcast:15 row_mask:0xf bank_mask:0xf
	v_cmp_gt_f32_e64 s[4:5], v23, v24
	v_cndmask_b32_e64 v23, v24, v23, s[4:5]
	s_nop 1
	v_mov_b32_dpp v24, v23 row_bcast:31 row_mask:0xf bank_mask:0xf
	s_and_saveexec_b64 s[28:29], vcc
	s_cbranch_execz .LBB70_16
; %bb.15:
	v_cmp_gt_f32_e64 s[4:5], v23, v24
	v_cndmask_b32_e64 v23, v24, v23, s[4:5]
	ds_write_b32 v19, v23
.LBB70_16:
	s_or_b64 exec, exec, s[28:29]
	s_waitcnt lgkmcnt(0)
	s_barrier
	ds_read_b32 v23, v20
	s_mul_i32 s27, s27, s13
	s_waitcnt lgkmcnt(0)
	v_mov_b32_dpp v24, v23 quad_perm:[1,0,3,2] row_mask:0xf bank_mask:0xf
	v_cmp_gt_f32_e64 s[4:5], v23, v24
	v_cndmask_b32_e64 v23, v24, v23, s[4:5]
	s_nop 1
	v_mov_b32_dpp v24, v23 quad_perm:[2,3,0,1] row_mask:0xf bank_mask:0xf
	v_cmp_gt_f32_e64 s[4:5], v23, v24
	v_cndmask_b32_e64 v23, v24, v23, s[4:5]
	s_mul_i32 s4, s36, s14
	v_mul_f32_e32 v23, 0x3b124925, v23
	s_add_i32 s28, s4, s27
	s_and_saveexec_b64 s[4:5], s[0:1]
	s_cbranch_execz .LBB70_18
; %bb.17:
	s_ashr_i32 s29, s28, 31
	s_lshl_b64 s[36:37], s[28:29], 2
	s_add_u32 s36, s18, s36
	s_addc_u32 s37, s19, s37
	v_mov_b32_e32 v24, 0
	global_store_dword v24, v23, s[36:37]
.LBB70_18:
	s_or_b64 exec, exec, s[4:5]
	s_and_saveexec_b64 s[4:5], s[2:3]
	s_cbranch_execz .LBB70_20
; %bb.19:
	v_rcp_f32_e32 v24, v23
	s_mul_i32 s27, s28, s15
	s_mul_hi_i32 s7, s28, s15
	s_add_u32 s36, s16, s27
	v_mov_b32_e32 v25, v24
	;;#ASMSTART
	v_pk_mul_f32 v[14:15], v[14:15], v[24:25]
	;;#ASMEND
	s_addc_u32 s7, s17, s7
	v_mov_b32_e32 v23, 0xc3e00000
	v_mov_b32_e32 v26, 0x43e00000
	;;#ASMSTART
	v_med3_f32 v14, v14, v23, v26
v_med3_f32 v15, v15, v23, v26
v_cvt_pk_fp8_f32 v27, v14, v15
	;;#ASMEND
	;;#ASMSTART
	v_pk_mul_f32 v[12:13], v[12:13], v[24:25]
	;;#ASMEND
	s_and_b32 s37, s7, 0xffff
	;;#ASMSTART
	v_med3_f32 v12, v12, v23, v26
v_med3_f32 v13, v13, v23, v26
v_cvt_pk_fp8_f32 v14, v12, v13
	;;#ASMEND
	s_mov_b32 s7, 0x5040100
	v_perm_b32 v13, v14, v27, s7
	s_movk_i32 s7, 0xff
	v_and_b32_e32 v12, 0xffffff00, v14
	v_and_b32_sdwa v14, v13, s7 dst_sel:DWORD dst_unused:UNUSED_PAD src0_sel:WORD_1 src1_sel:DWORD
	s_mov_b32 s27, 0xffff
	v_or_b32_sdwa v12, v14, v12 dst_sel:WORD_1 dst_unused:UNUSED_PAD src0_sel:DWORD src1_sel:DWORD
	;;#ASMSTART
	v_pk_mul_f32 v[10:11], v[10:11], v[24:25]
	;;#ASMEND
	v_and_or_b32 v12, v13, s27, v12
	;;#ASMSTART
	v_med3_f32 v10, v10, v23, v26
v_med3_f32 v11, v11, v23, v26
v_cvt_pk_fp8_f32 v13, v10, v11
	;;#ASMEND
	;;#ASMSTART
	v_pk_mul_f32 v[8:9], v[8:9], v[24:25]
	;;#ASMEND
	;;#ASMSTART
	v_med3_f32 v8, v8, v23, v26
v_med3_f32 v9, v9, v23, v26
v_cvt_pk_fp8_f32 v10, v8, v9
	;;#ASMEND
	v_lshlrev_b32_e32 v8, 16, v10
	s_mov_b32 s39, 0x20000
	v_and_or_b32 v13, v13, s27, v8
	buffer_store_dwordx2 v[12:13], v21, s[36:39], 0 offen
	;;#ASMSTART
	s_nop 0
	;;#ASMEND
.LBB70_20:
	s_or_b64 exec, exec, s[4:5]
	s_cmp_eq_u32 s8, 1
	s_mov_b32 s42, 1
	s_cbranch_scc1 .LBB70_35
.LBB70_21:
	v_add_u32_e32 v22, 4, v22
	s_mov_b32 s43, 0xffff
	s_mov_b32 s31, 0x20000
	s_mov_b32 s44, 0x2edbe6ff
	v_mov_b32_e32 v23, 0
	v_mov_b32_e32 v24, 0xc3e00000
	;; [unrolled: 1-line block ×3, first 2 shown]
	s_mov_b32 s45, 0x5040100
	s_movk_i32 s46, 0xff
	s_branch .LBB70_24
.LBB70_22:                              ;   in Loop: Header=BB70_24 Depth=1
	s_or_b64 exec, exec, s[4:5]
.LBB70_23:                              ;   in Loop: Header=BB70_24 Depth=1
	s_add_i32 s42, s42, 1
	s_cmp_eq_u32 s8, s42
	v_add_u32_e32 v22, 4, v22
	s_cbranch_scc1 .LBB70_35
.LBB70_24:                              ; =>This Inner Loop Header: Depth=1
	s_and_b32 s4, s42, 63
	s_cmp_lg_u32 s4, 0
	s_cbranch_scc1 .LBB70_26
; %bb.25:                               ;   in Loop: Header=BB70_24 Depth=1
	s_mov_b32 s27, s31
	buffer_load_dword v17, v22, s[24:27], 0 offen
	s_waitcnt vmcnt(0)
.LBB70_26:                              ;   in Loop: Header=BB70_24 Depth=1
	v_readlane_b32 s28, v17, s4
	s_cmp_lt_i32 s28, 0
	s_cbranch_scc1 .LBB70_23
; %bb.27:                               ;   in Loop: Header=BB70_24 Depth=1
	s_add_i32 s4, s34, s42
	s_abs_i32 s7, s4
	s_mul_hi_u32 s27, s7, s41
	s_mul_i32 s29, s27, s33
	s_ashr_i32 s5, s4, 31
	s_sub_i32 s7, s7, s29
	s_xor_b32 s5, s5, s40
	s_add_i32 s29, s27, 1
	s_sub_i32 s36, s7, s33
	s_cmp_ge_u32 s7, s33
	s_cselect_b32 s27, s29, s27
	s_cselect_b32 s7, s36, s7
	s_add_i32 s29, s27, 1
	s_cmp_ge_u32 s7, s33
	s_cselect_b32 s7, s29, s27
	s_xor_b32 s7, s7, s5
	s_sub_i32 s27, s7, s5
	s_mul_i32 s5, s27, s10
	s_sub_i32 s36, s4, s5
	s_mul_i32 s29, s36, s12
	s_mul_i32 s4, s27, s11
	s_add_i32 s29, s29, s4
	s_cmp_eq_u32 s29, s35
	s_cbranch_scc1 .LBB70_29
; %bb.28:                               ;   in Loop: Header=BB70_24 Depth=1
	s_mul_hi_i32 s5, s29, s15
	s_mul_i32 s4, s29, s15
	s_lshl_b64 s[4:5], s[4:5], 1
	s_add_u32 s4, s20, s4
	s_addc_u32 s5, s21, s5
	s_and_b32 s5, s5, 0xffff
	s_mov_b32 s7, s31
	buffer_load_dwordx4 v[4:7], v16, s[4:7], 0 offen
	s_mov_b32 s35, s29
	s_waitcnt vmcnt(0)
	v_cvt_f32_f16_e32 v0, v4
	v_cvt_f32_f16_sdwa v1, v4 dst_sel:DWORD dst_unused:UNUSED_PAD src0_sel:WORD_1
	v_cvt_f32_f16_e32 v2, v5
	v_cvt_f32_f16_sdwa v3, v5 dst_sel:DWORD dst_unused:UNUSED_PAD src0_sel:WORD_1
	;; [unrolled: 2-line block ×4, first 2 shown]
.LBB70_29:                              ;   in Loop: Header=BB70_24 Depth=1
	s_mul_i32 s4, s28, s9
	s_ashr_i32 s5, s4, 31
	s_lshl_b64 s[4:5], s[4:5], 2
	s_add_u32 s28, s22, s4
	s_addc_u32 s4, s23, s5
	s_and_b32 s29, s4, 0xffff
	buffer_load_dwordx4 v[8:11], v18, s[28:31], 0 offen
	buffer_load_dwordx4 v[26:29], v18, s[28:31], 16 offen
	s_waitcnt vmcnt(1)
	v_pk_mul_f32 v[14:15], v[0:1], v[8:9]
	v_pk_mul_f32 v[12:13], v[2:3], v[10:11]
	s_waitcnt vmcnt(0)
	v_pk_mul_f32 v[10:11], v[4:5], v[26:27]
	v_max3_f32 v26, |v14|, s44, |v15|
	v_max3_f32 v26, v26, |v12|, |v13|
	v_pk_mul_f32 v[8:9], v[6:7], v[28:29]
	v_max3_f32 v26, v26, |v10|, |v11|
	v_max3_f32 v26, v26, |v8|, |v9|
	s_nop 1
	v_mov_b32_dpp v27, v26 quad_perm:[1,0,3,2] row_mask:0xf bank_mask:0xf
	v_cmp_gt_f32_e64 s[4:5], v26, v27
	v_cndmask_b32_e64 v26, v27, v26, s[4:5]
	s_nop 1
	v_mov_b32_dpp v27, v26 quad_perm:[2,3,0,1] row_mask:0xf bank_mask:0xf
	v_cmp_gt_f32_e64 s[4:5], v26, v27
	v_cndmask_b32_e64 v26, v27, v26, s[4:5]
	s_nop 1
	v_mov_b32_dpp v27, v26 row_half_mirror row_mask:0xf bank_mask:0xf
	v_cmp_gt_f32_e64 s[4:5], v26, v27
	v_cndmask_b32_e64 v26, v27, v26, s[4:5]
	s_nop 1
	v_mov_b32_dpp v27, v26 row_mirror row_mask:0xf bank_mask:0xf
	v_cmp_gt_f32_e64 s[4:5], v26, v27
	v_cndmask_b32_e64 v26, v27, v26, s[4:5]
	s_nop 1
	v_mov_b32_dpp v27, v26 row_bcast:15 row_mask:0xf bank_mask:0xf
	v_cmp_gt_f32_e64 s[4:5], v26, v27
	v_cndmask_b32_e64 v26, v27, v26, s[4:5]
	s_nop 1
	v_mov_b32_dpp v27, v26 row_bcast:31 row_mask:0xf bank_mask:0xf
	s_and_saveexec_b64 s[28:29], vcc
	s_cbranch_execz .LBB70_31
; %bb.30:                               ;   in Loop: Header=BB70_24 Depth=1
	v_cmp_gt_f32_e64 s[4:5], v26, v27
	v_cndmask_b32_e64 v26, v27, v26, s[4:5]
	ds_write_b32 v19, v26
.LBB70_31:                              ;   in Loop: Header=BB70_24 Depth=1
	s_or_b64 exec, exec, s[28:29]
	s_waitcnt lgkmcnt(0)
	s_barrier
	ds_read_b32 v26, v20
	s_mul_i32 s27, s27, s13
	s_waitcnt lgkmcnt(0)
	v_mov_b32_dpp v27, v26 quad_perm:[1,0,3,2] row_mask:0xf bank_mask:0xf
	v_cmp_gt_f32_e64 s[4:5], v26, v27
	v_cndmask_b32_e64 v26, v27, v26, s[4:5]
	s_nop 1
	v_mov_b32_dpp v27, v26 quad_perm:[2,3,0,1] row_mask:0xf bank_mask:0xf
	v_cmp_gt_f32_e64 s[4:5], v26, v27
	v_cndmask_b32_e64 v26, v27, v26, s[4:5]
	s_mul_i32 s4, s36, s14
	v_mul_f32_e32 v26, 0x3b124925, v26
	s_add_i32 s28, s4, s27
	s_and_saveexec_b64 s[4:5], s[0:1]
	s_cbranch_execz .LBB70_33
; %bb.32:                               ;   in Loop: Header=BB70_24 Depth=1
	s_ashr_i32 s29, s28, 31
	s_lshl_b64 s[36:37], s[28:29], 2
	s_add_u32 s36, s18, s36
	s_addc_u32 s37, s19, s37
	global_store_dword v23, v26, s[36:37]
.LBB70_33:                              ;   in Loop: Header=BB70_24 Depth=1
	s_or_b64 exec, exec, s[4:5]
	s_and_saveexec_b64 s[4:5], s[2:3]
	s_cbranch_execz .LBB70_22
; %bb.34:                               ;   in Loop: Header=BB70_24 Depth=1
	v_rcp_f32_e32 v26, v26
	s_mul_i32 s27, s28, s15
	s_mul_hi_i32 s7, s28, s15
	s_add_u32 s36, s16, s27
	v_mov_b32_e32 v27, v26
	;;#ASMSTART
	v_pk_mul_f32 v[14:15], v[14:15], v[26:27]
	;;#ASMEND
	;;#ASMSTART
	v_med3_f32 v14, v14, v24, v25
v_med3_f32 v15, v15, v24, v25
v_cvt_pk_fp8_f32 v28, v14, v15
	;;#ASMEND
	;;#ASMSTART
	v_pk_mul_f32 v[12:13], v[12:13], v[26:27]
	;;#ASMEND
	;;#ASMSTART
	v_med3_f32 v12, v12, v24, v25
v_med3_f32 v13, v13, v24, v25
v_cvt_pk_fp8_f32 v14, v12, v13
	;;#ASMEND
	v_perm_b32 v13, v14, v28, s45
	v_and_b32_e32 v12, 0xffffff00, v14
	v_and_b32_sdwa v14, v13, s46 dst_sel:DWORD dst_unused:UNUSED_PAD src0_sel:WORD_1 src1_sel:DWORD
	v_or_b32_sdwa v12, v14, v12 dst_sel:WORD_1 dst_unused:UNUSED_PAD src0_sel:DWORD src1_sel:DWORD
	;;#ASMSTART
	v_pk_mul_f32 v[10:11], v[10:11], v[26:27]
	;;#ASMEND
	v_and_or_b32 v12, v13, s43, v12
	;;#ASMSTART
	v_med3_f32 v10, v10, v24, v25
v_med3_f32 v11, v11, v24, v25
v_cvt_pk_fp8_f32 v13, v10, v11
	;;#ASMEND
	;;#ASMSTART
	v_pk_mul_f32 v[8:9], v[8:9], v[26:27]
	;;#ASMEND
	;;#ASMSTART
	v_med3_f32 v8, v8, v24, v25
v_med3_f32 v9, v9, v24, v25
v_cvt_pk_fp8_f32 v10, v8, v9
	;;#ASMEND
	s_addc_u32 s7, s17, s7
	v_lshlrev_b32_e32 v8, 16, v10
	s_and_b32 s37, s7, 0xffff
	s_mov_b32 s39, s31
	v_and_or_b32 v13, v13, s43, v8
	buffer_store_dwordx2 v[12:13], v21, s[36:39], 0 offen
	;;#ASMSTART
	s_nop 0
	;;#ASMEND
	s_branch .LBB70_22
.LBB70_35:
	s_endpgm
	.section	.rodata,"a",@progbits
	.p2align	6, 0x0
	.amdhsa_kernel _ZN5aiter36smooth_per_token_scaled_quant_kernelIDF16_DB8_Li256ELi8ELb0ELb1ELb0ELi1024EEEvPT0_PfPT_S4_PiS7_iiPKiiiiiiiii
		.amdhsa_group_segment_fixed_size 16
		.amdhsa_private_segment_fixed_size 0
		.amdhsa_kernarg_size 96
		.amdhsa_user_sgpr_count 6
		.amdhsa_user_sgpr_private_segment_buffer 1
		.amdhsa_user_sgpr_dispatch_ptr 0
		.amdhsa_user_sgpr_queue_ptr 0
		.amdhsa_user_sgpr_kernarg_segment_ptr 1
		.amdhsa_user_sgpr_dispatch_id 0
		.amdhsa_user_sgpr_flat_scratch_init 0
		.amdhsa_user_sgpr_kernarg_preload_length 0
		.amdhsa_user_sgpr_kernarg_preload_offset 0
		.amdhsa_user_sgpr_private_segment_size 0
		.amdhsa_uses_dynamic_stack 0
		.amdhsa_system_sgpr_private_segment_wavefront_offset 0
		.amdhsa_system_sgpr_workgroup_id_x 1
		.amdhsa_system_sgpr_workgroup_id_y 0
		.amdhsa_system_sgpr_workgroup_id_z 0
		.amdhsa_system_sgpr_workgroup_info 0
		.amdhsa_system_vgpr_workitem_id 0
		.amdhsa_next_free_vgpr 30
		.amdhsa_next_free_sgpr 47
		.amdhsa_accum_offset 32
		.amdhsa_reserve_vcc 1
		.amdhsa_reserve_flat_scratch 0
		.amdhsa_float_round_mode_32 0
		.amdhsa_float_round_mode_16_64 0
		.amdhsa_float_denorm_mode_32 3
		.amdhsa_float_denorm_mode_16_64 3
		.amdhsa_dx10_clamp 1
		.amdhsa_ieee_mode 1
		.amdhsa_fp16_overflow 0
		.amdhsa_tg_split 0
		.amdhsa_exception_fp_ieee_invalid_op 0
		.amdhsa_exception_fp_denorm_src 0
		.amdhsa_exception_fp_ieee_div_zero 0
		.amdhsa_exception_fp_ieee_overflow 0
		.amdhsa_exception_fp_ieee_underflow 0
		.amdhsa_exception_fp_ieee_inexact 0
		.amdhsa_exception_int_div_zero 0
	.end_amdhsa_kernel
	.section	.text._ZN5aiter36smooth_per_token_scaled_quant_kernelIDF16_DB8_Li256ELi8ELb0ELb1ELb0ELi1024EEEvPT0_PfPT_S4_PiS7_iiPKiiiiiiiii,"axG",@progbits,_ZN5aiter36smooth_per_token_scaled_quant_kernelIDF16_DB8_Li256ELi8ELb0ELb1ELb0ELi1024EEEvPT0_PfPT_S4_PiS7_iiPKiiiiiiiii,comdat
.Lfunc_end70:
	.size	_ZN5aiter36smooth_per_token_scaled_quant_kernelIDF16_DB8_Li256ELi8ELb0ELb1ELb0ELi1024EEEvPT0_PfPT_S4_PiS7_iiPKiiiiiiiii, .Lfunc_end70-_ZN5aiter36smooth_per_token_scaled_quant_kernelIDF16_DB8_Li256ELi8ELb0ELb1ELb0ELi1024EEEvPT0_PfPT_S4_PiS7_iiPKiiiiiiiii
                                        ; -- End function
	.section	.AMDGPU.csdata,"",@progbits
; Kernel info:
; codeLenInByte = 2464
; NumSgprs: 51
; NumVgprs: 30
; NumAgprs: 0
; TotalNumVgprs: 30
; ScratchSize: 0
; MemoryBound: 0
; FloatMode: 240
; IeeeMode: 1
; LDSByteSize: 16 bytes/workgroup (compile time only)
; SGPRBlocks: 6
; VGPRBlocks: 3
; NumSGPRsForWavesPerEU: 51
; NumVGPRsForWavesPerEU: 30
; AccumOffset: 32
; Occupancy: 8
; WaveLimiterHint : 0
; COMPUTE_PGM_RSRC2:SCRATCH_EN: 0
; COMPUTE_PGM_RSRC2:USER_SGPR: 6
; COMPUTE_PGM_RSRC2:TRAP_HANDLER: 0
; COMPUTE_PGM_RSRC2:TGID_X_EN: 1
; COMPUTE_PGM_RSRC2:TGID_Y_EN: 0
; COMPUTE_PGM_RSRC2:TGID_Z_EN: 0
; COMPUTE_PGM_RSRC2:TIDIG_COMP_CNT: 0
; COMPUTE_PGM_RSRC3_GFX90A:ACCUM_OFFSET: 7
; COMPUTE_PGM_RSRC3_GFX90A:TG_SPLIT: 0
	.section	.text._ZN5aiter36smooth_per_token_scaled_quant_kernelItDB8_Li256ELi8ELb0ELb1ELb0ELi1024EEEvPT0_PfPT_S4_PiS7_iiPKiiiiiiiii,"axG",@progbits,_ZN5aiter36smooth_per_token_scaled_quant_kernelItDB8_Li256ELi8ELb0ELb1ELb0ELi1024EEEvPT0_PfPT_S4_PiS7_iiPKiiiiiiiii,comdat
	.protected	_ZN5aiter36smooth_per_token_scaled_quant_kernelItDB8_Li256ELi8ELb0ELb1ELb0ELi1024EEEvPT0_PfPT_S4_PiS7_iiPKiiiiiiiii ; -- Begin function _ZN5aiter36smooth_per_token_scaled_quant_kernelItDB8_Li256ELi8ELb0ELb1ELb0ELi1024EEEvPT0_PfPT_S4_PiS7_iiPKiiiiiiiii
	.globl	_ZN5aiter36smooth_per_token_scaled_quant_kernelItDB8_Li256ELi8ELb0ELb1ELb0ELi1024EEEvPT0_PfPT_S4_PiS7_iiPKiiiiiiiii
	.p2align	8
	.type	_ZN5aiter36smooth_per_token_scaled_quant_kernelItDB8_Li256ELi8ELb0ELb1ELb0ELi1024EEEvPT0_PfPT_S4_PiS7_iiPKiiiiiiiii,@function
_ZN5aiter36smooth_per_token_scaled_quant_kernelItDB8_Li256ELi8ELb0ELb1ELb0ELi1024EEEvPT0_PfPT_S4_PiS7_iiPKiiiiiiiii: ; @_ZN5aiter36smooth_per_token_scaled_quant_kernelItDB8_Li256ELi8ELb0ELb1ELb0ELi1024EEEvPT0_PfPT_S4_PiS7_iiPKiiiiiiiii
; %bb.0:
	s_load_dwordx2 s[2:3], s[4:5], 0x38
	s_load_dwordx8 s[8:15], s[4:5], 0x40
	s_mov_b64 s[0:1], 0
	s_waitcnt lgkmcnt(0)
	s_cmp_lg_u64 s[2:3], 0
	s_cbranch_scc0 .LBB71_11
; %bb.1:
	s_load_dword s2, s[2:3], 0x0
	s_waitcnt lgkmcnt(0)
	s_mul_i32 s2, s2, s8
	s_andn2_b64 vcc, exec, s[0:1]
	s_cbranch_vccnz .LBB71_3
.LBB71_2:
	s_mul_i32 s2, s10, s9
.LBB71_3:
	s_load_dwordx2 s[8:9], s[4:5], 0x30
	s_abs_i32 s1, s2
	s_waitcnt lgkmcnt(0)
	s_abs_i32 s0, s8
	v_cvt_f32_u32_e32 v1, s0
	s_sub_i32 s7, 0, s0
	s_xor_b32 s3, s2, s8
	s_ashr_i32 s3, s3, 31
	v_rcp_iflag_f32_e32 v1, v1
	v_mul_f32_e32 v1, 0x4f7ffffe, v1
	v_cvt_u32_f32_e32 v1, v1
	v_readfirstlane_b32 s15, v1
	s_mul_i32 s7, s7, s15
	s_mul_hi_u32 s7, s15, s7
	s_add_i32 s15, s15, s7
	s_mul_hi_u32 s7, s1, s15
	s_mul_i32 s15, s7, s0
	s_sub_i32 s1, s1, s15
	s_add_i32 s16, s7, 1
	s_sub_i32 s15, s1, s0
	s_cmp_ge_u32 s1, s0
	s_cselect_b32 s7, s16, s7
	s_cselect_b32 s1, s15, s1
	s_add_i32 s15, s7, 1
	s_cmp_ge_u32 s1, s0
	s_cselect_b32 s0, s15, s7
	s_xor_b32 s0, s0, s3
	s_sub_i32 s7, s0, s3
	s_mul_i32 s0, s7, s8
	s_sub_i32 s2, s2, s0
	s_cmp_lt_u32 s6, s2
	s_cselect_b64 s[0:1], -1, 0
	s_add_i32 s8, s7, 1
	s_cmp_ge_u32 s6, s2
	s_cbranch_scc0 .LBB71_5
; %bb.4:
	s_mul_i32 s3, s2, s8
	s_sub_i32 s2, s6, s2
	s_mul_i32 s2, s2, s7
	s_add_i32 s34, s2, s3
	s_cbranch_execz .LBB71_6
	s_branch .LBB71_7
.LBB71_5:
                                        ; implicit-def: $sgpr34
.LBB71_6:
	s_mul_i32 s34, s8, s6
.LBB71_7:
	v_cndmask_b32_e64 v1, 0, 1, s[0:1]
	v_readfirstlane_b32 s0, v1
	s_add_i32 s8, s7, s0
	s_cmp_lt_i32 s8, 1
	s_cbranch_scc1 .LBB71_35
; %bb.8:
	s_load_dwordx2 s[0:1], s[4:5], 0x20
	s_ashr_i32 s35, s34, 31
	s_lshl_b64 s[2:3], s[34:35], 2
	v_and_b32_e32 v1, 63, v0
	s_mov_b32 s27, 0x20000
	s_waitcnt lgkmcnt(0)
	s_add_u32 s24, s0, s2
	s_addc_u32 s0, s1, s3
	s_lshl_b32 s26, s8, 2
	s_and_b32 s25, s0, 0xffff
	v_lshlrev_b32_e32 v22, 2, v1
	buffer_load_dword v17, v22, s[24:27], 0 offen
	v_cmp_eq_u32_e32 vcc, 63, v1
	v_lshrrev_b32_e32 v1, 4, v0
	v_and_b32_e32 v19, 60, v1
	v_and_b32_e32 v1, 3, v0
	s_abs_i32 s33, s10
	v_lshlrev_b32_e32 v20, 2, v1
	v_cvt_f32_u32_e32 v1, s33
	s_add_i32 s2, s9, 7
	s_ashr_i32 s3, s2, 31
	s_lshr_b32 s3, s3, 29
	v_rcp_iflag_f32_e32 v1, v1
	s_add_i32 s2, s2, s3
	s_ashr_i32 s2, s2, 3
	v_lshlrev_b32_e32 v16, 4, v0
	v_lshlrev_b32_e32 v18, 5, v0
	v_cmp_eq_u32_e64 s[0:1], 0, v0
	v_cmp_gt_u32_e64 s[2:3], s2, v0
	v_lshlrev_b32_e32 v21, 3, v0
	v_mul_f32_e32 v0, 0x4f7ffffe, v1
	s_load_dwordx8 s[16:23], s[4:5], 0x0
	s_add_i32 s4, s9, 3
	v_cvt_u32_f32_e32 v0, v0
	s_ashr_i32 s5, s4, 31
	s_lshr_b32 s5, s5, 30
	s_add_i32 s4, s4, s5
	s_and_b32 s38, s4, -4
	s_sub_i32 s4, 0, s33
	v_readfirstlane_b32 s41, v0
	s_mul_i32 s4, s4, s41
	s_mul_hi_u32 s4, s41, s4
	s_lshl_b32 s6, s9, 1
	s_lshl_b32 s30, s9, 2
	s_ashr_i32 s40, s10, 31
	s_add_i32 s41, s41, s4
	s_mov_b32 s15, s9
	s_waitcnt vmcnt(0) lgkmcnt(0)
	s_barrier
	v_readlane_b32 s28, v17, 0
	s_cmp_lt_i32 s28, 0
	s_cbranch_scc1 .LBB71_12
; %bb.9:
	s_abs_i32 s4, s34
	s_mul_hi_u32 s5, s4, s41
	s_mul_i32 s27, s5, s33
	s_sub_i32 s4, s4, s27
	s_xor_b32 s7, s35, s40
	s_add_i32 s27, s5, 1
	s_sub_i32 s29, s4, s33
	s_cmp_ge_u32 s4, s33
	s_cselect_b32 s5, s27, s5
	s_cselect_b32 s4, s29, s4
	s_add_i32 s27, s5, 1
	s_cmp_ge_u32 s4, s33
	s_cselect_b32 s4, s27, s5
	s_xor_b32 s4, s4, s7
	s_sub_i32 s27, s4, s7
	s_mul_i32 s4, s27, s10
	s_sub_i32 s36, s34, s4
	s_mul_i32 s4, s36, s12
	s_mul_i32 s5, s27, s11
	s_add_i32 s35, s4, s5
	s_cmp_eq_u32 s35, -1
	s_cbranch_scc1 .LBB71_13
; %bb.10:
	s_mul_hi_i32 s5, s35, s15
	s_mul_i32 s4, s35, s15
	s_lshl_b64 s[4:5], s[4:5], 1
	s_add_u32 s4, s20, s4
	s_addc_u32 s5, s21, s5
	s_and_b32 s5, s5, 0xffff
	s_mov_b32 s7, 0x20000
	buffer_load_dwordx4 v[6:9], v16, s[4:7], 0 offen
	s_waitcnt vmcnt(0)
	v_cvt_f32_u32_sdwa v1, v6 dst_sel:DWORD dst_unused:UNUSED_PAD src0_sel:WORD_1
	v_cvt_f32_u32_sdwa v0, v6 dst_sel:DWORD dst_unused:UNUSED_PAD src0_sel:WORD_0
	v_cvt_f32_u32_sdwa v3, v7 dst_sel:DWORD dst_unused:UNUSED_PAD src0_sel:WORD_1
	v_cvt_f32_u32_sdwa v2, v7 dst_sel:DWORD dst_unused:UNUSED_PAD src0_sel:WORD_0
	;; [unrolled: 2-line block ×4, first 2 shown]
	s_branch .LBB71_14
.LBB71_11:
                                        ; implicit-def: $sgpr2
	s_branch .LBB71_2
.LBB71_12:
	s_mov_b32 s35, -1
                                        ; implicit-def: $vgpr0_vgpr1_vgpr2_vgpr3_vgpr4_vgpr5_vgpr6_vgpr7
	s_cmp_eq_u32 s8, 1
	s_mov_b32 s42, 1
	s_cbranch_scc0 .LBB71_21
	s_branch .LBB71_35
.LBB71_13:
                                        ; implicit-def: $vgpr0_vgpr1_vgpr2_vgpr3_vgpr4_vgpr5_vgpr6_vgpr7
.LBB71_14:
	s_mul_i32 s4, s28, s9
	s_ashr_i32 s5, s4, 31
	s_lshl_b64 s[4:5], s[4:5], 2
	s_add_u32 s28, s22, s4
	s_addc_u32 s4, s23, s5
	s_and_b32 s29, s4, 0xffff
	s_mov_b32 s31, 0x20000
	buffer_load_dwordx4 v[8:11], v18, s[28:31], 0 offen
	buffer_load_dwordx4 v[24:27], v18, s[28:31], 16 offen
	s_mov_b32 s4, 0x2edbe6ff
	s_waitcnt vmcnt(1)
	v_pk_mul_f32 v[14:15], v[0:1], v[8:9]
	v_pk_mul_f32 v[12:13], v[2:3], v[10:11]
	v_max3_f32 v23, |v14|, s4, |v15|
	s_waitcnt vmcnt(0)
	v_pk_mul_f32 v[10:11], v[4:5], v[24:25]
	v_max3_f32 v23, v23, |v12|, |v13|
	v_pk_mul_f32 v[8:9], v[6:7], v[26:27]
	v_max3_f32 v23, v23, |v10|, |v11|
	v_max3_f32 v23, v23, |v8|, |v9|
	s_nop 1
	v_mov_b32_dpp v24, v23 quad_perm:[1,0,3,2] row_mask:0xf bank_mask:0xf
	v_cmp_gt_f32_e64 s[4:5], v23, v24
	v_cndmask_b32_e64 v23, v24, v23, s[4:5]
	s_nop 1
	v_mov_b32_dpp v24, v23 quad_perm:[2,3,0,1] row_mask:0xf bank_mask:0xf
	v_cmp_gt_f32_e64 s[4:5], v23, v24
	v_cndmask_b32_e64 v23, v24, v23, s[4:5]
	s_nop 1
	v_mov_b32_dpp v24, v23 row_half_mirror row_mask:0xf bank_mask:0xf
	v_cmp_gt_f32_e64 s[4:5], v23, v24
	v_cndmask_b32_e64 v23, v24, v23, s[4:5]
	s_nop 1
	v_mov_b32_dpp v24, v23 row_mirror row_mask:0xf bank_mask:0xf
	v_cmp_gt_f32_e64 s[4:5], v23, v24
	v_cndmask_b32_e64 v23, v24, v23, s[4:5]
	s_nop 1
	v_mov_b32_dpp v24, v23 row_bcast:15 row_mask:0xf bank_mask:0xf
	v_cmp_gt_f32_e64 s[4:5], v23, v24
	v_cndmask_b32_e64 v23, v24, v23, s[4:5]
	s_nop 1
	v_mov_b32_dpp v24, v23 row_bcast:31 row_mask:0xf bank_mask:0xf
	s_and_saveexec_b64 s[28:29], vcc
	s_cbranch_execz .LBB71_16
; %bb.15:
	v_cmp_gt_f32_e64 s[4:5], v23, v24
	v_cndmask_b32_e64 v23, v24, v23, s[4:5]
	ds_write_b32 v19, v23
.LBB71_16:
	s_or_b64 exec, exec, s[28:29]
	s_waitcnt lgkmcnt(0)
	s_barrier
	ds_read_b32 v23, v20
	s_mul_i32 s27, s27, s13
	s_waitcnt lgkmcnt(0)
	v_mov_b32_dpp v24, v23 quad_perm:[1,0,3,2] row_mask:0xf bank_mask:0xf
	v_cmp_gt_f32_e64 s[4:5], v23, v24
	v_cndmask_b32_e64 v23, v24, v23, s[4:5]
	s_nop 1
	v_mov_b32_dpp v24, v23 quad_perm:[2,3,0,1] row_mask:0xf bank_mask:0xf
	v_cmp_gt_f32_e64 s[4:5], v23, v24
	v_cndmask_b32_e64 v23, v24, v23, s[4:5]
	s_mul_i32 s4, s36, s14
	v_mul_f32_e32 v23, 0x3b124925, v23
	s_add_i32 s28, s4, s27
	s_and_saveexec_b64 s[4:5], s[0:1]
	s_cbranch_execz .LBB71_18
; %bb.17:
	s_ashr_i32 s29, s28, 31
	s_lshl_b64 s[36:37], s[28:29], 2
	s_add_u32 s36, s18, s36
	s_addc_u32 s37, s19, s37
	v_mov_b32_e32 v24, 0
	global_store_dword v24, v23, s[36:37]
.LBB71_18:
	s_or_b64 exec, exec, s[4:5]
	s_and_saveexec_b64 s[4:5], s[2:3]
	s_cbranch_execz .LBB71_20
; %bb.19:
	v_rcp_f32_e32 v24, v23
	s_mul_i32 s27, s28, s15
	s_mul_hi_i32 s7, s28, s15
	s_add_u32 s36, s16, s27
	v_mov_b32_e32 v25, v24
	;;#ASMSTART
	v_pk_mul_f32 v[14:15], v[14:15], v[24:25]
	;;#ASMEND
	s_addc_u32 s7, s17, s7
	v_mov_b32_e32 v23, 0xc3e00000
	v_mov_b32_e32 v26, 0x43e00000
	;;#ASMSTART
	v_med3_f32 v14, v14, v23, v26
v_med3_f32 v15, v15, v23, v26
v_cvt_pk_fp8_f32 v27, v14, v15
	;;#ASMEND
	;;#ASMSTART
	v_pk_mul_f32 v[12:13], v[12:13], v[24:25]
	;;#ASMEND
	s_and_b32 s37, s7, 0xffff
	;;#ASMSTART
	v_med3_f32 v12, v12, v23, v26
v_med3_f32 v13, v13, v23, v26
v_cvt_pk_fp8_f32 v14, v12, v13
	;;#ASMEND
	s_mov_b32 s7, 0x5040100
	v_perm_b32 v13, v14, v27, s7
	s_movk_i32 s7, 0xff
	v_and_b32_e32 v12, 0xffffff00, v14
	v_and_b32_sdwa v14, v13, s7 dst_sel:DWORD dst_unused:UNUSED_PAD src0_sel:WORD_1 src1_sel:DWORD
	s_mov_b32 s27, 0xffff
	v_or_b32_sdwa v12, v14, v12 dst_sel:WORD_1 dst_unused:UNUSED_PAD src0_sel:DWORD src1_sel:DWORD
	;;#ASMSTART
	v_pk_mul_f32 v[10:11], v[10:11], v[24:25]
	;;#ASMEND
	v_and_or_b32 v12, v13, s27, v12
	;;#ASMSTART
	v_med3_f32 v10, v10, v23, v26
v_med3_f32 v11, v11, v23, v26
v_cvt_pk_fp8_f32 v13, v10, v11
	;;#ASMEND
	;;#ASMSTART
	v_pk_mul_f32 v[8:9], v[8:9], v[24:25]
	;;#ASMEND
	;;#ASMSTART
	v_med3_f32 v8, v8, v23, v26
v_med3_f32 v9, v9, v23, v26
v_cvt_pk_fp8_f32 v10, v8, v9
	;;#ASMEND
	v_lshlrev_b32_e32 v8, 16, v10
	s_mov_b32 s39, 0x20000
	v_and_or_b32 v13, v13, s27, v8
	buffer_store_dwordx2 v[12:13], v21, s[36:39], 0 offen
	;;#ASMSTART
	s_nop 0
	;;#ASMEND
.LBB71_20:
	s_or_b64 exec, exec, s[4:5]
	s_cmp_eq_u32 s8, 1
	s_mov_b32 s42, 1
	s_cbranch_scc1 .LBB71_35
.LBB71_21:
	v_add_u32_e32 v22, 4, v22
	s_mov_b32 s43, 0xffff
	s_mov_b32 s31, 0x20000
	;; [unrolled: 1-line block ×3, first 2 shown]
	v_mov_b32_e32 v23, 0
	v_mov_b32_e32 v24, 0xc3e00000
	;; [unrolled: 1-line block ×3, first 2 shown]
	s_mov_b32 s45, 0x5040100
	s_movk_i32 s46, 0xff
	s_branch .LBB71_24
.LBB71_22:                              ;   in Loop: Header=BB71_24 Depth=1
	s_or_b64 exec, exec, s[4:5]
.LBB71_23:                              ;   in Loop: Header=BB71_24 Depth=1
	s_add_i32 s42, s42, 1
	s_cmp_eq_u32 s8, s42
	v_add_u32_e32 v22, 4, v22
	s_cbranch_scc1 .LBB71_35
.LBB71_24:                              ; =>This Inner Loop Header: Depth=1
	s_and_b32 s4, s42, 63
	s_cmp_lg_u32 s4, 0
	s_cbranch_scc1 .LBB71_26
; %bb.25:                               ;   in Loop: Header=BB71_24 Depth=1
	s_mov_b32 s27, s31
	buffer_load_dword v17, v22, s[24:27], 0 offen
	s_waitcnt vmcnt(0)
.LBB71_26:                              ;   in Loop: Header=BB71_24 Depth=1
	v_readlane_b32 s28, v17, s4
	s_cmp_lt_i32 s28, 0
	s_cbranch_scc1 .LBB71_23
; %bb.27:                               ;   in Loop: Header=BB71_24 Depth=1
	s_add_i32 s4, s34, s42
	s_abs_i32 s7, s4
	s_mul_hi_u32 s27, s7, s41
	s_mul_i32 s29, s27, s33
	s_ashr_i32 s5, s4, 31
	s_sub_i32 s7, s7, s29
	s_xor_b32 s5, s5, s40
	s_add_i32 s29, s27, 1
	s_sub_i32 s36, s7, s33
	s_cmp_ge_u32 s7, s33
	s_cselect_b32 s27, s29, s27
	s_cselect_b32 s7, s36, s7
	s_add_i32 s29, s27, 1
	s_cmp_ge_u32 s7, s33
	s_cselect_b32 s7, s29, s27
	s_xor_b32 s7, s7, s5
	s_sub_i32 s27, s7, s5
	s_mul_i32 s5, s27, s10
	s_sub_i32 s36, s4, s5
	s_mul_i32 s29, s36, s12
	s_mul_i32 s4, s27, s11
	s_add_i32 s29, s29, s4
	s_cmp_eq_u32 s29, s35
	s_cbranch_scc1 .LBB71_29
; %bb.28:                               ;   in Loop: Header=BB71_24 Depth=1
	s_mul_hi_i32 s5, s29, s15
	s_mul_i32 s4, s29, s15
	s_lshl_b64 s[4:5], s[4:5], 1
	s_add_u32 s4, s20, s4
	s_addc_u32 s5, s21, s5
	s_and_b32 s5, s5, 0xffff
	s_mov_b32 s7, s31
	buffer_load_dwordx4 v[6:9], v16, s[4:7], 0 offen
	s_mov_b32 s35, s29
	s_waitcnt vmcnt(0)
	v_cvt_f32_u32_sdwa v1, v6 dst_sel:DWORD dst_unused:UNUSED_PAD src0_sel:WORD_1
	v_cvt_f32_u32_sdwa v0, v6 dst_sel:DWORD dst_unused:UNUSED_PAD src0_sel:WORD_0
	v_cvt_f32_u32_sdwa v3, v7 dst_sel:DWORD dst_unused:UNUSED_PAD src0_sel:WORD_1
	v_cvt_f32_u32_sdwa v2, v7 dst_sel:DWORD dst_unused:UNUSED_PAD src0_sel:WORD_0
	;; [unrolled: 2-line block ×4, first 2 shown]
.LBB71_29:                              ;   in Loop: Header=BB71_24 Depth=1
	s_mul_i32 s4, s28, s9
	s_ashr_i32 s5, s4, 31
	s_lshl_b64 s[4:5], s[4:5], 2
	s_add_u32 s28, s22, s4
	s_addc_u32 s4, s23, s5
	s_and_b32 s29, s4, 0xffff
	buffer_load_dwordx4 v[8:11], v18, s[28:31], 0 offen
	buffer_load_dwordx4 v[26:29], v18, s[28:31], 16 offen
	s_waitcnt vmcnt(1)
	v_pk_mul_f32 v[14:15], v[0:1], v[8:9]
	v_pk_mul_f32 v[12:13], v[2:3], v[10:11]
	s_waitcnt vmcnt(0)
	v_pk_mul_f32 v[10:11], v[4:5], v[26:27]
	v_max3_f32 v26, |v14|, s44, |v15|
	v_max3_f32 v26, v26, |v12|, |v13|
	v_pk_mul_f32 v[8:9], v[6:7], v[28:29]
	v_max3_f32 v26, v26, |v10|, |v11|
	v_max3_f32 v26, v26, |v8|, |v9|
	s_nop 1
	v_mov_b32_dpp v27, v26 quad_perm:[1,0,3,2] row_mask:0xf bank_mask:0xf
	v_cmp_gt_f32_e64 s[4:5], v26, v27
	v_cndmask_b32_e64 v26, v27, v26, s[4:5]
	s_nop 1
	v_mov_b32_dpp v27, v26 quad_perm:[2,3,0,1] row_mask:0xf bank_mask:0xf
	v_cmp_gt_f32_e64 s[4:5], v26, v27
	v_cndmask_b32_e64 v26, v27, v26, s[4:5]
	s_nop 1
	v_mov_b32_dpp v27, v26 row_half_mirror row_mask:0xf bank_mask:0xf
	v_cmp_gt_f32_e64 s[4:5], v26, v27
	v_cndmask_b32_e64 v26, v27, v26, s[4:5]
	s_nop 1
	v_mov_b32_dpp v27, v26 row_mirror row_mask:0xf bank_mask:0xf
	v_cmp_gt_f32_e64 s[4:5], v26, v27
	v_cndmask_b32_e64 v26, v27, v26, s[4:5]
	s_nop 1
	v_mov_b32_dpp v27, v26 row_bcast:15 row_mask:0xf bank_mask:0xf
	v_cmp_gt_f32_e64 s[4:5], v26, v27
	v_cndmask_b32_e64 v26, v27, v26, s[4:5]
	s_nop 1
	v_mov_b32_dpp v27, v26 row_bcast:31 row_mask:0xf bank_mask:0xf
	s_and_saveexec_b64 s[28:29], vcc
	s_cbranch_execz .LBB71_31
; %bb.30:                               ;   in Loop: Header=BB71_24 Depth=1
	v_cmp_gt_f32_e64 s[4:5], v26, v27
	v_cndmask_b32_e64 v26, v27, v26, s[4:5]
	ds_write_b32 v19, v26
.LBB71_31:                              ;   in Loop: Header=BB71_24 Depth=1
	s_or_b64 exec, exec, s[28:29]
	s_waitcnt lgkmcnt(0)
	s_barrier
	ds_read_b32 v26, v20
	s_mul_i32 s27, s27, s13
	s_waitcnt lgkmcnt(0)
	v_mov_b32_dpp v27, v26 quad_perm:[1,0,3,2] row_mask:0xf bank_mask:0xf
	v_cmp_gt_f32_e64 s[4:5], v26, v27
	v_cndmask_b32_e64 v26, v27, v26, s[4:5]
	s_nop 1
	v_mov_b32_dpp v27, v26 quad_perm:[2,3,0,1] row_mask:0xf bank_mask:0xf
	v_cmp_gt_f32_e64 s[4:5], v26, v27
	v_cndmask_b32_e64 v26, v27, v26, s[4:5]
	s_mul_i32 s4, s36, s14
	v_mul_f32_e32 v26, 0x3b124925, v26
	s_add_i32 s28, s4, s27
	s_and_saveexec_b64 s[4:5], s[0:1]
	s_cbranch_execz .LBB71_33
; %bb.32:                               ;   in Loop: Header=BB71_24 Depth=1
	s_ashr_i32 s29, s28, 31
	s_lshl_b64 s[36:37], s[28:29], 2
	s_add_u32 s36, s18, s36
	s_addc_u32 s37, s19, s37
	global_store_dword v23, v26, s[36:37]
.LBB71_33:                              ;   in Loop: Header=BB71_24 Depth=1
	s_or_b64 exec, exec, s[4:5]
	s_and_saveexec_b64 s[4:5], s[2:3]
	s_cbranch_execz .LBB71_22
; %bb.34:                               ;   in Loop: Header=BB71_24 Depth=1
	v_rcp_f32_e32 v26, v26
	s_mul_i32 s27, s28, s15
	s_mul_hi_i32 s7, s28, s15
	s_add_u32 s36, s16, s27
	v_mov_b32_e32 v27, v26
	;;#ASMSTART
	v_pk_mul_f32 v[14:15], v[14:15], v[26:27]
	;;#ASMEND
	;;#ASMSTART
	v_med3_f32 v14, v14, v24, v25
v_med3_f32 v15, v15, v24, v25
v_cvt_pk_fp8_f32 v28, v14, v15
	;;#ASMEND
	;;#ASMSTART
	v_pk_mul_f32 v[12:13], v[12:13], v[26:27]
	;;#ASMEND
	;;#ASMSTART
	v_med3_f32 v12, v12, v24, v25
v_med3_f32 v13, v13, v24, v25
v_cvt_pk_fp8_f32 v14, v12, v13
	;;#ASMEND
	v_perm_b32 v13, v14, v28, s45
	v_and_b32_e32 v12, 0xffffff00, v14
	v_and_b32_sdwa v14, v13, s46 dst_sel:DWORD dst_unused:UNUSED_PAD src0_sel:WORD_1 src1_sel:DWORD
	v_or_b32_sdwa v12, v14, v12 dst_sel:WORD_1 dst_unused:UNUSED_PAD src0_sel:DWORD src1_sel:DWORD
	;;#ASMSTART
	v_pk_mul_f32 v[10:11], v[10:11], v[26:27]
	;;#ASMEND
	v_and_or_b32 v12, v13, s43, v12
	;;#ASMSTART
	v_med3_f32 v10, v10, v24, v25
v_med3_f32 v11, v11, v24, v25
v_cvt_pk_fp8_f32 v13, v10, v11
	;;#ASMEND
	;;#ASMSTART
	v_pk_mul_f32 v[8:9], v[8:9], v[26:27]
	;;#ASMEND
	;;#ASMSTART
	v_med3_f32 v8, v8, v24, v25
v_med3_f32 v9, v9, v24, v25
v_cvt_pk_fp8_f32 v10, v8, v9
	;;#ASMEND
	s_addc_u32 s7, s17, s7
	v_lshlrev_b32_e32 v8, 16, v10
	s_and_b32 s37, s7, 0xffff
	s_mov_b32 s39, s31
	v_and_or_b32 v13, v13, s43, v8
	buffer_store_dwordx2 v[12:13], v21, s[36:39], 0 offen
	;;#ASMSTART
	s_nop 0
	;;#ASMEND
	s_branch .LBB71_22
.LBB71_35:
	s_endpgm
	.section	.rodata,"a",@progbits
	.p2align	6, 0x0
	.amdhsa_kernel _ZN5aiter36smooth_per_token_scaled_quant_kernelItDB8_Li256ELi8ELb0ELb1ELb0ELi1024EEEvPT0_PfPT_S4_PiS7_iiPKiiiiiiiii
		.amdhsa_group_segment_fixed_size 16
		.amdhsa_private_segment_fixed_size 0
		.amdhsa_kernarg_size 96
		.amdhsa_user_sgpr_count 6
		.amdhsa_user_sgpr_private_segment_buffer 1
		.amdhsa_user_sgpr_dispatch_ptr 0
		.amdhsa_user_sgpr_queue_ptr 0
		.amdhsa_user_sgpr_kernarg_segment_ptr 1
		.amdhsa_user_sgpr_dispatch_id 0
		.amdhsa_user_sgpr_flat_scratch_init 0
		.amdhsa_user_sgpr_kernarg_preload_length 0
		.amdhsa_user_sgpr_kernarg_preload_offset 0
		.amdhsa_user_sgpr_private_segment_size 0
		.amdhsa_uses_dynamic_stack 0
		.amdhsa_system_sgpr_private_segment_wavefront_offset 0
		.amdhsa_system_sgpr_workgroup_id_x 1
		.amdhsa_system_sgpr_workgroup_id_y 0
		.amdhsa_system_sgpr_workgroup_id_z 0
		.amdhsa_system_sgpr_workgroup_info 0
		.amdhsa_system_vgpr_workitem_id 0
		.amdhsa_next_free_vgpr 30
		.amdhsa_next_free_sgpr 47
		.amdhsa_accum_offset 32
		.amdhsa_reserve_vcc 1
		.amdhsa_reserve_flat_scratch 0
		.amdhsa_float_round_mode_32 0
		.amdhsa_float_round_mode_16_64 0
		.amdhsa_float_denorm_mode_32 3
		.amdhsa_float_denorm_mode_16_64 3
		.amdhsa_dx10_clamp 1
		.amdhsa_ieee_mode 1
		.amdhsa_fp16_overflow 0
		.amdhsa_tg_split 0
		.amdhsa_exception_fp_ieee_invalid_op 0
		.amdhsa_exception_fp_denorm_src 0
		.amdhsa_exception_fp_ieee_div_zero 0
		.amdhsa_exception_fp_ieee_overflow 0
		.amdhsa_exception_fp_ieee_underflow 0
		.amdhsa_exception_fp_ieee_inexact 0
		.amdhsa_exception_int_div_zero 0
	.end_amdhsa_kernel
	.section	.text._ZN5aiter36smooth_per_token_scaled_quant_kernelItDB8_Li256ELi8ELb0ELb1ELb0ELi1024EEEvPT0_PfPT_S4_PiS7_iiPKiiiiiiiii,"axG",@progbits,_ZN5aiter36smooth_per_token_scaled_quant_kernelItDB8_Li256ELi8ELb0ELb1ELb0ELi1024EEEvPT0_PfPT_S4_PiS7_iiPKiiiiiiiii,comdat
.Lfunc_end71:
	.size	_ZN5aiter36smooth_per_token_scaled_quant_kernelItDB8_Li256ELi8ELb0ELb1ELb0ELi1024EEEvPT0_PfPT_S4_PiS7_iiPKiiiiiiiii, .Lfunc_end71-_ZN5aiter36smooth_per_token_scaled_quant_kernelItDB8_Li256ELi8ELb0ELb1ELb0ELi1024EEEvPT0_PfPT_S4_PiS7_iiPKiiiiiiiii
                                        ; -- End function
	.section	.AMDGPU.csdata,"",@progbits
; Kernel info:
; codeLenInByte = 2496
; NumSgprs: 51
; NumVgprs: 30
; NumAgprs: 0
; TotalNumVgprs: 30
; ScratchSize: 0
; MemoryBound: 0
; FloatMode: 240
; IeeeMode: 1
; LDSByteSize: 16 bytes/workgroup (compile time only)
; SGPRBlocks: 6
; VGPRBlocks: 3
; NumSGPRsForWavesPerEU: 51
; NumVGPRsForWavesPerEU: 30
; AccumOffset: 32
; Occupancy: 8
; WaveLimiterHint : 0
; COMPUTE_PGM_RSRC2:SCRATCH_EN: 0
; COMPUTE_PGM_RSRC2:USER_SGPR: 6
; COMPUTE_PGM_RSRC2:TRAP_HANDLER: 0
; COMPUTE_PGM_RSRC2:TGID_X_EN: 1
; COMPUTE_PGM_RSRC2:TGID_Y_EN: 0
; COMPUTE_PGM_RSRC2:TGID_Z_EN: 0
; COMPUTE_PGM_RSRC2:TIDIG_COMP_CNT: 0
; COMPUTE_PGM_RSRC3_GFX90A:ACCUM_OFFSET: 7
; COMPUTE_PGM_RSRC3_GFX90A:TG_SPLIT: 0
	.section	.text._ZN5aiter36smooth_per_token_scaled_quant_kernelIDF16_DB8_Li256ELi8ELb0ELb0ELb0ELi1024EEEvPT0_PfPT_S4_PiS7_iiPKiiiiiiiii,"axG",@progbits,_ZN5aiter36smooth_per_token_scaled_quant_kernelIDF16_DB8_Li256ELi8ELb0ELb0ELb0ELi1024EEEvPT0_PfPT_S4_PiS7_iiPKiiiiiiiii,comdat
	.protected	_ZN5aiter36smooth_per_token_scaled_quant_kernelIDF16_DB8_Li256ELi8ELb0ELb0ELb0ELi1024EEEvPT0_PfPT_S4_PiS7_iiPKiiiiiiiii ; -- Begin function _ZN5aiter36smooth_per_token_scaled_quant_kernelIDF16_DB8_Li256ELi8ELb0ELb0ELb0ELi1024EEEvPT0_PfPT_S4_PiS7_iiPKiiiiiiiii
	.globl	_ZN5aiter36smooth_per_token_scaled_quant_kernelIDF16_DB8_Li256ELi8ELb0ELb0ELb0ELi1024EEEvPT0_PfPT_S4_PiS7_iiPKiiiiiiiii
	.p2align	8
	.type	_ZN5aiter36smooth_per_token_scaled_quant_kernelIDF16_DB8_Li256ELi8ELb0ELb0ELb0ELi1024EEEvPT0_PfPT_S4_PiS7_iiPKiiiiiiiii,@function
_ZN5aiter36smooth_per_token_scaled_quant_kernelIDF16_DB8_Li256ELi8ELb0ELb0ELb0ELi1024EEEvPT0_PfPT_S4_PiS7_iiPKiiiiiiiii: ; @_ZN5aiter36smooth_per_token_scaled_quant_kernelIDF16_DB8_Li256ELi8ELb0ELb0ELb0ELi1024EEEvPT0_PfPT_S4_PiS7_iiPKiiiiiiiii
; %bb.0:
	s_load_dwordx2 s[2:3], s[4:5], 0x38
	s_load_dwordx8 s[8:15], s[4:5], 0x40
	s_mov_b64 s[0:1], 0
	s_waitcnt lgkmcnt(0)
	s_cmp_lg_u64 s[2:3], 0
	s_cbranch_scc0 .LBB72_19
; %bb.1:
	s_load_dword s2, s[2:3], 0x0
	s_waitcnt lgkmcnt(0)
	s_mul_i32 s2, s2, s8
	s_andn2_b64 vcc, exec, s[0:1]
	s_cbranch_vccnz .LBB72_3
.LBB72_2:
	s_mul_i32 s2, s10, s9
.LBB72_3:
	s_load_dwordx2 s[8:9], s[4:5], 0x30
	s_abs_i32 s1, s2
	s_waitcnt lgkmcnt(0)
	s_abs_i32 s0, s8
	v_cvt_f32_u32_e32 v1, s0
	s_sub_i32 s7, 0, s0
	s_xor_b32 s3, s2, s8
	s_ashr_i32 s3, s3, 31
	v_rcp_iflag_f32_e32 v1, v1
	v_mul_f32_e32 v1, 0x4f7ffffe, v1
	v_cvt_u32_f32_e32 v1, v1
	v_readfirstlane_b32 s15, v1
	s_mul_i32 s7, s7, s15
	s_mul_hi_u32 s7, s15, s7
	s_add_i32 s15, s15, s7
	s_mul_hi_u32 s7, s1, s15
	s_mul_i32 s15, s7, s0
	s_sub_i32 s1, s1, s15
	s_add_i32 s16, s7, 1
	s_sub_i32 s15, s1, s0
	s_cmp_ge_u32 s1, s0
	s_cselect_b32 s7, s16, s7
	s_cselect_b32 s1, s15, s1
	s_add_i32 s15, s7, 1
	s_cmp_ge_u32 s1, s0
	s_cselect_b32 s0, s15, s7
	s_xor_b32 s0, s0, s3
	s_sub_i32 s7, s0, s3
	s_mul_i32 s0, s7, s8
	s_sub_i32 s2, s2, s0
	s_cmp_lt_u32 s6, s2
	s_cselect_b64 s[0:1], -1, 0
	s_add_i32 s8, s7, 1
	s_cmp_ge_u32 s6, s2
	s_cbranch_scc0 .LBB72_5
; %bb.4:
	s_mul_i32 s3, s2, s8
	s_sub_i32 s2, s6, s2
	s_mul_i32 s2, s2, s7
	s_add_i32 s15, s2, s3
	s_cbranch_execz .LBB72_6
	s_branch .LBB72_7
.LBB72_5:
                                        ; implicit-def: $sgpr15
.LBB72_6:
	s_mul_i32 s15, s8, s6
.LBB72_7:
	v_cndmask_b32_e64 v1, 0, 1, s[0:1]
	v_readfirstlane_b32 s0, v1
	s_add_i32 s33, s7, s0
	s_cmp_lt_i32 s33, 1
	s_cbranch_scc1 .LBB72_18
; %bb.8:
	v_and_b32_e32 v1, 63, v0
	v_cmp_eq_u32_e32 vcc, 63, v1
	v_lshrrev_b32_e32 v1, 4, v0
	v_and_b32_e32 v22, 60, v1
	v_and_b32_e32 v1, 3, v0
	s_abs_i32 s36, s10
	v_lshlrev_b32_e32 v23, 2, v1
	v_cvt_f32_u32_e32 v1, s36
	s_load_dwordx8 s[16:23], s[4:5], 0x0
	s_add_i32 s4, s9, 3
	s_add_i32 s2, s9, 7
	v_rcp_iflag_f32_e32 v1, v1
	s_ashr_i32 s5, s4, 31
	s_ashr_i32 s3, s2, 31
	s_lshr_b32 s5, s5, 30
	v_mul_f32_e32 v1, 0x4f7ffffe, v1
	v_cvt_u32_f32_e32 v1, v1
	s_lshr_b32 s3, s3, 29
	s_add_i32 s4, s4, s5
	s_add_i32 s2, s2, s3
	s_and_b32 s30, s4, -4
	s_sub_i32 s4, 0, s36
	v_readfirstlane_b32 s5, v1
	s_ashr_i32 s2, s2, 3
	s_mul_i32 s4, s4, s5
	v_lshlrev_b32_e32 v20, 4, v0
	s_mov_b32 s7, 0x20000
	s_waitcnt lgkmcnt(0)
	s_and_b32 s23, s23, 0xffff
	v_lshlrev_b32_e32 v21, 5, v0
	v_cmp_eq_u32_e64 s[0:1], 0, v0
	v_cmp_gt_u32_e64 s[2:3], s2, v0
	v_lshlrev_b32_e32 v24, 3, v0
	s_mul_hi_u32 s4, s5, s4
                                        ; implicit-def: $vgpr0_vgpr1_vgpr2_vgpr3_vgpr4_vgpr5_vgpr6_vgpr7
	s_mov_b32 s34, s9
	s_lshl_b32 s6, s9, 1
	s_lshl_b32 s26, s9, 2
	s_mov_b32 s27, s7
	s_mov_b32 s35, 0xffff
	s_ashr_i32 s37, s10, 31
	s_add_i32 s38, s5, s4
	s_mov_b32 s40, -1
	s_mov_b32 s24, s22
	s_mov_b32 s25, s23
	;; [unrolled: 1-line block ×3, first 2 shown]
	v_mov_b32_e32 v25, 0
	v_mov_b32_e32 v26, 0xc3e00000
	;; [unrolled: 1-line block ×3, first 2 shown]
	s_mov_b32 s23, 0x5040100
	s_movk_i32 s39, 0xff
                                        ; implicit-def: $vgpr4_vgpr5_vgpr6_vgpr7_vgpr8_vgpr9_vgpr10_vgpr11
                                        ; implicit-def: $vgpr18
                                        ; implicit-def: $vgpr10_vgpr11_vgpr12_vgpr13_vgpr14_vgpr15_vgpr16_vgpr17
	s_branch .LBB72_10
.LBB72_9:                               ;   in Loop: Header=BB72_10 Depth=1
	s_or_b64 exec, exec, s[4:5]
	s_add_i32 s33, s33, -1
	s_add_i32 s15, s15, 1
	s_cmp_eq_u32 s33, 0
	s_cbranch_scc1 .LBB72_18
.LBB72_10:                              ; =>This Inner Loop Header: Depth=1
	s_abs_i32 s5, s15
	s_mul_hi_u32 s8, s5, s38
	s_mul_i32 s9, s8, s36
	s_ashr_i32 s4, s15, 31
	s_sub_i32 s5, s5, s9
	s_xor_b32 s4, s4, s37
	s_add_i32 s9, s8, 1
	s_sub_i32 s28, s5, s36
	s_cmp_ge_u32 s5, s36
	s_cselect_b32 s8, s9, s8
	s_cselect_b32 s5, s28, s5
	s_add_i32 s9, s8, 1
	s_cmp_ge_u32 s5, s36
	s_cselect_b32 s5, s9, s8
	s_xor_b32 s5, s5, s4
	s_sub_i32 s28, s5, s4
	s_mul_i32 s4, s28, s10
	s_sub_i32 s29, s15, s4
	s_mul_i32 s8, s29, s12
	s_mul_i32 s4, s28, s11
	s_add_i32 s8, s8, s4
	s_cmp_eq_u32 s8, s40
	s_cbranch_scc1 .LBB72_12
; %bb.11:                               ;   in Loop: Header=BB72_10 Depth=1
	s_mul_hi_i32 s5, s8, s34
	s_mul_i32 s4, s8, s34
	s_lshl_b64 s[4:5], s[4:5], 1
	s_add_u32 s4, s20, s4
	s_addc_u32 s5, s21, s5
	s_and_b32 s5, s5, 0xffff
	buffer_load_dwordx4 v[2:5], v20, s[4:7], 0 offen
	s_mov_b32 s40, s8
	s_waitcnt vmcnt(0)
	v_cvt_f32_f16_e32 v18, v2
	v_cvt_f32_f16_sdwa v19, v2 dst_sel:DWORD dst_unused:UNUSED_PAD src0_sel:WORD_1
	v_cvt_f32_f16_e32 v2, v3
	v_cvt_f32_f16_sdwa v3, v3 dst_sel:DWORD dst_unused:UNUSED_PAD src0_sel:WORD_1
	;; [unrolled: 2-line block ×4, first 2 shown]
.LBB72_12:                              ;   in Loop: Header=BB72_10 Depth=1
	buffer_load_dwordx4 v[4:7], v21, s[24:27], 0 offen
	buffer_load_dwordx4 v[12:15], v21, s[24:27], 16 offen
	s_waitcnt vmcnt(1)
	v_pk_mul_f32 v[10:11], v[18:19], v[4:5]
	v_pk_mul_f32 v[6:7], v[2:3], v[6:7]
	s_waitcnt vmcnt(0)
	v_pk_mul_f32 v[4:5], v[8:9], v[12:13]
	v_max3_f32 v12, |v10|, s22, |v11|
	v_max3_f32 v12, v12, |v6|, |v7|
	v_pk_mul_f32 v[0:1], v[16:17], v[14:15]
	v_max3_f32 v12, v12, |v4|, |v5|
	v_max3_f32 v12, v12, |v0|, |v1|
	s_nop 1
	v_mov_b32_dpp v13, v12 quad_perm:[1,0,3,2] row_mask:0xf bank_mask:0xf
	v_cmp_gt_f32_e64 s[4:5], v12, v13
	v_cndmask_b32_e64 v12, v13, v12, s[4:5]
	s_nop 1
	v_mov_b32_dpp v13, v12 quad_perm:[2,3,0,1] row_mask:0xf bank_mask:0xf
	v_cmp_gt_f32_e64 s[4:5], v12, v13
	v_cndmask_b32_e64 v12, v13, v12, s[4:5]
	s_nop 1
	v_mov_b32_dpp v13, v12 row_half_mirror row_mask:0xf bank_mask:0xf
	v_cmp_gt_f32_e64 s[4:5], v12, v13
	v_cndmask_b32_e64 v12, v13, v12, s[4:5]
	s_nop 1
	v_mov_b32_dpp v13, v12 row_mirror row_mask:0xf bank_mask:0xf
	v_cmp_gt_f32_e64 s[4:5], v12, v13
	v_cndmask_b32_e64 v12, v13, v12, s[4:5]
	s_nop 1
	v_mov_b32_dpp v13, v12 row_bcast:15 row_mask:0xf bank_mask:0xf
	v_cmp_gt_f32_e64 s[4:5], v12, v13
	v_cndmask_b32_e64 v12, v13, v12, s[4:5]
	s_nop 1
	v_mov_b32_dpp v13, v12 row_bcast:31 row_mask:0xf bank_mask:0xf
	s_and_saveexec_b64 s[8:9], vcc
	s_cbranch_execz .LBB72_14
; %bb.13:                               ;   in Loop: Header=BB72_10 Depth=1
	v_cmp_gt_f32_e64 s[4:5], v12, v13
	v_cndmask_b32_e64 v12, v13, v12, s[4:5]
	ds_write_b32 v22, v12
.LBB72_14:                              ;   in Loop: Header=BB72_10 Depth=1
	s_or_b64 exec, exec, s[8:9]
	s_waitcnt lgkmcnt(0)
	s_barrier
	ds_read_b32 v12, v23
	s_mul_i32 s28, s28, s13
	s_waitcnt lgkmcnt(0)
	v_mov_b32_dpp v13, v12 quad_perm:[1,0,3,2] row_mask:0xf bank_mask:0xf
	v_cmp_gt_f32_e64 s[4:5], v12, v13
	v_cndmask_b32_e64 v12, v13, v12, s[4:5]
	s_nop 1
	v_mov_b32_dpp v13, v12 quad_perm:[2,3,0,1] row_mask:0xf bank_mask:0xf
	v_cmp_gt_f32_e64 s[4:5], v12, v13
	v_cndmask_b32_e64 v12, v13, v12, s[4:5]
	s_mul_i32 s4, s29, s14
	v_mul_f32_e32 v12, 0x3b124925, v12
	s_add_i32 s8, s4, s28
	s_and_saveexec_b64 s[4:5], s[0:1]
	s_cbranch_execz .LBB72_16
; %bb.15:                               ;   in Loop: Header=BB72_10 Depth=1
	s_ashr_i32 s9, s8, 31
	s_lshl_b64 s[28:29], s[8:9], 2
	s_add_u32 s28, s18, s28
	s_addc_u32 s29, s19, s29
	global_store_dword v25, v12, s[28:29]
.LBB72_16:                              ;   in Loop: Header=BB72_10 Depth=1
	s_or_b64 exec, exec, s[4:5]
	s_and_saveexec_b64 s[4:5], s[2:3]
	s_cbranch_execz .LBB72_9
; %bb.17:                               ;   in Loop: Header=BB72_10 Depth=1
	v_rcp_f32_e32 v12, v12
	s_mul_hi_i32 s9, s8, s34
	s_mul_i32 s8, s8, s34
	s_add_u32 s28, s16, s8
	v_mov_b32_e32 v13, v12
	;;#ASMSTART
	v_pk_mul_f32 v[10:11], v[10:11], v[12:13]
	;;#ASMEND
	;;#ASMSTART
	v_med3_f32 v10, v10, v26, v27
v_med3_f32 v11, v11, v26, v27
v_cvt_pk_fp8_f32 v14, v10, v11
	;;#ASMEND
	;;#ASMSTART
	v_pk_mul_f32 v[6:7], v[6:7], v[12:13]
	;;#ASMEND
	;;#ASMSTART
	v_med3_f32 v6, v6, v26, v27
v_med3_f32 v7, v7, v26, v27
v_cvt_pk_fp8_f32 v10, v6, v7
	;;#ASMEND
	v_perm_b32 v7, v10, v14, s23
	v_and_b32_e32 v6, 0xffffff00, v10
	v_and_b32_sdwa v10, v7, s39 dst_sel:DWORD dst_unused:UNUSED_PAD src0_sel:WORD_1 src1_sel:DWORD
	v_or_b32_sdwa v6, v10, v6 dst_sel:WORD_1 dst_unused:UNUSED_PAD src0_sel:DWORD src1_sel:DWORD
	;;#ASMSTART
	v_pk_mul_f32 v[4:5], v[4:5], v[12:13]
	;;#ASMEND
	v_and_or_b32 v6, v7, s35, v6
	;;#ASMSTART
	v_med3_f32 v4, v4, v26, v27
v_med3_f32 v5, v5, v26, v27
v_cvt_pk_fp8_f32 v7, v4, v5
	;;#ASMEND
	;;#ASMSTART
	v_pk_mul_f32 v[0:1], v[0:1], v[12:13]
	;;#ASMEND
	;;#ASMSTART
	v_med3_f32 v0, v0, v26, v27
v_med3_f32 v1, v1, v26, v27
v_cvt_pk_fp8_f32 v4, v0, v1
	;;#ASMEND
	s_addc_u32 s8, s17, s9
	v_lshlrev_b32_e32 v0, 16, v4
	s_and_b32 s29, s8, 0xffff
	s_mov_b32 s31, s7
	v_and_or_b32 v7, v7, s35, v0
	buffer_store_dwordx2 v[6:7], v24, s[28:31], 0 offen
	;;#ASMSTART
	s_nop 0
	;;#ASMEND
	s_branch .LBB72_9
.LBB72_18:
	s_endpgm
.LBB72_19:
                                        ; implicit-def: $sgpr2
	s_branch .LBB72_2
	.section	.rodata,"a",@progbits
	.p2align	6, 0x0
	.amdhsa_kernel _ZN5aiter36smooth_per_token_scaled_quant_kernelIDF16_DB8_Li256ELi8ELb0ELb0ELb0ELi1024EEEvPT0_PfPT_S4_PiS7_iiPKiiiiiiiii
		.amdhsa_group_segment_fixed_size 16
		.amdhsa_private_segment_fixed_size 0
		.amdhsa_kernarg_size 96
		.amdhsa_user_sgpr_count 6
		.amdhsa_user_sgpr_private_segment_buffer 1
		.amdhsa_user_sgpr_dispatch_ptr 0
		.amdhsa_user_sgpr_queue_ptr 0
		.amdhsa_user_sgpr_kernarg_segment_ptr 1
		.amdhsa_user_sgpr_dispatch_id 0
		.amdhsa_user_sgpr_flat_scratch_init 0
		.amdhsa_user_sgpr_kernarg_preload_length 0
		.amdhsa_user_sgpr_kernarg_preload_offset 0
		.amdhsa_user_sgpr_private_segment_size 0
		.amdhsa_uses_dynamic_stack 0
		.amdhsa_system_sgpr_private_segment_wavefront_offset 0
		.amdhsa_system_sgpr_workgroup_id_x 1
		.amdhsa_system_sgpr_workgroup_id_y 0
		.amdhsa_system_sgpr_workgroup_id_z 0
		.amdhsa_system_sgpr_workgroup_info 0
		.amdhsa_system_vgpr_workitem_id 0
		.amdhsa_next_free_vgpr 28
		.amdhsa_next_free_sgpr 41
		.amdhsa_accum_offset 28
		.amdhsa_reserve_vcc 1
		.amdhsa_reserve_flat_scratch 0
		.amdhsa_float_round_mode_32 0
		.amdhsa_float_round_mode_16_64 0
		.amdhsa_float_denorm_mode_32 3
		.amdhsa_float_denorm_mode_16_64 3
		.amdhsa_dx10_clamp 1
		.amdhsa_ieee_mode 1
		.amdhsa_fp16_overflow 0
		.amdhsa_tg_split 0
		.amdhsa_exception_fp_ieee_invalid_op 0
		.amdhsa_exception_fp_denorm_src 0
		.amdhsa_exception_fp_ieee_div_zero 0
		.amdhsa_exception_fp_ieee_overflow 0
		.amdhsa_exception_fp_ieee_underflow 0
		.amdhsa_exception_fp_ieee_inexact 0
		.amdhsa_exception_int_div_zero 0
	.end_amdhsa_kernel
	.section	.text._ZN5aiter36smooth_per_token_scaled_quant_kernelIDF16_DB8_Li256ELi8ELb0ELb0ELb0ELi1024EEEvPT0_PfPT_S4_PiS7_iiPKiiiiiiiii,"axG",@progbits,_ZN5aiter36smooth_per_token_scaled_quant_kernelIDF16_DB8_Li256ELi8ELb0ELb0ELb0ELi1024EEEvPT0_PfPT_S4_PiS7_iiPKiiiiiiiii,comdat
.Lfunc_end72:
	.size	_ZN5aiter36smooth_per_token_scaled_quant_kernelIDF16_DB8_Li256ELi8ELb0ELb0ELb0ELi1024EEEvPT0_PfPT_S4_PiS7_iiPKiiiiiiiii, .Lfunc_end72-_ZN5aiter36smooth_per_token_scaled_quant_kernelIDF16_DB8_Li256ELi8ELb0ELb0ELb0ELi1024EEEvPT0_PfPT_S4_PiS7_iiPKiiiiiiiii
                                        ; -- End function
	.section	.AMDGPU.csdata,"",@progbits
; Kernel info:
; codeLenInByte = 1368
; NumSgprs: 45
; NumVgprs: 28
; NumAgprs: 0
; TotalNumVgprs: 28
; ScratchSize: 0
; MemoryBound: 0
; FloatMode: 240
; IeeeMode: 1
; LDSByteSize: 16 bytes/workgroup (compile time only)
; SGPRBlocks: 5
; VGPRBlocks: 3
; NumSGPRsForWavesPerEU: 45
; NumVGPRsForWavesPerEU: 28
; AccumOffset: 28
; Occupancy: 8
; WaveLimiterHint : 0
; COMPUTE_PGM_RSRC2:SCRATCH_EN: 0
; COMPUTE_PGM_RSRC2:USER_SGPR: 6
; COMPUTE_PGM_RSRC2:TRAP_HANDLER: 0
; COMPUTE_PGM_RSRC2:TGID_X_EN: 1
; COMPUTE_PGM_RSRC2:TGID_Y_EN: 0
; COMPUTE_PGM_RSRC2:TGID_Z_EN: 0
; COMPUTE_PGM_RSRC2:TIDIG_COMP_CNT: 0
; COMPUTE_PGM_RSRC3_GFX90A:ACCUM_OFFSET: 6
; COMPUTE_PGM_RSRC3_GFX90A:TG_SPLIT: 0
	.section	.text._ZN5aiter36smooth_per_token_scaled_quant_kernelItDB8_Li256ELi8ELb0ELb0ELb0ELi1024EEEvPT0_PfPT_S4_PiS7_iiPKiiiiiiiii,"axG",@progbits,_ZN5aiter36smooth_per_token_scaled_quant_kernelItDB8_Li256ELi8ELb0ELb0ELb0ELi1024EEEvPT0_PfPT_S4_PiS7_iiPKiiiiiiiii,comdat
	.protected	_ZN5aiter36smooth_per_token_scaled_quant_kernelItDB8_Li256ELi8ELb0ELb0ELb0ELi1024EEEvPT0_PfPT_S4_PiS7_iiPKiiiiiiiii ; -- Begin function _ZN5aiter36smooth_per_token_scaled_quant_kernelItDB8_Li256ELi8ELb0ELb0ELb0ELi1024EEEvPT0_PfPT_S4_PiS7_iiPKiiiiiiiii
	.globl	_ZN5aiter36smooth_per_token_scaled_quant_kernelItDB8_Li256ELi8ELb0ELb0ELb0ELi1024EEEvPT0_PfPT_S4_PiS7_iiPKiiiiiiiii
	.p2align	8
	.type	_ZN5aiter36smooth_per_token_scaled_quant_kernelItDB8_Li256ELi8ELb0ELb0ELb0ELi1024EEEvPT0_PfPT_S4_PiS7_iiPKiiiiiiiii,@function
_ZN5aiter36smooth_per_token_scaled_quant_kernelItDB8_Li256ELi8ELb0ELb0ELb0ELi1024EEEvPT0_PfPT_S4_PiS7_iiPKiiiiiiiii: ; @_ZN5aiter36smooth_per_token_scaled_quant_kernelItDB8_Li256ELi8ELb0ELb0ELb0ELi1024EEEvPT0_PfPT_S4_PiS7_iiPKiiiiiiiii
; %bb.0:
	s_load_dwordx2 s[2:3], s[4:5], 0x38
	s_load_dwordx8 s[8:15], s[4:5], 0x40
	s_mov_b64 s[0:1], 0
	s_waitcnt lgkmcnt(0)
	s_cmp_lg_u64 s[2:3], 0
	s_cbranch_scc0 .LBB73_19
; %bb.1:
	s_load_dword s2, s[2:3], 0x0
	s_waitcnt lgkmcnt(0)
	s_mul_i32 s2, s2, s8
	s_andn2_b64 vcc, exec, s[0:1]
	s_cbranch_vccnz .LBB73_3
.LBB73_2:
	s_mul_i32 s2, s10, s9
.LBB73_3:
	s_load_dwordx2 s[8:9], s[4:5], 0x30
	s_abs_i32 s1, s2
	s_waitcnt lgkmcnt(0)
	s_abs_i32 s0, s8
	v_cvt_f32_u32_e32 v1, s0
	s_sub_i32 s7, 0, s0
	s_xor_b32 s3, s2, s8
	s_ashr_i32 s3, s3, 31
	v_rcp_iflag_f32_e32 v1, v1
	v_mul_f32_e32 v1, 0x4f7ffffe, v1
	v_cvt_u32_f32_e32 v1, v1
	v_readfirstlane_b32 s15, v1
	s_mul_i32 s7, s7, s15
	s_mul_hi_u32 s7, s15, s7
	s_add_i32 s15, s15, s7
	s_mul_hi_u32 s7, s1, s15
	s_mul_i32 s15, s7, s0
	s_sub_i32 s1, s1, s15
	s_add_i32 s16, s7, 1
	s_sub_i32 s15, s1, s0
	s_cmp_ge_u32 s1, s0
	s_cselect_b32 s7, s16, s7
	s_cselect_b32 s1, s15, s1
	s_add_i32 s15, s7, 1
	s_cmp_ge_u32 s1, s0
	s_cselect_b32 s0, s15, s7
	s_xor_b32 s0, s0, s3
	s_sub_i32 s7, s0, s3
	s_mul_i32 s0, s7, s8
	s_sub_i32 s2, s2, s0
	s_cmp_lt_u32 s6, s2
	s_cselect_b64 s[0:1], -1, 0
	s_add_i32 s8, s7, 1
	s_cmp_ge_u32 s6, s2
	s_cbranch_scc0 .LBB73_5
; %bb.4:
	s_mul_i32 s3, s2, s8
	s_sub_i32 s2, s6, s2
	s_mul_i32 s2, s2, s7
	s_add_i32 s15, s2, s3
	s_cbranch_execz .LBB73_6
	s_branch .LBB73_7
.LBB73_5:
                                        ; implicit-def: $sgpr15
.LBB73_6:
	s_mul_i32 s15, s8, s6
.LBB73_7:
	v_cndmask_b32_e64 v1, 0, 1, s[0:1]
	v_readfirstlane_b32 s0, v1
	s_add_i32 s33, s7, s0
	s_cmp_lt_i32 s33, 1
	s_cbranch_scc1 .LBB73_18
; %bb.8:
	v_and_b32_e32 v1, 63, v0
	v_cmp_eq_u32_e32 vcc, 63, v1
	v_lshrrev_b32_e32 v1, 4, v0
	v_and_b32_e32 v22, 60, v1
	v_and_b32_e32 v1, 3, v0
	s_abs_i32 s36, s10
	v_lshlrev_b32_e32 v23, 2, v1
	v_cvt_f32_u32_e32 v1, s36
	s_load_dwordx8 s[16:23], s[4:5], 0x0
	s_add_i32 s4, s9, 3
	s_add_i32 s2, s9, 7
	v_rcp_iflag_f32_e32 v1, v1
	s_ashr_i32 s5, s4, 31
	s_ashr_i32 s3, s2, 31
	s_lshr_b32 s5, s5, 30
	v_mul_f32_e32 v1, 0x4f7ffffe, v1
	v_cvt_u32_f32_e32 v1, v1
	s_lshr_b32 s3, s3, 29
	s_add_i32 s4, s4, s5
	s_add_i32 s2, s2, s3
	s_and_b32 s30, s4, -4
	s_sub_i32 s4, 0, s36
	v_readfirstlane_b32 s5, v1
	s_ashr_i32 s2, s2, 3
	s_mul_i32 s4, s4, s5
	v_lshlrev_b32_e32 v20, 4, v0
	s_mov_b32 s7, 0x20000
	s_waitcnt lgkmcnt(0)
	s_and_b32 s23, s23, 0xffff
	v_lshlrev_b32_e32 v21, 5, v0
	v_cmp_eq_u32_e64 s[0:1], 0, v0
	v_cmp_gt_u32_e64 s[2:3], s2, v0
	v_lshlrev_b32_e32 v24, 3, v0
	s_mul_hi_u32 s4, s5, s4
                                        ; implicit-def: $vgpr0_vgpr1_vgpr2_vgpr3_vgpr4_vgpr5_vgpr6_vgpr7
	s_mov_b32 s34, s9
	s_lshl_b32 s6, s9, 1
	s_lshl_b32 s26, s9, 2
	s_mov_b32 s27, s7
	s_mov_b32 s35, 0xffff
	s_ashr_i32 s37, s10, 31
	s_add_i32 s38, s5, s4
	s_mov_b32 s40, -1
	s_mov_b32 s24, s22
	s_mov_b32 s25, s23
	;; [unrolled: 1-line block ×3, first 2 shown]
	v_mov_b32_e32 v25, 0
	v_mov_b32_e32 v26, 0xc3e00000
	;; [unrolled: 1-line block ×3, first 2 shown]
	s_mov_b32 s23, 0x5040100
	s_movk_i32 s39, 0xff
                                        ; implicit-def: $vgpr4_vgpr5_vgpr6_vgpr7_vgpr8_vgpr9_vgpr10_vgpr11
                                        ; implicit-def: $vgpr18
                                        ; implicit-def: $vgpr10_vgpr11_vgpr12_vgpr13_vgpr14_vgpr15_vgpr16_vgpr17
	s_branch .LBB73_10
.LBB73_9:                               ;   in Loop: Header=BB73_10 Depth=1
	s_or_b64 exec, exec, s[4:5]
	s_add_i32 s33, s33, -1
	s_add_i32 s15, s15, 1
	s_cmp_eq_u32 s33, 0
	s_cbranch_scc1 .LBB73_18
.LBB73_10:                              ; =>This Inner Loop Header: Depth=1
	s_abs_i32 s5, s15
	s_mul_hi_u32 s8, s5, s38
	s_mul_i32 s9, s8, s36
	s_ashr_i32 s4, s15, 31
	s_sub_i32 s5, s5, s9
	s_xor_b32 s4, s4, s37
	s_add_i32 s9, s8, 1
	s_sub_i32 s28, s5, s36
	s_cmp_ge_u32 s5, s36
	s_cselect_b32 s8, s9, s8
	s_cselect_b32 s5, s28, s5
	s_add_i32 s9, s8, 1
	s_cmp_ge_u32 s5, s36
	s_cselect_b32 s5, s9, s8
	s_xor_b32 s5, s5, s4
	s_sub_i32 s28, s5, s4
	s_mul_i32 s4, s28, s10
	s_sub_i32 s29, s15, s4
	s_mul_i32 s8, s29, s12
	s_mul_i32 s4, s28, s11
	s_add_i32 s8, s8, s4
	s_cmp_eq_u32 s8, s40
	s_cbranch_scc1 .LBB73_12
; %bb.11:                               ;   in Loop: Header=BB73_10 Depth=1
	s_mul_hi_i32 s5, s8, s34
	s_mul_i32 s4, s8, s34
	s_lshl_b64 s[4:5], s[4:5], 1
	s_add_u32 s4, s20, s4
	s_addc_u32 s5, s21, s5
	s_and_b32 s5, s5, 0xffff
	buffer_load_dwordx4 v[4:7], v20, s[4:7], 0 offen
	s_mov_b32 s40, s8
	s_waitcnt vmcnt(0)
	v_cvt_f32_u32_sdwa v19, v4 dst_sel:DWORD dst_unused:UNUSED_PAD src0_sel:WORD_1
	v_cvt_f32_u32_sdwa v18, v4 dst_sel:DWORD dst_unused:UNUSED_PAD src0_sel:WORD_0
	v_cvt_f32_u32_sdwa v3, v5 dst_sel:DWORD dst_unused:UNUSED_PAD src0_sel:WORD_1
	v_cvt_f32_u32_sdwa v2, v5 dst_sel:DWORD dst_unused:UNUSED_PAD src0_sel:WORD_0
	;; [unrolled: 2-line block ×4, first 2 shown]
.LBB73_12:                              ;   in Loop: Header=BB73_10 Depth=1
	buffer_load_dwordx4 v[4:7], v21, s[24:27], 0 offen
	buffer_load_dwordx4 v[12:15], v21, s[24:27], 16 offen
	s_waitcnt vmcnt(1)
	v_pk_mul_f32 v[10:11], v[18:19], v[4:5]
	v_pk_mul_f32 v[6:7], v[2:3], v[6:7]
	s_waitcnt vmcnt(0)
	v_pk_mul_f32 v[4:5], v[8:9], v[12:13]
	v_max3_f32 v12, |v10|, s22, |v11|
	v_max3_f32 v12, v12, |v6|, |v7|
	v_pk_mul_f32 v[0:1], v[16:17], v[14:15]
	v_max3_f32 v12, v12, |v4|, |v5|
	v_max3_f32 v12, v12, |v0|, |v1|
	s_nop 1
	v_mov_b32_dpp v13, v12 quad_perm:[1,0,3,2] row_mask:0xf bank_mask:0xf
	v_cmp_gt_f32_e64 s[4:5], v12, v13
	v_cndmask_b32_e64 v12, v13, v12, s[4:5]
	s_nop 1
	v_mov_b32_dpp v13, v12 quad_perm:[2,3,0,1] row_mask:0xf bank_mask:0xf
	v_cmp_gt_f32_e64 s[4:5], v12, v13
	v_cndmask_b32_e64 v12, v13, v12, s[4:5]
	s_nop 1
	v_mov_b32_dpp v13, v12 row_half_mirror row_mask:0xf bank_mask:0xf
	v_cmp_gt_f32_e64 s[4:5], v12, v13
	v_cndmask_b32_e64 v12, v13, v12, s[4:5]
	s_nop 1
	v_mov_b32_dpp v13, v12 row_mirror row_mask:0xf bank_mask:0xf
	v_cmp_gt_f32_e64 s[4:5], v12, v13
	v_cndmask_b32_e64 v12, v13, v12, s[4:5]
	s_nop 1
	v_mov_b32_dpp v13, v12 row_bcast:15 row_mask:0xf bank_mask:0xf
	v_cmp_gt_f32_e64 s[4:5], v12, v13
	v_cndmask_b32_e64 v12, v13, v12, s[4:5]
	s_nop 1
	v_mov_b32_dpp v13, v12 row_bcast:31 row_mask:0xf bank_mask:0xf
	s_and_saveexec_b64 s[8:9], vcc
	s_cbranch_execz .LBB73_14
; %bb.13:                               ;   in Loop: Header=BB73_10 Depth=1
	v_cmp_gt_f32_e64 s[4:5], v12, v13
	v_cndmask_b32_e64 v12, v13, v12, s[4:5]
	ds_write_b32 v22, v12
.LBB73_14:                              ;   in Loop: Header=BB73_10 Depth=1
	s_or_b64 exec, exec, s[8:9]
	s_waitcnt lgkmcnt(0)
	s_barrier
	ds_read_b32 v12, v23
	s_mul_i32 s28, s28, s13
	s_waitcnt lgkmcnt(0)
	v_mov_b32_dpp v13, v12 quad_perm:[1,0,3,2] row_mask:0xf bank_mask:0xf
	v_cmp_gt_f32_e64 s[4:5], v12, v13
	v_cndmask_b32_e64 v12, v13, v12, s[4:5]
	s_nop 1
	v_mov_b32_dpp v13, v12 quad_perm:[2,3,0,1] row_mask:0xf bank_mask:0xf
	v_cmp_gt_f32_e64 s[4:5], v12, v13
	v_cndmask_b32_e64 v12, v13, v12, s[4:5]
	s_mul_i32 s4, s29, s14
	v_mul_f32_e32 v12, 0x3b124925, v12
	s_add_i32 s8, s4, s28
	s_and_saveexec_b64 s[4:5], s[0:1]
	s_cbranch_execz .LBB73_16
; %bb.15:                               ;   in Loop: Header=BB73_10 Depth=1
	s_ashr_i32 s9, s8, 31
	s_lshl_b64 s[28:29], s[8:9], 2
	s_add_u32 s28, s18, s28
	s_addc_u32 s29, s19, s29
	global_store_dword v25, v12, s[28:29]
.LBB73_16:                              ;   in Loop: Header=BB73_10 Depth=1
	s_or_b64 exec, exec, s[4:5]
	s_and_saveexec_b64 s[4:5], s[2:3]
	s_cbranch_execz .LBB73_9
; %bb.17:                               ;   in Loop: Header=BB73_10 Depth=1
	v_rcp_f32_e32 v12, v12
	s_mul_hi_i32 s9, s8, s34
	s_mul_i32 s8, s8, s34
	s_add_u32 s28, s16, s8
	v_mov_b32_e32 v13, v12
	;;#ASMSTART
	v_pk_mul_f32 v[10:11], v[10:11], v[12:13]
	;;#ASMEND
	;;#ASMSTART
	v_med3_f32 v10, v10, v26, v27
v_med3_f32 v11, v11, v26, v27
v_cvt_pk_fp8_f32 v14, v10, v11
	;;#ASMEND
	;;#ASMSTART
	v_pk_mul_f32 v[6:7], v[6:7], v[12:13]
	;;#ASMEND
	;;#ASMSTART
	v_med3_f32 v6, v6, v26, v27
v_med3_f32 v7, v7, v26, v27
v_cvt_pk_fp8_f32 v10, v6, v7
	;;#ASMEND
	v_perm_b32 v7, v10, v14, s23
	v_and_b32_e32 v6, 0xffffff00, v10
	v_and_b32_sdwa v10, v7, s39 dst_sel:DWORD dst_unused:UNUSED_PAD src0_sel:WORD_1 src1_sel:DWORD
	v_or_b32_sdwa v6, v10, v6 dst_sel:WORD_1 dst_unused:UNUSED_PAD src0_sel:DWORD src1_sel:DWORD
	;;#ASMSTART
	v_pk_mul_f32 v[4:5], v[4:5], v[12:13]
	;;#ASMEND
	v_and_or_b32 v6, v7, s35, v6
	;;#ASMSTART
	v_med3_f32 v4, v4, v26, v27
v_med3_f32 v5, v5, v26, v27
v_cvt_pk_fp8_f32 v7, v4, v5
	;;#ASMEND
	;;#ASMSTART
	v_pk_mul_f32 v[0:1], v[0:1], v[12:13]
	;;#ASMEND
	;;#ASMSTART
	v_med3_f32 v0, v0, v26, v27
v_med3_f32 v1, v1, v26, v27
v_cvt_pk_fp8_f32 v4, v0, v1
	;;#ASMEND
	s_addc_u32 s8, s17, s9
	v_lshlrev_b32_e32 v0, 16, v4
	s_and_b32 s29, s8, 0xffff
	s_mov_b32 s31, s7
	v_and_or_b32 v7, v7, s35, v0
	buffer_store_dwordx2 v[6:7], v24, s[28:31], 0 offen
	;;#ASMSTART
	s_nop 0
	;;#ASMEND
	s_branch .LBB73_9
.LBB73_18:
	s_endpgm
.LBB73_19:
                                        ; implicit-def: $sgpr2
	s_branch .LBB73_2
	.section	.rodata,"a",@progbits
	.p2align	6, 0x0
	.amdhsa_kernel _ZN5aiter36smooth_per_token_scaled_quant_kernelItDB8_Li256ELi8ELb0ELb0ELb0ELi1024EEEvPT0_PfPT_S4_PiS7_iiPKiiiiiiiii
		.amdhsa_group_segment_fixed_size 16
		.amdhsa_private_segment_fixed_size 0
		.amdhsa_kernarg_size 96
		.amdhsa_user_sgpr_count 6
		.amdhsa_user_sgpr_private_segment_buffer 1
		.amdhsa_user_sgpr_dispatch_ptr 0
		.amdhsa_user_sgpr_queue_ptr 0
		.amdhsa_user_sgpr_kernarg_segment_ptr 1
		.amdhsa_user_sgpr_dispatch_id 0
		.amdhsa_user_sgpr_flat_scratch_init 0
		.amdhsa_user_sgpr_kernarg_preload_length 0
		.amdhsa_user_sgpr_kernarg_preload_offset 0
		.amdhsa_user_sgpr_private_segment_size 0
		.amdhsa_uses_dynamic_stack 0
		.amdhsa_system_sgpr_private_segment_wavefront_offset 0
		.amdhsa_system_sgpr_workgroup_id_x 1
		.amdhsa_system_sgpr_workgroup_id_y 0
		.amdhsa_system_sgpr_workgroup_id_z 0
		.amdhsa_system_sgpr_workgroup_info 0
		.amdhsa_system_vgpr_workitem_id 0
		.amdhsa_next_free_vgpr 28
		.amdhsa_next_free_sgpr 41
		.amdhsa_accum_offset 28
		.amdhsa_reserve_vcc 1
		.amdhsa_reserve_flat_scratch 0
		.amdhsa_float_round_mode_32 0
		.amdhsa_float_round_mode_16_64 0
		.amdhsa_float_denorm_mode_32 3
		.amdhsa_float_denorm_mode_16_64 3
		.amdhsa_dx10_clamp 1
		.amdhsa_ieee_mode 1
		.amdhsa_fp16_overflow 0
		.amdhsa_tg_split 0
		.amdhsa_exception_fp_ieee_invalid_op 0
		.amdhsa_exception_fp_denorm_src 0
		.amdhsa_exception_fp_ieee_div_zero 0
		.amdhsa_exception_fp_ieee_overflow 0
		.amdhsa_exception_fp_ieee_underflow 0
		.amdhsa_exception_fp_ieee_inexact 0
		.amdhsa_exception_int_div_zero 0
	.end_amdhsa_kernel
	.section	.text._ZN5aiter36smooth_per_token_scaled_quant_kernelItDB8_Li256ELi8ELb0ELb0ELb0ELi1024EEEvPT0_PfPT_S4_PiS7_iiPKiiiiiiiii,"axG",@progbits,_ZN5aiter36smooth_per_token_scaled_quant_kernelItDB8_Li256ELi8ELb0ELb0ELb0ELi1024EEEvPT0_PfPT_S4_PiS7_iiPKiiiiiiiii,comdat
.Lfunc_end73:
	.size	_ZN5aiter36smooth_per_token_scaled_quant_kernelItDB8_Li256ELi8ELb0ELb0ELb0ELi1024EEEvPT0_PfPT_S4_PiS7_iiPKiiiiiiiii, .Lfunc_end73-_ZN5aiter36smooth_per_token_scaled_quant_kernelItDB8_Li256ELi8ELb0ELb0ELb0ELi1024EEEvPT0_PfPT_S4_PiS7_iiPKiiiiiiiii
                                        ; -- End function
	.section	.AMDGPU.csdata,"",@progbits
; Kernel info:
; codeLenInByte = 1384
; NumSgprs: 45
; NumVgprs: 28
; NumAgprs: 0
; TotalNumVgprs: 28
; ScratchSize: 0
; MemoryBound: 0
; FloatMode: 240
; IeeeMode: 1
; LDSByteSize: 16 bytes/workgroup (compile time only)
; SGPRBlocks: 5
; VGPRBlocks: 3
; NumSGPRsForWavesPerEU: 45
; NumVGPRsForWavesPerEU: 28
; AccumOffset: 28
; Occupancy: 8
; WaveLimiterHint : 0
; COMPUTE_PGM_RSRC2:SCRATCH_EN: 0
; COMPUTE_PGM_RSRC2:USER_SGPR: 6
; COMPUTE_PGM_RSRC2:TRAP_HANDLER: 0
; COMPUTE_PGM_RSRC2:TGID_X_EN: 1
; COMPUTE_PGM_RSRC2:TGID_Y_EN: 0
; COMPUTE_PGM_RSRC2:TGID_Z_EN: 0
; COMPUTE_PGM_RSRC2:TIDIG_COMP_CNT: 0
; COMPUTE_PGM_RSRC3_GFX90A:ACCUM_OFFSET: 6
; COMPUTE_PGM_RSRC3_GFX90A:TG_SPLIT: 0
	.section	.text._ZN5aiter36smooth_per_token_scaled_quant_kernelIDF16_DB8_Li256ELi16ELb1ELb1ELb1ELi1024EEEvPT0_PfPT_S4_PiS7_iiPKiiiiiiiii,"axG",@progbits,_ZN5aiter36smooth_per_token_scaled_quant_kernelIDF16_DB8_Li256ELi16ELb1ELb1ELb1ELi1024EEEvPT0_PfPT_S4_PiS7_iiPKiiiiiiiii,comdat
	.protected	_ZN5aiter36smooth_per_token_scaled_quant_kernelIDF16_DB8_Li256ELi16ELb1ELb1ELb1ELi1024EEEvPT0_PfPT_S4_PiS7_iiPKiiiiiiiii ; -- Begin function _ZN5aiter36smooth_per_token_scaled_quant_kernelIDF16_DB8_Li256ELi16ELb1ELb1ELb1ELi1024EEEvPT0_PfPT_S4_PiS7_iiPKiiiiiiiii
	.globl	_ZN5aiter36smooth_per_token_scaled_quant_kernelIDF16_DB8_Li256ELi16ELb1ELb1ELb1ELi1024EEEvPT0_PfPT_S4_PiS7_iiPKiiiiiiiii
	.p2align	8
	.type	_ZN5aiter36smooth_per_token_scaled_quant_kernelIDF16_DB8_Li256ELi16ELb1ELb1ELb1ELi1024EEEvPT0_PfPT_S4_PiS7_iiPKiiiiiiiii,@function
_ZN5aiter36smooth_per_token_scaled_quant_kernelIDF16_DB8_Li256ELi16ELb1ELb1ELb1ELi1024EEEvPT0_PfPT_S4_PiS7_iiPKiiiiiiiii: ; @_ZN5aiter36smooth_per_token_scaled_quant_kernelIDF16_DB8_Li256ELi16ELb1ELb1ELb1ELi1024EEEvPT0_PfPT_S4_PiS7_iiPKiiiiiiiii
; %bb.0:
	s_load_dwordx2 s[16:17], s[4:5], 0x38
	s_load_dwordx2 s[0:1], s[4:5], 0x28
	s_load_dwordx8 s[8:15], s[4:5], 0x40
	s_mov_b64 s[2:3], 0
	s_waitcnt lgkmcnt(0)
	s_cmp_lg_u64 s[16:17], 0
	s_cbranch_scc0 .LBB74_11
; %bb.1:
	s_load_dword s7, s[16:17], 0x0
	s_waitcnt lgkmcnt(0)
	s_mul_i32 s7, s7, s8
	s_andn2_b64 vcc, exec, s[2:3]
	s_cbranch_vccnz .LBB74_3
.LBB74_2:
	s_mul_i32 s7, s10, s9
.LBB74_3:
	s_load_dwordx2 s[34:35], s[4:5], 0x30
	v_and_b32_e32 v1, 0x3c0, v0
	v_lshlrev_b32_e32 v1, 2, v1
	v_lshlrev_b32_e32 v2, 2, v0
	v_readfirstlane_b32 s8, v1
	v_add_u32_e32 v3, 0x400, v1
	s_lshl_b32 s2, s15, 2
	s_and_b32 s1, s1, 0xffff
	s_mov_b32 s3, 0x20000
	;;#ASMSTART
	s_mov_b32 m0 s8
	buffer_load_dword v2, s[0:3], 0 offen offset:0 lds
	
	;;#ASMEND
	v_readfirstlane_b32 s8, v3
	v_add_u32_e32 v3, 0x400, v2
	;;#ASMSTART
	s_mov_b32 m0 s8
	buffer_load_dword v3, s[0:3], 0 offen offset:0 lds
	
	;;#ASMEND
	v_add_u32_e32 v3, 0x800, v1
	s_waitcnt lgkmcnt(0)
	s_abs_i32 s15, s34
	v_readfirstlane_b32 s8, v3
	v_cvt_f32_u32_e32 v3, s15
	v_add_u32_e32 v1, 0xc00, v1
	v_add_u32_e32 v4, 0x800, v2
	v_readfirstlane_b32 s18, v1
	v_rcp_iflag_f32_e32 v3, v3
	v_add_u32_e32 v1, 0xc00, v2
	s_sub_i32 s17, 0, s15
	s_abs_i32 s16, s7
	v_mul_f32_e32 v2, 0x4f7ffffe, v3
	v_cvt_u32_f32_e32 v2, v2
	;;#ASMSTART
	s_mov_b32 m0 s8
	buffer_load_dword v4, s[0:3], 0 offen offset:0 lds
	
	;;#ASMEND
	s_xor_b32 s8, s7, s34
	s_ashr_i32 s8, s8, 31
	v_readfirstlane_b32 s19, v2
	s_mul_i32 s17, s17, s19
	s_mul_hi_u32 s17, s19, s17
	s_add_i32 s19, s19, s17
	s_mul_hi_u32 s17, s16, s19
	s_mul_i32 s19, s17, s15
	s_sub_i32 s16, s16, s19
	s_add_i32 s19, s17, 1
	s_sub_i32 s20, s16, s15
	s_cmp_ge_u32 s16, s15
	s_cselect_b32 s17, s19, s17
	s_cselect_b32 s16, s20, s16
	s_add_i32 s19, s17, 1
	s_cmp_ge_u32 s16, s15
	s_cselect_b32 s15, s19, s17
	s_xor_b32 s15, s15, s8
	s_sub_i32 s8, s15, s8
	s_mul_i32 s15, s8, s34
	s_sub_i32 s15, s7, s15
	s_cmp_lt_u32 s6, s15
	;;#ASMSTART
	s_mov_b32 m0 s18
	buffer_load_dword v1, s[0:3], 0 offen offset:0 lds
	
	;;#ASMEND
	s_cselect_b64 s[16:17], -1, 0
	s_add_i32 s7, s8, 1
	s_cmp_ge_u32 s6, s15
	s_cbranch_scc0 .LBB74_5
; %bb.4:
	s_sub_i32 s1, s6, s15
	s_mul_i32 s0, s15, s7
	s_mul_i32 s1, s1, s8
	s_add_i32 s40, s1, s0
	s_cbranch_execz .LBB74_6
	s_branch .LBB74_7
.LBB74_5:
                                        ; implicit-def: $sgpr40
.LBB74_6:
	s_mul_i32 s40, s7, s6
.LBB74_7:
	v_cndmask_b32_e64 v1, 0, 1, s[16:17]
	v_readfirstlane_b32 s0, v1
	s_add_i32 s8, s8, s0
	s_cmp_lt_i32 s8, 1
	s_cbranch_scc1 .LBB74_35
; %bb.8:
	s_load_dwordx2 s[0:1], s[4:5], 0x20
	s_ashr_i32 s41, s40, 31
	s_lshl_b64 s[2:3], s[40:41], 2
	v_and_b32_e32 v1, 63, v0
	s_mov_b32 s27, 0x20000
	s_waitcnt lgkmcnt(0)
	s_add_u32 s24, s0, s2
	s_addc_u32 s0, s1, s3
	s_lshl_b32 s26, s8, 2
	s_and_b32 s25, s0, 0xffff
	v_lshlrev_b32_e32 v38, 2, v1
	buffer_load_dword v2, v38, s[24:27], 0 offen
	s_abs_i32 s34, s10
	v_cmp_eq_u32_e64 s[0:1], 63, v1
	v_cvt_f32_u32_e32 v1, s34
	s_add_i32 s2, s35, 15
	s_load_dwordx8 s[16:23], s[4:5], 0x0
	s_ashr_i32 s4, s2, 31
	v_rcp_iflag_f32_e32 v1, v1
	s_waitcnt vmcnt(0) lgkmcnt(0)
	s_barrier
	v_mul_f32_e32 v1, 0x4f7ffffe, v1
	v_cvt_u32_f32_e32 v1, v1
	s_add_i32 s3, s35, 3
	s_lshr_b32 s4, s4, 28
	s_ashr_i32 s5, s3, 31
	s_add_i32 s2, s2, s4
	s_sub_i32 s4, 0, s34
	v_readfirstlane_b32 s42, v1
	s_lshr_b32 s5, s5, 30
	s_mul_i32 s4, s4, s42
	s_add_i32 s3, s3, s5
	s_mul_hi_u32 s4, s42, s4
	v_lshrrev_b32_e32 v3, 4, v0
	v_mov_b32_e32 v4, 0x1000
	v_and_b32_e32 v5, 3, v0
	s_lshl_b32 s6, s35, 1
	s_lshl_b32 s30, s35, 2
	s_ashr_i32 s33, s10, 31
	s_ashr_i32 s2, s2, 4
	s_and_b32 s38, s3, -4
	s_add_i32 s42, s42, s4
	s_mov_b32 s15, s35
	v_lshlrev_b32_e32 v32, 5, v0
	v_lshlrev_b32_e32 v33, 6, v0
	v_cmp_eq_u32_e32 vcc, 0, v0
	v_and_or_b32 v34, v3, 60, v4
	v_lshl_or_b32 v35, v5, 2, v4
	v_cmp_gt_u32_e64 s[2:3], s2, v0
	v_lshlrev_b32_e32 v36, 4, v0
	v_lshlrev_b32_e32 v2, 2, v2
	ds_read_b32 v37, v2
	s_waitcnt lgkmcnt(0)
	v_readlane_b32 s28, v37, 0
	s_cmp_lt_i32 s28, 0
	s_cbranch_scc1 .LBB74_12
; %bb.9:
	s_abs_i32 s27, s40
	s_mul_hi_u32 s4, s27, s42
	s_mul_i32 s7, s4, s34
	s_sub_i32 s7, s27, s7
	s_xor_b32 s5, s41, s33
	s_add_i32 s29, s4, 1
	s_sub_i32 s31, s7, s34
	s_cmp_ge_u32 s7, s34
	s_cselect_b32 s4, s29, s4
	s_cselect_b32 s7, s31, s7
	s_add_i32 s29, s4, 1
	s_cmp_ge_u32 s7, s34
	s_cselect_b32 s4, s29, s4
	s_xor_b32 s4, s4, s5
	s_sub_i32 s4, s4, s5
	s_mul_i32 s5, s4, s10
	s_sub_i32 s5, s40, s5
	s_mul_i32 s5, s5, s12
	s_mul_i32 s4, s4, s11
	s_add_i32 s43, s5, s4
	s_cmp_eq_u32 s43, -1
	s_cbranch_scc1 .LBB74_13
; %bb.10:
	s_mul_hi_i32 s5, s43, s15
	s_mul_i32 s4, s43, s15
	s_lshl_b64 s[4:5], s[4:5], 1
	s_add_u32 s4, s20, s4
	s_addc_u32 s5, s21, s5
	s_and_b32 s5, s5, 0xffff
	s_mov_b32 s7, 0x20000
	buffer_load_dwordx4 v[4:7], v32, s[4:7], 0 offen
	buffer_load_dwordx4 v[12:15], v32, s[4:7], 16 offen
	s_waitcnt vmcnt(1)
	v_cvt_f32_f16_e32 v0, v4
	v_cvt_f32_f16_sdwa v1, v4 dst_sel:DWORD dst_unused:UNUSED_PAD src0_sel:WORD_1
	v_cvt_f32_f16_e32 v2, v5
	v_cvt_f32_f16_sdwa v3, v5 dst_sel:DWORD dst_unused:UNUSED_PAD src0_sel:WORD_1
	;; [unrolled: 2-line block ×4, first 2 shown]
	s_waitcnt vmcnt(0)
	v_cvt_f32_f16_e32 v8, v12
	v_cvt_f32_f16_sdwa v9, v12 dst_sel:DWORD dst_unused:UNUSED_PAD src0_sel:WORD_1
	v_cvt_f32_f16_e32 v10, v13
	v_cvt_f32_f16_sdwa v11, v13 dst_sel:DWORD dst_unused:UNUSED_PAD src0_sel:WORD_1
	;; [unrolled: 2-line block ×4, first 2 shown]
	s_branch .LBB74_14
.LBB74_11:
                                        ; implicit-def: $sgpr7
	s_branch .LBB74_2
.LBB74_12:
	s_mov_b32 s43, -1
                                        ; implicit-def: $vgpr0_vgpr1_vgpr2_vgpr3_vgpr4_vgpr5_vgpr6_vgpr7_vgpr8_vgpr9_vgpr10_vgpr11_vgpr12_vgpr13_vgpr14_vgpr15
	s_cmp_eq_u32 s8, 1
	s_mov_b32 s41, 1
	s_cbranch_scc0 .LBB74_21
	s_branch .LBB74_35
.LBB74_13:
                                        ; implicit-def: $vgpr0_vgpr1_vgpr2_vgpr3_vgpr4_vgpr5_vgpr6_vgpr7_vgpr8_vgpr9_vgpr10_vgpr11_vgpr12_vgpr13_vgpr14_vgpr15
.LBB74_14:
	s_mul_i32 s4, s28, s35
	s_ashr_i32 s5, s4, 31
	s_lshl_b64 s[4:5], s[4:5], 2
	s_add_u32 s28, s22, s4
	s_addc_u32 s4, s23, s5
	s_and_b32 s29, s4, 0xffff
	s_mov_b32 s31, 0x20000
	buffer_load_dwordx4 v[16:19], v33, s[28:31], 0 offen
	buffer_load_dwordx4 v[20:23], v33, s[28:31], 16 offen
	;; [unrolled: 1-line block ×4, first 2 shown]
	s_mov_b32 s4, 0x2edbe6ff
	s_waitcnt vmcnt(3)
	v_pk_mul_f32 v[30:31], v[0:1], v[16:17]
	v_pk_mul_f32 v[28:29], v[2:3], v[18:19]
	v_max3_f32 v39, |v30|, s4, |v31|
	s_waitcnt vmcnt(2)
	v_pk_mul_f32 v[26:27], v[4:5], v[20:21]
	v_max3_f32 v39, v39, |v28|, |v29|
	v_pk_mul_f32 v[24:25], v[6:7], v[22:23]
	v_max3_f32 v39, v39, |v26|, |v27|
	s_waitcnt vmcnt(1)
	v_pk_mul_f32 v[22:23], v[8:9], v[40:41]
	v_max3_f32 v39, v39, |v24|, |v25|
	v_pk_mul_f32 v[20:21], v[10:11], v[42:43]
	v_max3_f32 v39, v39, |v22|, |v23|
	;; [unrolled: 5-line block ×3, first 2 shown]
	v_max3_f32 v39, v39, |v16|, |v17|
	s_nop 1
	v_mov_b32_dpp v40, v39 quad_perm:[1,0,3,2] row_mask:0xf bank_mask:0xf
	v_cmp_gt_f32_e64 s[4:5], v39, v40
	v_cndmask_b32_e64 v39, v40, v39, s[4:5]
	s_nop 1
	v_mov_b32_dpp v40, v39 quad_perm:[2,3,0,1] row_mask:0xf bank_mask:0xf
	v_cmp_gt_f32_e64 s[4:5], v39, v40
	v_cndmask_b32_e64 v39, v40, v39, s[4:5]
	s_nop 1
	v_mov_b32_dpp v40, v39 row_half_mirror row_mask:0xf bank_mask:0xf
	v_cmp_gt_f32_e64 s[4:5], v39, v40
	v_cndmask_b32_e64 v39, v40, v39, s[4:5]
	s_nop 1
	v_mov_b32_dpp v40, v39 row_mirror row_mask:0xf bank_mask:0xf
	v_cmp_gt_f32_e64 s[4:5], v39, v40
	v_cndmask_b32_e64 v39, v40, v39, s[4:5]
	s_nop 1
	v_mov_b32_dpp v40, v39 row_bcast:15 row_mask:0xf bank_mask:0xf
	v_cmp_gt_f32_e64 s[4:5], v39, v40
	v_cndmask_b32_e64 v39, v40, v39, s[4:5]
	s_nop 1
	v_mov_b32_dpp v40, v39 row_bcast:31 row_mask:0xf bank_mask:0xf
	s_and_saveexec_b64 s[28:29], s[0:1]
	s_cbranch_execz .LBB74_16
; %bb.15:
	v_cmp_gt_f32_e64 s[4:5], v39, v40
	v_cndmask_b32_e64 v39, v40, v39, s[4:5]
	ds_write_b32 v34, v39
.LBB74_16:
	s_or_b64 exec, exec, s[28:29]
	s_waitcnt lgkmcnt(0)
	s_barrier
	ds_read_b32 v39, v35
	s_abs_i32 s7, s9
	v_cvt_f32_u32_e32 v41, s7
	s_waitcnt lgkmcnt(0)
	v_mov_b32_dpp v40, v39 quad_perm:[1,0,3,2] row_mask:0xf bank_mask:0xf
	v_cmp_gt_f32_e64 s[4:5], v39, v40
	v_rcp_iflag_f32_e32 v41, v41
	v_cndmask_b32_e64 v39, v40, v39, s[4:5]
	s_nop 1
	v_mov_b32_dpp v40, v39 quad_perm:[2,3,0,1] row_mask:0xf bank_mask:0xf
	v_cmp_gt_f32_e64 s[4:5], v39, v40
	v_cndmask_b32_e64 v39, v40, v39, s[4:5]
	v_mul_f32_e32 v40, 0x4f7ffffe, v41
	v_cvt_u32_f32_e32 v40, v40
	s_sub_i32 s5, 0, s7
	s_ashr_i32 s4, s9, 31
	s_xor_b32 s4, s41, s4
	v_readfirstlane_b32 s28, v40
	s_mul_i32 s5, s5, s28
	s_mul_hi_u32 s5, s28, s5
	s_add_i32 s28, s28, s5
	s_mul_hi_u32 s5, s27, s28
	s_mul_i32 s28, s5, s7
	s_sub_i32 s27, s27, s28
	s_add_i32 s28, s5, 1
	s_sub_i32 s29, s27, s7
	s_cmp_ge_u32 s27, s7
	s_cselect_b32 s5, s28, s5
	s_cselect_b32 s27, s29, s27
	s_add_i32 s28, s5, 1
	s_cmp_ge_u32 s27, s7
	s_cselect_b32 s5, s28, s5
	s_xor_b32 s5, s5, s4
	s_sub_i32 s4, s5, s4
	s_mul_i32 s5, s4, s9
	s_sub_i32 s5, s40, s5
	s_mul_i32 s5, s5, s14
	s_mul_i32 s4, s4, s13
	v_mul_f32_e32 v39, 0x3b124925, v39
	s_add_i32 s28, s5, s4
	s_and_saveexec_b64 s[4:5], vcc
	s_cbranch_execz .LBB74_18
; %bb.17:
	s_ashr_i32 s29, s28, 31
	s_lshl_b64 s[36:37], s[28:29], 2
	s_add_u32 s36, s18, s36
	s_addc_u32 s37, s19, s37
	v_mov_b32_e32 v40, 0
	global_store_dword v40, v39, s[36:37]
.LBB74_18:
	s_or_b64 exec, exec, s[4:5]
	s_and_saveexec_b64 s[4:5], s[2:3]
	s_cbranch_execz .LBB74_20
; %bb.19:
	v_rcp_f32_e32 v40, v39
	v_mov_b32_e32 v39, 0xc3e00000
	v_mov_b32_e32 v42, 0x43e00000
	s_mul_i32 s27, s28, s15
	v_mov_b32_e32 v41, v40
	;;#ASMSTART
	v_pk_mul_f32 v[30:31], v[30:31], v[40:41]
	;;#ASMEND
	;;#ASMSTART
	v_med3_f32 v30, v30, v39, v42
v_med3_f32 v31, v31, v39, v42
v_cvt_pk_fp8_f32 v43, v30, v31
	;;#ASMEND
	;;#ASMSTART
	v_pk_mul_f32 v[28:29], v[28:29], v[40:41]
	;;#ASMEND
	;;#ASMSTART
	v_med3_f32 v28, v28, v39, v42
v_med3_f32 v29, v29, v39, v42
v_cvt_pk_fp8_f32 v30, v28, v29
	;;#ASMEND
	;;#ASMSTART
	v_pk_mul_f32 v[26:27], v[26:27], v[40:41]
	;;#ASMEND
	s_mul_hi_i32 s7, s28, s15
	s_add_u32 s36, s16, s27
	;;#ASMSTART
	v_med3_f32 v26, v26, v39, v42
v_med3_f32 v27, v27, v39, v42
v_cvt_pk_fp8_f32 v29, v26, v27
	;;#ASMEND
	;;#ASMSTART
	v_pk_mul_f32 v[24:25], v[24:25], v[40:41]
	;;#ASMEND
	s_addc_u32 s7, s17, s7
	;;#ASMSTART
	v_med3_f32 v24, v24, v39, v42
v_med3_f32 v25, v25, v39, v42
v_cvt_pk_fp8_f32 v26, v24, v25
	;;#ASMEND
	;;#ASMSTART
	v_pk_mul_f32 v[22:23], v[22:23], v[40:41]
	;;#ASMEND
	s_and_b32 s37, s7, 0xffff
	s_mov_b32 s7, 0x5040100
	;;#ASMSTART
	v_med3_f32 v22, v22, v39, v42
v_med3_f32 v23, v23, v39, v42
v_cvt_pk_fp8_f32 v24, v22, v23
	;;#ASMEND
	;;#ASMSTART
	v_pk_mul_f32 v[20:21], v[20:21], v[40:41]
	;;#ASMEND
	v_perm_b32 v28, v30, v43, s7
	s_mov_b32 s7, 0x1060504
	;;#ASMSTART
	v_med3_f32 v20, v20, v39, v42
v_med3_f32 v21, v21, v39, v42
v_cvt_pk_fp8_f32 v22, v20, v21
	;;#ASMEND
	;;#ASMSTART
	v_pk_mul_f32 v[18:19], v[18:19], v[40:41]
	;;#ASMEND
	v_perm_b32 v28, v28, v30, s7
	s_mov_b32 s7, 0x1000504
	;;#ASMSTART
	v_med3_f32 v18, v18, v39, v42
v_med3_f32 v19, v19, v39, v42
v_cvt_pk_fp8_f32 v20, v18, v19
	;;#ASMEND
	;;#ASMSTART
	v_pk_mul_f32 v[16:17], v[16:17], v[40:41]
	;;#ASMEND
	s_mov_b32 s39, 0x20000
	v_perm_b32 v29, v29, v26, s7
	v_perm_b32 v30, v24, v22, s7
	;;#ASMSTART
	v_med3_f32 v16, v16, v39, v42
v_med3_f32 v17, v17, v39, v42
v_cvt_pk_fp8_f32 v18, v16, v17
	;;#ASMEND
	v_perm_b32 v31, v20, v18, s7
	buffer_store_dwordx4 v[28:31], v36, s[36:39], 0 offen
	;;#ASMSTART
	s_nop 0
	;;#ASMEND
.LBB74_20:
	s_or_b64 exec, exec, s[4:5]
	s_cmp_eq_u32 s8, 1
	s_mov_b32 s41, 1
	s_cbranch_scc1 .LBB74_35
.LBB74_21:
	s_abs_i32 s44, s9
	v_cvt_f32_u32_e32 v16, s44
	s_sub_i32 s4, 0, s44
	s_ashr_i32 s45, s9, 31
	v_add_u32_e32 v38, 4, v38
	v_rcp_iflag_f32_e32 v16, v16
	s_mov_b32 s31, 0x20000
	s_mov_b32 s46, 0x2edbe6ff
	v_mov_b32_e32 v39, 0
	v_mul_f32_e32 v16, 0x4f7ffffe, v16
	v_cvt_u32_f32_e32 v16, v16
	v_mov_b32_e32 v40, 0xc3e00000
	v_mov_b32_e32 v41, 0x43e00000
	s_mov_b32 s47, 0x5040100
	v_readfirstlane_b32 s5, v16
	s_mul_i32 s4, s4, s5
	s_mul_hi_u32 s4, s5, s4
	s_add_i32 s48, s5, s4
	s_mov_b32 s49, 0x1060504
	s_mov_b32 s50, 0x1000504
	s_branch .LBB74_24
.LBB74_22:                              ;   in Loop: Header=BB74_24 Depth=1
	s_or_b64 exec, exec, s[4:5]
.LBB74_23:                              ;   in Loop: Header=BB74_24 Depth=1
	s_add_i32 s41, s41, 1
	s_cmp_eq_u32 s8, s41
	v_add_u32_e32 v38, 4, v38
	s_cbranch_scc1 .LBB74_35
.LBB74_24:                              ; =>This Inner Loop Header: Depth=1
	s_and_b32 s4, s41, 63
	s_cmp_lg_u32 s4, 0
	s_cbranch_scc1 .LBB74_26
; %bb.25:                               ;   in Loop: Header=BB74_24 Depth=1
	s_mov_b32 s27, s31
	buffer_load_dword v16, v38, s[24:27], 0 offen
	s_waitcnt vmcnt(0)
	v_lshlrev_b32_e32 v16, 2, v16
	ds_read_b32 v37, v16
.LBB74_26:                              ;   in Loop: Header=BB74_24 Depth=1
	s_waitcnt lgkmcnt(0)
	v_readlane_b32 s28, v37, s4
	s_cmp_lt_i32 s28, 0
	s_cbranch_scc1 .LBB74_23
; %bb.27:                               ;   in Loop: Header=BB74_24 Depth=1
	s_add_i32 s27, s40, s41
	s_abs_i32 s36, s27
	s_mul_hi_u32 s5, s36, s42
	s_mul_i32 s7, s5, s34
	s_ashr_i32 s37, s27, 31
	s_sub_i32 s7, s36, s7
	s_xor_b32 s4, s37, s33
	s_add_i32 s29, s5, 1
	s_sub_i32 s39, s7, s34
	s_cmp_ge_u32 s7, s34
	s_cselect_b32 s5, s29, s5
	s_cselect_b32 s7, s39, s7
	s_add_i32 s29, s5, 1
	s_cmp_ge_u32 s7, s34
	s_cselect_b32 s5, s29, s5
	s_xor_b32 s5, s5, s4
	s_sub_i32 s4, s5, s4
	s_mul_i32 s5, s4, s10
	s_sub_i32 s5, s27, s5
	s_mul_i32 s29, s5, s12
	s_mul_i32 s4, s4, s11
	s_add_i32 s29, s29, s4
	s_cmp_eq_u32 s29, s43
	s_cbranch_scc1 .LBB74_29
; %bb.28:                               ;   in Loop: Header=BB74_24 Depth=1
	s_mul_hi_i32 s5, s29, s15
	s_mul_i32 s4, s29, s15
	s_lshl_b64 s[4:5], s[4:5], 1
	s_add_u32 s4, s20, s4
	s_addc_u32 s5, s21, s5
	s_and_b32 s5, s5, 0xffff
	s_mov_b32 s7, s31
	buffer_load_dwordx4 v[4:7], v32, s[4:7], 0 offen
	buffer_load_dwordx4 v[12:15], v32, s[4:7], 16 offen
	s_mov_b32 s43, s29
	s_waitcnt vmcnt(1)
	v_cvt_f32_f16_e32 v0, v4
	v_cvt_f32_f16_sdwa v1, v4 dst_sel:DWORD dst_unused:UNUSED_PAD src0_sel:WORD_1
	v_cvt_f32_f16_e32 v2, v5
	v_cvt_f32_f16_sdwa v3, v5 dst_sel:DWORD dst_unused:UNUSED_PAD src0_sel:WORD_1
	;; [unrolled: 2-line block ×4, first 2 shown]
	s_waitcnt vmcnt(0)
	v_cvt_f32_f16_e32 v8, v12
	v_cvt_f32_f16_sdwa v9, v12 dst_sel:DWORD dst_unused:UNUSED_PAD src0_sel:WORD_1
	v_cvt_f32_f16_e32 v10, v13
	v_cvt_f32_f16_sdwa v11, v13 dst_sel:DWORD dst_unused:UNUSED_PAD src0_sel:WORD_1
	;; [unrolled: 2-line block ×4, first 2 shown]
.LBB74_29:                              ;   in Loop: Header=BB74_24 Depth=1
	s_mul_i32 s4, s28, s35
	s_ashr_i32 s5, s4, 31
	s_lshl_b64 s[4:5], s[4:5], 2
	s_add_u32 s28, s22, s4
	s_addc_u32 s4, s23, s5
	s_and_b32 s29, s4, 0xffff
	buffer_load_dwordx4 v[16:19], v33, s[28:31], 0 offen
	buffer_load_dwordx4 v[20:23], v33, s[28:31], 16 offen
	;; [unrolled: 1-line block ×4, first 2 shown]
	s_waitcnt vmcnt(3)
	v_pk_mul_f32 v[30:31], v[0:1], v[16:17]
	v_pk_mul_f32 v[28:29], v[2:3], v[18:19]
	s_waitcnt vmcnt(2)
	v_pk_mul_f32 v[24:25], v[6:7], v[22:23]
	s_waitcnt vmcnt(1)
	v_pk_mul_f32 v[22:23], v[8:9], v[42:43]
	v_max3_f32 v42, |v30|, s46, |v31|
	v_pk_mul_f32 v[26:27], v[4:5], v[20:21]
	v_max3_f32 v42, v42, |v28|, |v29|
	v_max3_f32 v42, v42, |v26|, |v27|
	;; [unrolled: 1-line block ×3, first 2 shown]
	v_pk_mul_f32 v[20:21], v[10:11], v[44:45]
	v_max3_f32 v42, v42, |v22|, |v23|
	s_waitcnt vmcnt(0)
	v_pk_mul_f32 v[18:19], v[12:13], v[46:47]
	v_max3_f32 v42, v42, |v20|, |v21|
	v_pk_mul_f32 v[16:17], v[14:15], v[48:49]
	v_max3_f32 v42, v42, |v18|, |v19|
	v_max3_f32 v42, v42, |v16|, |v17|
	s_nop 1
	v_mov_b32_dpp v43, v42 quad_perm:[1,0,3,2] row_mask:0xf bank_mask:0xf
	v_cmp_gt_f32_e64 s[4:5], v42, v43
	v_cndmask_b32_e64 v42, v43, v42, s[4:5]
	s_nop 1
	v_mov_b32_dpp v43, v42 quad_perm:[2,3,0,1] row_mask:0xf bank_mask:0xf
	v_cmp_gt_f32_e64 s[4:5], v42, v43
	v_cndmask_b32_e64 v42, v43, v42, s[4:5]
	s_nop 1
	v_mov_b32_dpp v43, v42 row_half_mirror row_mask:0xf bank_mask:0xf
	v_cmp_gt_f32_e64 s[4:5], v42, v43
	v_cndmask_b32_e64 v42, v43, v42, s[4:5]
	s_nop 1
	v_mov_b32_dpp v43, v42 row_mirror row_mask:0xf bank_mask:0xf
	v_cmp_gt_f32_e64 s[4:5], v42, v43
	v_cndmask_b32_e64 v42, v43, v42, s[4:5]
	s_nop 1
	v_mov_b32_dpp v43, v42 row_bcast:15 row_mask:0xf bank_mask:0xf
	v_cmp_gt_f32_e64 s[4:5], v42, v43
	v_cndmask_b32_e64 v42, v43, v42, s[4:5]
	s_nop 1
	v_mov_b32_dpp v43, v42 row_bcast:31 row_mask:0xf bank_mask:0xf
	s_and_saveexec_b64 s[28:29], s[0:1]
	s_cbranch_execz .LBB74_31
; %bb.30:                               ;   in Loop: Header=BB74_24 Depth=1
	v_cmp_gt_f32_e64 s[4:5], v42, v43
	v_cndmask_b32_e64 v42, v43, v42, s[4:5]
	ds_write_b32 v34, v42
.LBB74_31:                              ;   in Loop: Header=BB74_24 Depth=1
	s_or_b64 exec, exec, s[28:29]
	s_waitcnt lgkmcnt(0)
	s_barrier
	ds_read_b32 v42, v35
	s_waitcnt lgkmcnt(0)
	s_nop 0
	v_mov_b32_dpp v43, v42 quad_perm:[1,0,3,2] row_mask:0xf bank_mask:0xf
	v_cmp_gt_f32_e64 s[4:5], v42, v43
	v_cndmask_b32_e64 v42, v43, v42, s[4:5]
	s_nop 1
	v_mov_b32_dpp v43, v42 quad_perm:[2,3,0,1] row_mask:0xf bank_mask:0xf
	v_cmp_gt_f32_e64 s[4:5], v42, v43
	v_cndmask_b32_e64 v42, v43, v42, s[4:5]
	s_mul_hi_u32 s5, s36, s48
	s_mul_i32 s7, s5, s44
	s_sub_i32 s7, s36, s7
	s_xor_b32 s4, s37, s45
	s_add_i32 s28, s5, 1
	s_sub_i32 s29, s7, s44
	s_cmp_ge_u32 s7, s44
	s_cselect_b32 s5, s28, s5
	s_cselect_b32 s7, s29, s7
	s_add_i32 s28, s5, 1
	s_cmp_ge_u32 s7, s44
	s_cselect_b32 s5, s28, s5
	s_xor_b32 s5, s5, s4
	s_sub_i32 s4, s5, s4
	s_mul_i32 s5, s4, s9
	s_sub_i32 s5, s27, s5
	s_mul_i32 s5, s5, s14
	s_mul_i32 s4, s4, s13
	v_mul_f32_e32 v42, 0x3b124925, v42
	s_add_i32 s28, s5, s4
	s_and_saveexec_b64 s[4:5], vcc
	s_cbranch_execz .LBB74_33
; %bb.32:                               ;   in Loop: Header=BB74_24 Depth=1
	s_ashr_i32 s29, s28, 31
	s_lshl_b64 s[36:37], s[28:29], 2
	s_add_u32 s36, s18, s36
	s_addc_u32 s37, s19, s37
	global_store_dword v39, v42, s[36:37]
.LBB74_33:                              ;   in Loop: Header=BB74_24 Depth=1
	s_or_b64 exec, exec, s[4:5]
	s_and_saveexec_b64 s[4:5], s[2:3]
	s_cbranch_execz .LBB74_22
; %bb.34:                               ;   in Loop: Header=BB74_24 Depth=1
	v_rcp_f32_e32 v42, v42
	s_mul_i32 s27, s28, s15
	s_mul_hi_i32 s7, s28, s15
	s_add_u32 s36, s16, s27
	v_mov_b32_e32 v43, v42
	;;#ASMSTART
	v_pk_mul_f32 v[30:31], v[30:31], v[42:43]
	;;#ASMEND
	;;#ASMSTART
	v_med3_f32 v30, v30, v40, v41
v_med3_f32 v31, v31, v40, v41
v_cvt_pk_fp8_f32 v44, v30, v31
	;;#ASMEND
	;;#ASMSTART
	v_pk_mul_f32 v[28:29], v[28:29], v[42:43]
	;;#ASMEND
	;;#ASMSTART
	v_med3_f32 v28, v28, v40, v41
v_med3_f32 v29, v29, v40, v41
v_cvt_pk_fp8_f32 v30, v28, v29
	;;#ASMEND
	;;#ASMSTART
	v_pk_mul_f32 v[26:27], v[26:27], v[42:43]
	;;#ASMEND
	;;#ASMSTART
	v_med3_f32 v26, v26, v40, v41
v_med3_f32 v27, v27, v40, v41
v_cvt_pk_fp8_f32 v29, v26, v27
	;;#ASMEND
	;;#ASMSTART
	v_pk_mul_f32 v[24:25], v[24:25], v[42:43]
	;;#ASMEND
	;;#ASMSTART
	v_med3_f32 v24, v24, v40, v41
v_med3_f32 v25, v25, v40, v41
v_cvt_pk_fp8_f32 v26, v24, v25
	;;#ASMEND
	;;#ASMSTART
	v_pk_mul_f32 v[22:23], v[22:23], v[42:43]
	;;#ASMEND
	;;#ASMSTART
	v_med3_f32 v22, v22, v40, v41
v_med3_f32 v23, v23, v40, v41
v_cvt_pk_fp8_f32 v24, v22, v23
	;;#ASMEND
	;;#ASMSTART
	v_pk_mul_f32 v[20:21], v[20:21], v[42:43]
	;;#ASMEND
	;;#ASMSTART
	v_med3_f32 v20, v20, v40, v41
v_med3_f32 v21, v21, v40, v41
v_cvt_pk_fp8_f32 v22, v20, v21
	;;#ASMEND
	;;#ASMSTART
	v_pk_mul_f32 v[18:19], v[18:19], v[42:43]
	;;#ASMEND
	s_addc_u32 s7, s17, s7
	v_perm_b32 v28, v30, v44, s47
	;;#ASMSTART
	v_med3_f32 v18, v18, v40, v41
v_med3_f32 v19, v19, v40, v41
v_cvt_pk_fp8_f32 v20, v18, v19
	;;#ASMEND
	;;#ASMSTART
	v_pk_mul_f32 v[16:17], v[16:17], v[42:43]
	;;#ASMEND
	s_and_b32 s37, s7, 0xffff
	s_mov_b32 s39, s31
	v_perm_b32 v28, v28, v30, s49
	v_perm_b32 v29, v29, v26, s50
	;; [unrolled: 1-line block ×3, first 2 shown]
	;;#ASMSTART
	v_med3_f32 v16, v16, v40, v41
v_med3_f32 v17, v17, v40, v41
v_cvt_pk_fp8_f32 v18, v16, v17
	;;#ASMEND
	v_perm_b32 v31, v20, v18, s50
	buffer_store_dwordx4 v[28:31], v36, s[36:39], 0 offen
	;;#ASMSTART
	s_nop 0
	;;#ASMEND
	s_branch .LBB74_22
.LBB74_35:
	s_endpgm
	.section	.rodata,"a",@progbits
	.p2align	6, 0x0
	.amdhsa_kernel _ZN5aiter36smooth_per_token_scaled_quant_kernelIDF16_DB8_Li256ELi16ELb1ELb1ELb1ELi1024EEEvPT0_PfPT_S4_PiS7_iiPKiiiiiiiii
		.amdhsa_group_segment_fixed_size 4112
		.amdhsa_private_segment_fixed_size 0
		.amdhsa_kernarg_size 96
		.amdhsa_user_sgpr_count 6
		.amdhsa_user_sgpr_private_segment_buffer 1
		.amdhsa_user_sgpr_dispatch_ptr 0
		.amdhsa_user_sgpr_queue_ptr 0
		.amdhsa_user_sgpr_kernarg_segment_ptr 1
		.amdhsa_user_sgpr_dispatch_id 0
		.amdhsa_user_sgpr_flat_scratch_init 0
		.amdhsa_user_sgpr_kernarg_preload_length 0
		.amdhsa_user_sgpr_kernarg_preload_offset 0
		.amdhsa_user_sgpr_private_segment_size 0
		.amdhsa_uses_dynamic_stack 0
		.amdhsa_system_sgpr_private_segment_wavefront_offset 0
		.amdhsa_system_sgpr_workgroup_id_x 1
		.amdhsa_system_sgpr_workgroup_id_y 0
		.amdhsa_system_sgpr_workgroup_id_z 0
		.amdhsa_system_sgpr_workgroup_info 0
		.amdhsa_system_vgpr_workitem_id 0
		.amdhsa_next_free_vgpr 50
		.amdhsa_next_free_sgpr 51
		.amdhsa_accum_offset 52
		.amdhsa_reserve_vcc 1
		.amdhsa_reserve_flat_scratch 0
		.amdhsa_float_round_mode_32 0
		.amdhsa_float_round_mode_16_64 0
		.amdhsa_float_denorm_mode_32 3
		.amdhsa_float_denorm_mode_16_64 3
		.amdhsa_dx10_clamp 1
		.amdhsa_ieee_mode 1
		.amdhsa_fp16_overflow 0
		.amdhsa_tg_split 0
		.amdhsa_exception_fp_ieee_invalid_op 0
		.amdhsa_exception_fp_denorm_src 0
		.amdhsa_exception_fp_ieee_div_zero 0
		.amdhsa_exception_fp_ieee_overflow 0
		.amdhsa_exception_fp_ieee_underflow 0
		.amdhsa_exception_fp_ieee_inexact 0
		.amdhsa_exception_int_div_zero 0
	.end_amdhsa_kernel
	.section	.text._ZN5aiter36smooth_per_token_scaled_quant_kernelIDF16_DB8_Li256ELi16ELb1ELb1ELb1ELi1024EEEvPT0_PfPT_S4_PiS7_iiPKiiiiiiiii,"axG",@progbits,_ZN5aiter36smooth_per_token_scaled_quant_kernelIDF16_DB8_Li256ELi16ELb1ELb1ELb1ELi1024EEEvPT0_PfPT_S4_PiS7_iiPKiiiiiiiii,comdat
.Lfunc_end74:
	.size	_ZN5aiter36smooth_per_token_scaled_quant_kernelIDF16_DB8_Li256ELi16ELb1ELb1ELb1ELi1024EEEvPT0_PfPT_S4_PiS7_iiPKiiiiiiiii, .Lfunc_end74-_ZN5aiter36smooth_per_token_scaled_quant_kernelIDF16_DB8_Li256ELi16ELb1ELb1ELb1ELi1024EEEvPT0_PfPT_S4_PiS7_iiPKiiiiiiiii
                                        ; -- End function
	.section	.AMDGPU.csdata,"",@progbits
; Kernel info:
; codeLenInByte = 3448
; NumSgprs: 55
; NumVgprs: 50
; NumAgprs: 0
; TotalNumVgprs: 50
; ScratchSize: 0
; MemoryBound: 0
; FloatMode: 240
; IeeeMode: 1
; LDSByteSize: 4112 bytes/workgroup (compile time only)
; SGPRBlocks: 6
; VGPRBlocks: 6
; NumSGPRsForWavesPerEU: 55
; NumVGPRsForWavesPerEU: 50
; AccumOffset: 52
; Occupancy: 8
; WaveLimiterHint : 0
; COMPUTE_PGM_RSRC2:SCRATCH_EN: 0
; COMPUTE_PGM_RSRC2:USER_SGPR: 6
; COMPUTE_PGM_RSRC2:TRAP_HANDLER: 0
; COMPUTE_PGM_RSRC2:TGID_X_EN: 1
; COMPUTE_PGM_RSRC2:TGID_Y_EN: 0
; COMPUTE_PGM_RSRC2:TGID_Z_EN: 0
; COMPUTE_PGM_RSRC2:TIDIG_COMP_CNT: 0
; COMPUTE_PGM_RSRC3_GFX90A:ACCUM_OFFSET: 12
; COMPUTE_PGM_RSRC3_GFX90A:TG_SPLIT: 0
	.section	.text._ZN5aiter36smooth_per_token_scaled_quant_kernelItDB8_Li256ELi16ELb1ELb1ELb1ELi1024EEEvPT0_PfPT_S4_PiS7_iiPKiiiiiiiii,"axG",@progbits,_ZN5aiter36smooth_per_token_scaled_quant_kernelItDB8_Li256ELi16ELb1ELb1ELb1ELi1024EEEvPT0_PfPT_S4_PiS7_iiPKiiiiiiiii,comdat
	.protected	_ZN5aiter36smooth_per_token_scaled_quant_kernelItDB8_Li256ELi16ELb1ELb1ELb1ELi1024EEEvPT0_PfPT_S4_PiS7_iiPKiiiiiiiii ; -- Begin function _ZN5aiter36smooth_per_token_scaled_quant_kernelItDB8_Li256ELi16ELb1ELb1ELb1ELi1024EEEvPT0_PfPT_S4_PiS7_iiPKiiiiiiiii
	.globl	_ZN5aiter36smooth_per_token_scaled_quant_kernelItDB8_Li256ELi16ELb1ELb1ELb1ELi1024EEEvPT0_PfPT_S4_PiS7_iiPKiiiiiiiii
	.p2align	8
	.type	_ZN5aiter36smooth_per_token_scaled_quant_kernelItDB8_Li256ELi16ELb1ELb1ELb1ELi1024EEEvPT0_PfPT_S4_PiS7_iiPKiiiiiiiii,@function
_ZN5aiter36smooth_per_token_scaled_quant_kernelItDB8_Li256ELi16ELb1ELb1ELb1ELi1024EEEvPT0_PfPT_S4_PiS7_iiPKiiiiiiiii: ; @_ZN5aiter36smooth_per_token_scaled_quant_kernelItDB8_Li256ELi16ELb1ELb1ELb1ELi1024EEEvPT0_PfPT_S4_PiS7_iiPKiiiiiiiii
; %bb.0:
	s_load_dwordx2 s[16:17], s[4:5], 0x38
	s_load_dwordx2 s[0:1], s[4:5], 0x28
	s_load_dwordx8 s[8:15], s[4:5], 0x40
	s_mov_b64 s[2:3], 0
	s_waitcnt lgkmcnt(0)
	s_cmp_lg_u64 s[16:17], 0
	s_cbranch_scc0 .LBB75_11
; %bb.1:
	s_load_dword s7, s[16:17], 0x0
	s_waitcnt lgkmcnt(0)
	s_mul_i32 s7, s7, s8
	s_andn2_b64 vcc, exec, s[2:3]
	s_cbranch_vccnz .LBB75_3
.LBB75_2:
	s_mul_i32 s7, s10, s9
.LBB75_3:
	s_load_dwordx2 s[34:35], s[4:5], 0x30
	v_and_b32_e32 v1, 0x3c0, v0
	v_lshlrev_b32_e32 v1, 2, v1
	v_lshlrev_b32_e32 v2, 2, v0
	v_readfirstlane_b32 s8, v1
	v_add_u32_e32 v3, 0x400, v1
	s_lshl_b32 s2, s15, 2
	s_and_b32 s1, s1, 0xffff
	s_mov_b32 s3, 0x20000
	;;#ASMSTART
	s_mov_b32 m0 s8
	buffer_load_dword v2, s[0:3], 0 offen offset:0 lds
	
	;;#ASMEND
	v_readfirstlane_b32 s8, v3
	v_add_u32_e32 v3, 0x400, v2
	;;#ASMSTART
	s_mov_b32 m0 s8
	buffer_load_dword v3, s[0:3], 0 offen offset:0 lds
	
	;;#ASMEND
	v_add_u32_e32 v3, 0x800, v1
	s_waitcnt lgkmcnt(0)
	s_abs_i32 s15, s34
	v_readfirstlane_b32 s8, v3
	v_cvt_f32_u32_e32 v3, s15
	v_add_u32_e32 v1, 0xc00, v1
	v_add_u32_e32 v4, 0x800, v2
	v_readfirstlane_b32 s18, v1
	v_rcp_iflag_f32_e32 v3, v3
	v_add_u32_e32 v1, 0xc00, v2
	s_sub_i32 s17, 0, s15
	s_abs_i32 s16, s7
	v_mul_f32_e32 v2, 0x4f7ffffe, v3
	v_cvt_u32_f32_e32 v2, v2
	;;#ASMSTART
	s_mov_b32 m0 s8
	buffer_load_dword v4, s[0:3], 0 offen offset:0 lds
	
	;;#ASMEND
	s_xor_b32 s8, s7, s34
	s_ashr_i32 s8, s8, 31
	v_readfirstlane_b32 s19, v2
	s_mul_i32 s17, s17, s19
	s_mul_hi_u32 s17, s19, s17
	s_add_i32 s19, s19, s17
	s_mul_hi_u32 s17, s16, s19
	s_mul_i32 s19, s17, s15
	s_sub_i32 s16, s16, s19
	s_add_i32 s19, s17, 1
	s_sub_i32 s20, s16, s15
	s_cmp_ge_u32 s16, s15
	s_cselect_b32 s17, s19, s17
	s_cselect_b32 s16, s20, s16
	s_add_i32 s19, s17, 1
	s_cmp_ge_u32 s16, s15
	s_cselect_b32 s15, s19, s17
	s_xor_b32 s15, s15, s8
	s_sub_i32 s8, s15, s8
	s_mul_i32 s15, s8, s34
	s_sub_i32 s15, s7, s15
	s_cmp_lt_u32 s6, s15
	;;#ASMSTART
	s_mov_b32 m0 s18
	buffer_load_dword v1, s[0:3], 0 offen offset:0 lds
	
	;;#ASMEND
	s_cselect_b64 s[16:17], -1, 0
	s_add_i32 s7, s8, 1
	s_cmp_ge_u32 s6, s15
	s_cbranch_scc0 .LBB75_5
; %bb.4:
	s_sub_i32 s1, s6, s15
	s_mul_i32 s0, s15, s7
	s_mul_i32 s1, s1, s8
	s_add_i32 s40, s1, s0
	s_cbranch_execz .LBB75_6
	s_branch .LBB75_7
.LBB75_5:
                                        ; implicit-def: $sgpr40
.LBB75_6:
	s_mul_i32 s40, s7, s6
.LBB75_7:
	v_cndmask_b32_e64 v1, 0, 1, s[16:17]
	v_readfirstlane_b32 s0, v1
	s_add_i32 s8, s8, s0
	s_cmp_lt_i32 s8, 1
	s_cbranch_scc1 .LBB75_35
; %bb.8:
	s_load_dwordx2 s[0:1], s[4:5], 0x20
	s_ashr_i32 s41, s40, 31
	s_lshl_b64 s[2:3], s[40:41], 2
	v_and_b32_e32 v1, 63, v0
	s_mov_b32 s27, 0x20000
	s_waitcnt lgkmcnt(0)
	s_add_u32 s24, s0, s2
	s_addc_u32 s0, s1, s3
	s_lshl_b32 s26, s8, 2
	s_and_b32 s25, s0, 0xffff
	v_lshlrev_b32_e32 v38, 2, v1
	buffer_load_dword v2, v38, s[24:27], 0 offen
	s_abs_i32 s34, s10
	v_cmp_eq_u32_e64 s[0:1], 63, v1
	v_cvt_f32_u32_e32 v1, s34
	s_add_i32 s2, s35, 15
	s_load_dwordx8 s[16:23], s[4:5], 0x0
	s_ashr_i32 s4, s2, 31
	v_rcp_iflag_f32_e32 v1, v1
	s_waitcnt vmcnt(0) lgkmcnt(0)
	s_barrier
	v_mul_f32_e32 v1, 0x4f7ffffe, v1
	v_cvt_u32_f32_e32 v1, v1
	s_add_i32 s3, s35, 3
	s_lshr_b32 s4, s4, 28
	s_ashr_i32 s5, s3, 31
	s_add_i32 s2, s2, s4
	s_sub_i32 s4, 0, s34
	v_readfirstlane_b32 s42, v1
	s_lshr_b32 s5, s5, 30
	s_mul_i32 s4, s4, s42
	s_add_i32 s3, s3, s5
	s_mul_hi_u32 s4, s42, s4
	v_lshrrev_b32_e32 v3, 4, v0
	v_mov_b32_e32 v4, 0x1000
	v_and_b32_e32 v5, 3, v0
	s_lshl_b32 s6, s35, 1
	s_lshl_b32 s30, s35, 2
	s_ashr_i32 s33, s10, 31
	s_ashr_i32 s2, s2, 4
	s_and_b32 s38, s3, -4
	s_add_i32 s42, s42, s4
	s_mov_b32 s15, s35
	v_lshlrev_b32_e32 v32, 5, v0
	v_lshlrev_b32_e32 v33, 6, v0
	v_cmp_eq_u32_e32 vcc, 0, v0
	v_and_or_b32 v34, v3, 60, v4
	v_lshl_or_b32 v35, v5, 2, v4
	v_cmp_gt_u32_e64 s[2:3], s2, v0
	v_lshlrev_b32_e32 v36, 4, v0
	v_lshlrev_b32_e32 v2, 2, v2
	ds_read_b32 v37, v2
	s_waitcnt lgkmcnt(0)
	v_readlane_b32 s28, v37, 0
	s_cmp_lt_i32 s28, 0
	s_cbranch_scc1 .LBB75_12
; %bb.9:
	s_abs_i32 s27, s40
	s_mul_hi_u32 s4, s27, s42
	s_mul_i32 s7, s4, s34
	s_sub_i32 s7, s27, s7
	s_xor_b32 s5, s41, s33
	s_add_i32 s29, s4, 1
	s_sub_i32 s31, s7, s34
	s_cmp_ge_u32 s7, s34
	s_cselect_b32 s4, s29, s4
	s_cselect_b32 s7, s31, s7
	s_add_i32 s29, s4, 1
	s_cmp_ge_u32 s7, s34
	s_cselect_b32 s4, s29, s4
	s_xor_b32 s4, s4, s5
	s_sub_i32 s4, s4, s5
	s_mul_i32 s5, s4, s10
	s_sub_i32 s5, s40, s5
	s_mul_i32 s5, s5, s12
	s_mul_i32 s4, s4, s11
	s_add_i32 s43, s5, s4
	s_cmp_eq_u32 s43, -1
	s_cbranch_scc1 .LBB75_13
; %bb.10:
	s_mul_hi_i32 s5, s43, s15
	s_mul_i32 s4, s43, s15
	s_lshl_b64 s[4:5], s[4:5], 1
	s_add_u32 s4, s20, s4
	s_addc_u32 s5, s21, s5
	s_and_b32 s5, s5, 0xffff
	s_mov_b32 s7, 0x20000
	buffer_load_dwordx4 v[6:9], v32, s[4:7], 0 offen
	buffer_load_dwordx4 v[14:17], v32, s[4:7], 16 offen
	s_waitcnt vmcnt(1)
	v_cvt_f32_u32_sdwa v1, v6 dst_sel:DWORD dst_unused:UNUSED_PAD src0_sel:WORD_1
	v_cvt_f32_u32_sdwa v0, v6 dst_sel:DWORD dst_unused:UNUSED_PAD src0_sel:WORD_0
	v_cvt_f32_u32_sdwa v3, v7 dst_sel:DWORD dst_unused:UNUSED_PAD src0_sel:WORD_1
	v_cvt_f32_u32_sdwa v2, v7 dst_sel:DWORD dst_unused:UNUSED_PAD src0_sel:WORD_0
	;; [unrolled: 2-line block ×4, first 2 shown]
	s_waitcnt vmcnt(0)
	v_cvt_f32_u32_sdwa v9, v14 dst_sel:DWORD dst_unused:UNUSED_PAD src0_sel:WORD_1
	v_cvt_f32_u32_sdwa v8, v14 dst_sel:DWORD dst_unused:UNUSED_PAD src0_sel:WORD_0
	v_cvt_f32_u32_sdwa v11, v15 dst_sel:DWORD dst_unused:UNUSED_PAD src0_sel:WORD_1
	v_cvt_f32_u32_sdwa v10, v15 dst_sel:DWORD dst_unused:UNUSED_PAD src0_sel:WORD_0
	v_cvt_f32_u32_sdwa v13, v16 dst_sel:DWORD dst_unused:UNUSED_PAD src0_sel:WORD_1
	v_cvt_f32_u32_sdwa v12, v16 dst_sel:DWORD dst_unused:UNUSED_PAD src0_sel:WORD_0
	v_cvt_f32_u32_sdwa v15, v17 dst_sel:DWORD dst_unused:UNUSED_PAD src0_sel:WORD_1
	v_cvt_f32_u32_sdwa v14, v17 dst_sel:DWORD dst_unused:UNUSED_PAD src0_sel:WORD_0
	s_branch .LBB75_14
.LBB75_11:
                                        ; implicit-def: $sgpr7
	s_branch .LBB75_2
.LBB75_12:
	s_mov_b32 s43, -1
                                        ; implicit-def: $vgpr0_vgpr1_vgpr2_vgpr3_vgpr4_vgpr5_vgpr6_vgpr7_vgpr8_vgpr9_vgpr10_vgpr11_vgpr12_vgpr13_vgpr14_vgpr15
	s_cmp_eq_u32 s8, 1
	s_mov_b32 s41, 1
	s_cbranch_scc0 .LBB75_21
	s_branch .LBB75_35
.LBB75_13:
                                        ; implicit-def: $vgpr0_vgpr1_vgpr2_vgpr3_vgpr4_vgpr5_vgpr6_vgpr7_vgpr8_vgpr9_vgpr10_vgpr11_vgpr12_vgpr13_vgpr14_vgpr15
.LBB75_14:
	s_mul_i32 s4, s28, s35
	s_ashr_i32 s5, s4, 31
	s_lshl_b64 s[4:5], s[4:5], 2
	s_add_u32 s28, s22, s4
	s_addc_u32 s4, s23, s5
	s_and_b32 s29, s4, 0xffff
	s_mov_b32 s31, 0x20000
	buffer_load_dwordx4 v[16:19], v33, s[28:31], 0 offen
	buffer_load_dwordx4 v[20:23], v33, s[28:31], 16 offen
	;; [unrolled: 1-line block ×4, first 2 shown]
	s_mov_b32 s4, 0x2edbe6ff
	s_waitcnt vmcnt(3)
	v_pk_mul_f32 v[30:31], v[0:1], v[16:17]
	v_pk_mul_f32 v[28:29], v[2:3], v[18:19]
	v_max3_f32 v39, |v30|, s4, |v31|
	s_waitcnt vmcnt(2)
	v_pk_mul_f32 v[26:27], v[4:5], v[20:21]
	v_max3_f32 v39, v39, |v28|, |v29|
	v_pk_mul_f32 v[24:25], v[6:7], v[22:23]
	v_max3_f32 v39, v39, |v26|, |v27|
	s_waitcnt vmcnt(1)
	v_pk_mul_f32 v[22:23], v[8:9], v[40:41]
	v_max3_f32 v39, v39, |v24|, |v25|
	v_pk_mul_f32 v[20:21], v[10:11], v[42:43]
	v_max3_f32 v39, v39, |v22|, |v23|
	;; [unrolled: 5-line block ×3, first 2 shown]
	v_max3_f32 v39, v39, |v16|, |v17|
	s_nop 1
	v_mov_b32_dpp v40, v39 quad_perm:[1,0,3,2] row_mask:0xf bank_mask:0xf
	v_cmp_gt_f32_e64 s[4:5], v39, v40
	v_cndmask_b32_e64 v39, v40, v39, s[4:5]
	s_nop 1
	v_mov_b32_dpp v40, v39 quad_perm:[2,3,0,1] row_mask:0xf bank_mask:0xf
	v_cmp_gt_f32_e64 s[4:5], v39, v40
	v_cndmask_b32_e64 v39, v40, v39, s[4:5]
	s_nop 1
	v_mov_b32_dpp v40, v39 row_half_mirror row_mask:0xf bank_mask:0xf
	v_cmp_gt_f32_e64 s[4:5], v39, v40
	v_cndmask_b32_e64 v39, v40, v39, s[4:5]
	s_nop 1
	v_mov_b32_dpp v40, v39 row_mirror row_mask:0xf bank_mask:0xf
	v_cmp_gt_f32_e64 s[4:5], v39, v40
	v_cndmask_b32_e64 v39, v40, v39, s[4:5]
	s_nop 1
	v_mov_b32_dpp v40, v39 row_bcast:15 row_mask:0xf bank_mask:0xf
	v_cmp_gt_f32_e64 s[4:5], v39, v40
	v_cndmask_b32_e64 v39, v40, v39, s[4:5]
	s_nop 1
	v_mov_b32_dpp v40, v39 row_bcast:31 row_mask:0xf bank_mask:0xf
	s_and_saveexec_b64 s[28:29], s[0:1]
	s_cbranch_execz .LBB75_16
; %bb.15:
	v_cmp_gt_f32_e64 s[4:5], v39, v40
	v_cndmask_b32_e64 v39, v40, v39, s[4:5]
	ds_write_b32 v34, v39
.LBB75_16:
	s_or_b64 exec, exec, s[28:29]
	s_waitcnt lgkmcnt(0)
	s_barrier
	ds_read_b32 v39, v35
	s_abs_i32 s7, s9
	v_cvt_f32_u32_e32 v41, s7
	s_waitcnt lgkmcnt(0)
	v_mov_b32_dpp v40, v39 quad_perm:[1,0,3,2] row_mask:0xf bank_mask:0xf
	v_cmp_gt_f32_e64 s[4:5], v39, v40
	v_rcp_iflag_f32_e32 v41, v41
	v_cndmask_b32_e64 v39, v40, v39, s[4:5]
	s_nop 1
	v_mov_b32_dpp v40, v39 quad_perm:[2,3,0,1] row_mask:0xf bank_mask:0xf
	v_cmp_gt_f32_e64 s[4:5], v39, v40
	v_cndmask_b32_e64 v39, v40, v39, s[4:5]
	v_mul_f32_e32 v40, 0x4f7ffffe, v41
	v_cvt_u32_f32_e32 v40, v40
	s_sub_i32 s5, 0, s7
	s_ashr_i32 s4, s9, 31
	s_xor_b32 s4, s41, s4
	v_readfirstlane_b32 s28, v40
	s_mul_i32 s5, s5, s28
	s_mul_hi_u32 s5, s28, s5
	s_add_i32 s28, s28, s5
	s_mul_hi_u32 s5, s27, s28
	s_mul_i32 s28, s5, s7
	s_sub_i32 s27, s27, s28
	s_add_i32 s28, s5, 1
	s_sub_i32 s29, s27, s7
	s_cmp_ge_u32 s27, s7
	s_cselect_b32 s5, s28, s5
	s_cselect_b32 s27, s29, s27
	s_add_i32 s28, s5, 1
	s_cmp_ge_u32 s27, s7
	s_cselect_b32 s5, s28, s5
	s_xor_b32 s5, s5, s4
	s_sub_i32 s4, s5, s4
	s_mul_i32 s5, s4, s9
	s_sub_i32 s5, s40, s5
	s_mul_i32 s5, s5, s14
	s_mul_i32 s4, s4, s13
	v_mul_f32_e32 v39, 0x3b124925, v39
	s_add_i32 s28, s5, s4
	s_and_saveexec_b64 s[4:5], vcc
	s_cbranch_execz .LBB75_18
; %bb.17:
	s_ashr_i32 s29, s28, 31
	s_lshl_b64 s[36:37], s[28:29], 2
	s_add_u32 s36, s18, s36
	s_addc_u32 s37, s19, s37
	v_mov_b32_e32 v40, 0
	global_store_dword v40, v39, s[36:37]
.LBB75_18:
	s_or_b64 exec, exec, s[4:5]
	s_and_saveexec_b64 s[4:5], s[2:3]
	s_cbranch_execz .LBB75_20
; %bb.19:
	v_rcp_f32_e32 v40, v39
	v_mov_b32_e32 v39, 0xc3e00000
	v_mov_b32_e32 v42, 0x43e00000
	s_mul_i32 s27, s28, s15
	v_mov_b32_e32 v41, v40
	;;#ASMSTART
	v_pk_mul_f32 v[30:31], v[30:31], v[40:41]
	;;#ASMEND
	;;#ASMSTART
	v_med3_f32 v30, v30, v39, v42
v_med3_f32 v31, v31, v39, v42
v_cvt_pk_fp8_f32 v43, v30, v31
	;;#ASMEND
	;;#ASMSTART
	v_pk_mul_f32 v[28:29], v[28:29], v[40:41]
	;;#ASMEND
	;;#ASMSTART
	v_med3_f32 v28, v28, v39, v42
v_med3_f32 v29, v29, v39, v42
v_cvt_pk_fp8_f32 v30, v28, v29
	;;#ASMEND
	;;#ASMSTART
	v_pk_mul_f32 v[26:27], v[26:27], v[40:41]
	;;#ASMEND
	s_mul_hi_i32 s7, s28, s15
	s_add_u32 s36, s16, s27
	;;#ASMSTART
	v_med3_f32 v26, v26, v39, v42
v_med3_f32 v27, v27, v39, v42
v_cvt_pk_fp8_f32 v29, v26, v27
	;;#ASMEND
	;;#ASMSTART
	v_pk_mul_f32 v[24:25], v[24:25], v[40:41]
	;;#ASMEND
	s_addc_u32 s7, s17, s7
	;;#ASMSTART
	v_med3_f32 v24, v24, v39, v42
v_med3_f32 v25, v25, v39, v42
v_cvt_pk_fp8_f32 v26, v24, v25
	;;#ASMEND
	;;#ASMSTART
	v_pk_mul_f32 v[22:23], v[22:23], v[40:41]
	;;#ASMEND
	s_and_b32 s37, s7, 0xffff
	s_mov_b32 s7, 0x5040100
	;;#ASMSTART
	v_med3_f32 v22, v22, v39, v42
v_med3_f32 v23, v23, v39, v42
v_cvt_pk_fp8_f32 v24, v22, v23
	;;#ASMEND
	;;#ASMSTART
	v_pk_mul_f32 v[20:21], v[20:21], v[40:41]
	;;#ASMEND
	v_perm_b32 v28, v30, v43, s7
	s_mov_b32 s7, 0x1060504
	;;#ASMSTART
	v_med3_f32 v20, v20, v39, v42
v_med3_f32 v21, v21, v39, v42
v_cvt_pk_fp8_f32 v22, v20, v21
	;;#ASMEND
	;;#ASMSTART
	v_pk_mul_f32 v[18:19], v[18:19], v[40:41]
	;;#ASMEND
	v_perm_b32 v28, v28, v30, s7
	s_mov_b32 s7, 0x1000504
	;;#ASMSTART
	v_med3_f32 v18, v18, v39, v42
v_med3_f32 v19, v19, v39, v42
v_cvt_pk_fp8_f32 v20, v18, v19
	;;#ASMEND
	;;#ASMSTART
	v_pk_mul_f32 v[16:17], v[16:17], v[40:41]
	;;#ASMEND
	s_mov_b32 s39, 0x20000
	v_perm_b32 v29, v29, v26, s7
	v_perm_b32 v30, v24, v22, s7
	;;#ASMSTART
	v_med3_f32 v16, v16, v39, v42
v_med3_f32 v17, v17, v39, v42
v_cvt_pk_fp8_f32 v18, v16, v17
	;;#ASMEND
	v_perm_b32 v31, v20, v18, s7
	buffer_store_dwordx4 v[28:31], v36, s[36:39], 0 offen
	;;#ASMSTART
	s_nop 0
	;;#ASMEND
.LBB75_20:
	s_or_b64 exec, exec, s[4:5]
	s_cmp_eq_u32 s8, 1
	s_mov_b32 s41, 1
	s_cbranch_scc1 .LBB75_35
.LBB75_21:
	s_abs_i32 s44, s9
	v_cvt_f32_u32_e32 v16, s44
	s_sub_i32 s4, 0, s44
	s_ashr_i32 s45, s9, 31
	v_add_u32_e32 v38, 4, v38
	v_rcp_iflag_f32_e32 v16, v16
	s_mov_b32 s31, 0x20000
	s_mov_b32 s46, 0x2edbe6ff
	v_mov_b32_e32 v39, 0
	v_mul_f32_e32 v16, 0x4f7ffffe, v16
	v_cvt_u32_f32_e32 v16, v16
	v_mov_b32_e32 v40, 0xc3e00000
	v_mov_b32_e32 v41, 0x43e00000
	s_mov_b32 s47, 0x5040100
	v_readfirstlane_b32 s5, v16
	s_mul_i32 s4, s4, s5
	s_mul_hi_u32 s4, s5, s4
	s_add_i32 s48, s5, s4
	s_mov_b32 s49, 0x1060504
	s_mov_b32 s50, 0x1000504
	s_branch .LBB75_24
.LBB75_22:                              ;   in Loop: Header=BB75_24 Depth=1
	s_or_b64 exec, exec, s[4:5]
.LBB75_23:                              ;   in Loop: Header=BB75_24 Depth=1
	s_add_i32 s41, s41, 1
	s_cmp_eq_u32 s8, s41
	v_add_u32_e32 v38, 4, v38
	s_cbranch_scc1 .LBB75_35
.LBB75_24:                              ; =>This Inner Loop Header: Depth=1
	s_and_b32 s4, s41, 63
	s_cmp_lg_u32 s4, 0
	s_cbranch_scc1 .LBB75_26
; %bb.25:                               ;   in Loop: Header=BB75_24 Depth=1
	s_mov_b32 s27, s31
	buffer_load_dword v16, v38, s[24:27], 0 offen
	s_waitcnt vmcnt(0)
	v_lshlrev_b32_e32 v16, 2, v16
	ds_read_b32 v37, v16
.LBB75_26:                              ;   in Loop: Header=BB75_24 Depth=1
	s_waitcnt lgkmcnt(0)
	v_readlane_b32 s28, v37, s4
	s_cmp_lt_i32 s28, 0
	s_cbranch_scc1 .LBB75_23
; %bb.27:                               ;   in Loop: Header=BB75_24 Depth=1
	s_add_i32 s27, s40, s41
	s_abs_i32 s36, s27
	s_mul_hi_u32 s5, s36, s42
	s_mul_i32 s7, s5, s34
	s_ashr_i32 s37, s27, 31
	s_sub_i32 s7, s36, s7
	s_xor_b32 s4, s37, s33
	s_add_i32 s29, s5, 1
	s_sub_i32 s39, s7, s34
	s_cmp_ge_u32 s7, s34
	s_cselect_b32 s5, s29, s5
	s_cselect_b32 s7, s39, s7
	s_add_i32 s29, s5, 1
	s_cmp_ge_u32 s7, s34
	s_cselect_b32 s5, s29, s5
	s_xor_b32 s5, s5, s4
	s_sub_i32 s4, s5, s4
	s_mul_i32 s5, s4, s10
	s_sub_i32 s5, s27, s5
	s_mul_i32 s29, s5, s12
	s_mul_i32 s4, s4, s11
	s_add_i32 s29, s29, s4
	s_cmp_eq_u32 s29, s43
	s_cbranch_scc1 .LBB75_29
; %bb.28:                               ;   in Loop: Header=BB75_24 Depth=1
	s_mul_hi_i32 s5, s29, s15
	s_mul_i32 s4, s29, s15
	s_lshl_b64 s[4:5], s[4:5], 1
	s_add_u32 s4, s20, s4
	s_addc_u32 s5, s21, s5
	s_and_b32 s5, s5, 0xffff
	s_mov_b32 s7, s31
	buffer_load_dwordx4 v[6:9], v32, s[4:7], 0 offen
	buffer_load_dwordx4 v[14:17], v32, s[4:7], 16 offen
	s_mov_b32 s43, s29
	s_waitcnt vmcnt(1)
	v_cvt_f32_u32_sdwa v1, v6 dst_sel:DWORD dst_unused:UNUSED_PAD src0_sel:WORD_1
	v_cvt_f32_u32_sdwa v0, v6 dst_sel:DWORD dst_unused:UNUSED_PAD src0_sel:WORD_0
	v_cvt_f32_u32_sdwa v3, v7 dst_sel:DWORD dst_unused:UNUSED_PAD src0_sel:WORD_1
	v_cvt_f32_u32_sdwa v2, v7 dst_sel:DWORD dst_unused:UNUSED_PAD src0_sel:WORD_0
	;; [unrolled: 2-line block ×4, first 2 shown]
	s_waitcnt vmcnt(0)
	v_cvt_f32_u32_sdwa v9, v14 dst_sel:DWORD dst_unused:UNUSED_PAD src0_sel:WORD_1
	v_cvt_f32_u32_sdwa v8, v14 dst_sel:DWORD dst_unused:UNUSED_PAD src0_sel:WORD_0
	v_cvt_f32_u32_sdwa v11, v15 dst_sel:DWORD dst_unused:UNUSED_PAD src0_sel:WORD_1
	v_cvt_f32_u32_sdwa v10, v15 dst_sel:DWORD dst_unused:UNUSED_PAD src0_sel:WORD_0
	;; [unrolled: 2-line block ×4, first 2 shown]
.LBB75_29:                              ;   in Loop: Header=BB75_24 Depth=1
	s_mul_i32 s4, s28, s35
	s_ashr_i32 s5, s4, 31
	s_lshl_b64 s[4:5], s[4:5], 2
	s_add_u32 s28, s22, s4
	s_addc_u32 s4, s23, s5
	s_and_b32 s29, s4, 0xffff
	buffer_load_dwordx4 v[16:19], v33, s[28:31], 0 offen
	buffer_load_dwordx4 v[20:23], v33, s[28:31], 16 offen
	;; [unrolled: 1-line block ×4, first 2 shown]
	s_waitcnt vmcnt(3)
	v_pk_mul_f32 v[30:31], v[0:1], v[16:17]
	v_pk_mul_f32 v[28:29], v[2:3], v[18:19]
	s_waitcnt vmcnt(2)
	v_pk_mul_f32 v[24:25], v[6:7], v[22:23]
	s_waitcnt vmcnt(1)
	v_pk_mul_f32 v[22:23], v[8:9], v[42:43]
	v_max3_f32 v42, |v30|, s46, |v31|
	v_pk_mul_f32 v[26:27], v[4:5], v[20:21]
	v_max3_f32 v42, v42, |v28|, |v29|
	v_max3_f32 v42, v42, |v26|, |v27|
	;; [unrolled: 1-line block ×3, first 2 shown]
	v_pk_mul_f32 v[20:21], v[10:11], v[44:45]
	v_max3_f32 v42, v42, |v22|, |v23|
	s_waitcnt vmcnt(0)
	v_pk_mul_f32 v[18:19], v[12:13], v[46:47]
	v_max3_f32 v42, v42, |v20|, |v21|
	v_pk_mul_f32 v[16:17], v[14:15], v[48:49]
	v_max3_f32 v42, v42, |v18|, |v19|
	v_max3_f32 v42, v42, |v16|, |v17|
	s_nop 1
	v_mov_b32_dpp v43, v42 quad_perm:[1,0,3,2] row_mask:0xf bank_mask:0xf
	v_cmp_gt_f32_e64 s[4:5], v42, v43
	v_cndmask_b32_e64 v42, v43, v42, s[4:5]
	s_nop 1
	v_mov_b32_dpp v43, v42 quad_perm:[2,3,0,1] row_mask:0xf bank_mask:0xf
	v_cmp_gt_f32_e64 s[4:5], v42, v43
	v_cndmask_b32_e64 v42, v43, v42, s[4:5]
	s_nop 1
	v_mov_b32_dpp v43, v42 row_half_mirror row_mask:0xf bank_mask:0xf
	v_cmp_gt_f32_e64 s[4:5], v42, v43
	v_cndmask_b32_e64 v42, v43, v42, s[4:5]
	s_nop 1
	v_mov_b32_dpp v43, v42 row_mirror row_mask:0xf bank_mask:0xf
	v_cmp_gt_f32_e64 s[4:5], v42, v43
	v_cndmask_b32_e64 v42, v43, v42, s[4:5]
	s_nop 1
	v_mov_b32_dpp v43, v42 row_bcast:15 row_mask:0xf bank_mask:0xf
	v_cmp_gt_f32_e64 s[4:5], v42, v43
	v_cndmask_b32_e64 v42, v43, v42, s[4:5]
	s_nop 1
	v_mov_b32_dpp v43, v42 row_bcast:31 row_mask:0xf bank_mask:0xf
	s_and_saveexec_b64 s[28:29], s[0:1]
	s_cbranch_execz .LBB75_31
; %bb.30:                               ;   in Loop: Header=BB75_24 Depth=1
	v_cmp_gt_f32_e64 s[4:5], v42, v43
	v_cndmask_b32_e64 v42, v43, v42, s[4:5]
	ds_write_b32 v34, v42
.LBB75_31:                              ;   in Loop: Header=BB75_24 Depth=1
	s_or_b64 exec, exec, s[28:29]
	s_waitcnt lgkmcnt(0)
	s_barrier
	ds_read_b32 v42, v35
	s_waitcnt lgkmcnt(0)
	s_nop 0
	v_mov_b32_dpp v43, v42 quad_perm:[1,0,3,2] row_mask:0xf bank_mask:0xf
	v_cmp_gt_f32_e64 s[4:5], v42, v43
	v_cndmask_b32_e64 v42, v43, v42, s[4:5]
	s_nop 1
	v_mov_b32_dpp v43, v42 quad_perm:[2,3,0,1] row_mask:0xf bank_mask:0xf
	v_cmp_gt_f32_e64 s[4:5], v42, v43
	v_cndmask_b32_e64 v42, v43, v42, s[4:5]
	s_mul_hi_u32 s5, s36, s48
	s_mul_i32 s7, s5, s44
	s_sub_i32 s7, s36, s7
	s_xor_b32 s4, s37, s45
	s_add_i32 s28, s5, 1
	s_sub_i32 s29, s7, s44
	s_cmp_ge_u32 s7, s44
	s_cselect_b32 s5, s28, s5
	s_cselect_b32 s7, s29, s7
	s_add_i32 s28, s5, 1
	s_cmp_ge_u32 s7, s44
	s_cselect_b32 s5, s28, s5
	s_xor_b32 s5, s5, s4
	s_sub_i32 s4, s5, s4
	s_mul_i32 s5, s4, s9
	s_sub_i32 s5, s27, s5
	s_mul_i32 s5, s5, s14
	s_mul_i32 s4, s4, s13
	v_mul_f32_e32 v42, 0x3b124925, v42
	s_add_i32 s28, s5, s4
	s_and_saveexec_b64 s[4:5], vcc
	s_cbranch_execz .LBB75_33
; %bb.32:                               ;   in Loop: Header=BB75_24 Depth=1
	s_ashr_i32 s29, s28, 31
	s_lshl_b64 s[36:37], s[28:29], 2
	s_add_u32 s36, s18, s36
	s_addc_u32 s37, s19, s37
	global_store_dword v39, v42, s[36:37]
.LBB75_33:                              ;   in Loop: Header=BB75_24 Depth=1
	s_or_b64 exec, exec, s[4:5]
	s_and_saveexec_b64 s[4:5], s[2:3]
	s_cbranch_execz .LBB75_22
; %bb.34:                               ;   in Loop: Header=BB75_24 Depth=1
	v_rcp_f32_e32 v42, v42
	s_mul_i32 s27, s28, s15
	s_mul_hi_i32 s7, s28, s15
	s_add_u32 s36, s16, s27
	v_mov_b32_e32 v43, v42
	;;#ASMSTART
	v_pk_mul_f32 v[30:31], v[30:31], v[42:43]
	;;#ASMEND
	;;#ASMSTART
	v_med3_f32 v30, v30, v40, v41
v_med3_f32 v31, v31, v40, v41
v_cvt_pk_fp8_f32 v44, v30, v31
	;;#ASMEND
	;;#ASMSTART
	v_pk_mul_f32 v[28:29], v[28:29], v[42:43]
	;;#ASMEND
	;;#ASMSTART
	v_med3_f32 v28, v28, v40, v41
v_med3_f32 v29, v29, v40, v41
v_cvt_pk_fp8_f32 v30, v28, v29
	;;#ASMEND
	;; [unrolled: 8-line block ×6, first 2 shown]
	;;#ASMSTART
	v_pk_mul_f32 v[18:19], v[18:19], v[42:43]
	;;#ASMEND
	s_addc_u32 s7, s17, s7
	v_perm_b32 v28, v30, v44, s47
	;;#ASMSTART
	v_med3_f32 v18, v18, v40, v41
v_med3_f32 v19, v19, v40, v41
v_cvt_pk_fp8_f32 v20, v18, v19
	;;#ASMEND
	;;#ASMSTART
	v_pk_mul_f32 v[16:17], v[16:17], v[42:43]
	;;#ASMEND
	s_and_b32 s37, s7, 0xffff
	s_mov_b32 s39, s31
	v_perm_b32 v28, v28, v30, s49
	v_perm_b32 v29, v29, v26, s50
	;; [unrolled: 1-line block ×3, first 2 shown]
	;;#ASMSTART
	v_med3_f32 v16, v16, v40, v41
v_med3_f32 v17, v17, v40, v41
v_cvt_pk_fp8_f32 v18, v16, v17
	;;#ASMEND
	v_perm_b32 v31, v20, v18, s50
	buffer_store_dwordx4 v[28:31], v36, s[36:39], 0 offen
	;;#ASMSTART
	s_nop 0
	;;#ASMEND
	s_branch .LBB75_22
.LBB75_35:
	s_endpgm
	.section	.rodata,"a",@progbits
	.p2align	6, 0x0
	.amdhsa_kernel _ZN5aiter36smooth_per_token_scaled_quant_kernelItDB8_Li256ELi16ELb1ELb1ELb1ELi1024EEEvPT0_PfPT_S4_PiS7_iiPKiiiiiiiii
		.amdhsa_group_segment_fixed_size 4112
		.amdhsa_private_segment_fixed_size 0
		.amdhsa_kernarg_size 96
		.amdhsa_user_sgpr_count 6
		.amdhsa_user_sgpr_private_segment_buffer 1
		.amdhsa_user_sgpr_dispatch_ptr 0
		.amdhsa_user_sgpr_queue_ptr 0
		.amdhsa_user_sgpr_kernarg_segment_ptr 1
		.amdhsa_user_sgpr_dispatch_id 0
		.amdhsa_user_sgpr_flat_scratch_init 0
		.amdhsa_user_sgpr_kernarg_preload_length 0
		.amdhsa_user_sgpr_kernarg_preload_offset 0
		.amdhsa_user_sgpr_private_segment_size 0
		.amdhsa_uses_dynamic_stack 0
		.amdhsa_system_sgpr_private_segment_wavefront_offset 0
		.amdhsa_system_sgpr_workgroup_id_x 1
		.amdhsa_system_sgpr_workgroup_id_y 0
		.amdhsa_system_sgpr_workgroup_id_z 0
		.amdhsa_system_sgpr_workgroup_info 0
		.amdhsa_system_vgpr_workitem_id 0
		.amdhsa_next_free_vgpr 50
		.amdhsa_next_free_sgpr 51
		.amdhsa_accum_offset 52
		.amdhsa_reserve_vcc 1
		.amdhsa_reserve_flat_scratch 0
		.amdhsa_float_round_mode_32 0
		.amdhsa_float_round_mode_16_64 0
		.amdhsa_float_denorm_mode_32 3
		.amdhsa_float_denorm_mode_16_64 3
		.amdhsa_dx10_clamp 1
		.amdhsa_ieee_mode 1
		.amdhsa_fp16_overflow 0
		.amdhsa_tg_split 0
		.amdhsa_exception_fp_ieee_invalid_op 0
		.amdhsa_exception_fp_denorm_src 0
		.amdhsa_exception_fp_ieee_div_zero 0
		.amdhsa_exception_fp_ieee_overflow 0
		.amdhsa_exception_fp_ieee_underflow 0
		.amdhsa_exception_fp_ieee_inexact 0
		.amdhsa_exception_int_div_zero 0
	.end_amdhsa_kernel
	.section	.text._ZN5aiter36smooth_per_token_scaled_quant_kernelItDB8_Li256ELi16ELb1ELb1ELb1ELi1024EEEvPT0_PfPT_S4_PiS7_iiPKiiiiiiiii,"axG",@progbits,_ZN5aiter36smooth_per_token_scaled_quant_kernelItDB8_Li256ELi16ELb1ELb1ELb1ELi1024EEEvPT0_PfPT_S4_PiS7_iiPKiiiiiiiii,comdat
.Lfunc_end75:
	.size	_ZN5aiter36smooth_per_token_scaled_quant_kernelItDB8_Li256ELi16ELb1ELb1ELb1ELi1024EEEvPT0_PfPT_S4_PiS7_iiPKiiiiiiiii, .Lfunc_end75-_ZN5aiter36smooth_per_token_scaled_quant_kernelItDB8_Li256ELi16ELb1ELb1ELb1ELi1024EEEvPT0_PfPT_S4_PiS7_iiPKiiiiiiiii
                                        ; -- End function
	.section	.AMDGPU.csdata,"",@progbits
; Kernel info:
; codeLenInByte = 3512
; NumSgprs: 55
; NumVgprs: 50
; NumAgprs: 0
; TotalNumVgprs: 50
; ScratchSize: 0
; MemoryBound: 0
; FloatMode: 240
; IeeeMode: 1
; LDSByteSize: 4112 bytes/workgroup (compile time only)
; SGPRBlocks: 6
; VGPRBlocks: 6
; NumSGPRsForWavesPerEU: 55
; NumVGPRsForWavesPerEU: 50
; AccumOffset: 52
; Occupancy: 8
; WaveLimiterHint : 0
; COMPUTE_PGM_RSRC2:SCRATCH_EN: 0
; COMPUTE_PGM_RSRC2:USER_SGPR: 6
; COMPUTE_PGM_RSRC2:TRAP_HANDLER: 0
; COMPUTE_PGM_RSRC2:TGID_X_EN: 1
; COMPUTE_PGM_RSRC2:TGID_Y_EN: 0
; COMPUTE_PGM_RSRC2:TGID_Z_EN: 0
; COMPUTE_PGM_RSRC2:TIDIG_COMP_CNT: 0
; COMPUTE_PGM_RSRC3_GFX90A:ACCUM_OFFSET: 12
; COMPUTE_PGM_RSRC3_GFX90A:TG_SPLIT: 0
	.section	.text._ZN5aiter36smooth_per_token_scaled_quant_kernelIDF16_DB8_Li256ELi16ELb1ELb1ELb0ELi1024EEEvPT0_PfPT_S4_PiS7_iiPKiiiiiiiii,"axG",@progbits,_ZN5aiter36smooth_per_token_scaled_quant_kernelIDF16_DB8_Li256ELi16ELb1ELb1ELb0ELi1024EEEvPT0_PfPT_S4_PiS7_iiPKiiiiiiiii,comdat
	.protected	_ZN5aiter36smooth_per_token_scaled_quant_kernelIDF16_DB8_Li256ELi16ELb1ELb1ELb0ELi1024EEEvPT0_PfPT_S4_PiS7_iiPKiiiiiiiii ; -- Begin function _ZN5aiter36smooth_per_token_scaled_quant_kernelIDF16_DB8_Li256ELi16ELb1ELb1ELb0ELi1024EEEvPT0_PfPT_S4_PiS7_iiPKiiiiiiiii
	.globl	_ZN5aiter36smooth_per_token_scaled_quant_kernelIDF16_DB8_Li256ELi16ELb1ELb1ELb0ELi1024EEEvPT0_PfPT_S4_PiS7_iiPKiiiiiiiii
	.p2align	8
	.type	_ZN5aiter36smooth_per_token_scaled_quant_kernelIDF16_DB8_Li256ELi16ELb1ELb1ELb0ELi1024EEEvPT0_PfPT_S4_PiS7_iiPKiiiiiiiii,@function
_ZN5aiter36smooth_per_token_scaled_quant_kernelIDF16_DB8_Li256ELi16ELb1ELb1ELb0ELi1024EEEvPT0_PfPT_S4_PiS7_iiPKiiiiiiiii: ; @_ZN5aiter36smooth_per_token_scaled_quant_kernelIDF16_DB8_Li256ELi16ELb1ELb1ELb0ELi1024EEEvPT0_PfPT_S4_PiS7_iiPKiiiiiiiii
; %bb.0:
	s_load_dwordx2 s[2:3], s[4:5], 0x38
	s_load_dwordx8 s[8:15], s[4:5], 0x40
	s_mov_b64 s[0:1], 0
	s_waitcnt lgkmcnt(0)
	s_cmp_lg_u64 s[2:3], 0
	s_cbranch_scc0 .LBB76_24
; %bb.1:
	s_load_dword s2, s[2:3], 0x0
	s_waitcnt lgkmcnt(0)
	s_mul_i32 s2, s2, s8
	s_andn2_b64 vcc, exec, s[0:1]
	s_cbranch_vccnz .LBB76_3
.LBB76_2:
	s_mul_i32 s2, s10, s9
.LBB76_3:
	s_load_dwordx2 s[34:35], s[4:5], 0x30
	s_abs_i32 s1, s2
	s_waitcnt lgkmcnt(0)
	s_abs_i32 s0, s34
	v_cvt_f32_u32_e32 v1, s0
	s_sub_i32 s7, 0, s0
	s_xor_b32 s3, s2, s34
	s_ashr_i32 s3, s3, 31
	v_rcp_iflag_f32_e32 v1, v1
	v_mul_f32_e32 v1, 0x4f7ffffe, v1
	v_cvt_u32_f32_e32 v1, v1
	v_readfirstlane_b32 s8, v1
	s_mul_i32 s7, s7, s8
	s_mul_hi_u32 s7, s8, s7
	s_add_i32 s8, s8, s7
	s_mul_hi_u32 s7, s1, s8
	s_mul_i32 s8, s7, s0
	s_sub_i32 s1, s1, s8
	s_add_i32 s15, s7, 1
	s_sub_i32 s8, s1, s0
	s_cmp_ge_u32 s1, s0
	s_cselect_b32 s7, s15, s7
	s_cselect_b32 s1, s8, s1
	s_add_i32 s8, s7, 1
	s_cmp_ge_u32 s1, s0
	s_cselect_b32 s0, s8, s7
	s_xor_b32 s0, s0, s3
	s_sub_i32 s8, s0, s3
	s_mul_i32 s0, s8, s34
	s_sub_i32 s2, s2, s0
	s_cmp_lt_u32 s6, s2
	s_cselect_b64 s[0:1], -1, 0
	s_add_i32 s7, s8, 1
	s_cmp_ge_u32 s6, s2
	s_cbranch_scc0 .LBB76_5
; %bb.4:
	s_mul_i32 s3, s2, s7
	s_sub_i32 s2, s6, s2
	s_mul_i32 s2, s2, s8
	s_add_i32 s40, s2, s3
	s_cbranch_execz .LBB76_6
	s_branch .LBB76_7
.LBB76_5:
                                        ; implicit-def: $sgpr40
.LBB76_6:
	s_mul_i32 s40, s7, s6
.LBB76_7:
	v_cndmask_b32_e64 v1, 0, 1, s[0:1]
	v_readfirstlane_b32 s0, v1
	s_add_i32 s8, s8, s0
	s_cmp_lt_i32 s8, 1
	s_cbranch_scc1 .LBB76_23
; %bb.8:
	s_load_dwordx2 s[0:1], s[4:5], 0x20
	s_load_dwordx8 s[16:23], s[4:5], 0x0
	s_ashr_i32 s41, s40, 31
	s_lshl_b64 s[2:3], s[40:41], 2
	v_lshrrev_b32_e32 v2, 4, v0
	s_waitcnt lgkmcnt(0)
	s_add_u32 s24, s0, s2
	s_addc_u32 s0, s1, s3
	v_and_b32_e32 v74, 60, v2
	v_and_b32_e32 v2, 3, v0
	s_abs_i32 s34, s10
	v_lshlrev_b32_e32 v75, 2, v2
	v_cvt_f32_u32_e32 v2, s34
	s_add_i32 s2, s35, 15
	s_ashr_i32 s3, s2, 31
	s_lshr_b32 s3, s3, 28
	v_rcp_iflag_f32_e32 v2, v2
	s_add_i32 s2, s2, s3
	s_ashr_i32 s2, s2, 4
	s_abs_i32 s41, s9
	v_and_b32_e32 v1, 63, v0
	s_and_b32 s25, s0, 0xffff
	v_lshlrev_b32_e32 v72, 5, v0
	v_lshlrev_b32_e32 v73, 6, v0
	v_cmp_eq_u32_e64 s[0:1], 0, v0
	v_cmp_gt_u32_e64 s[2:3], s2, v0
	v_lshlrev_b32_e32 v76, 4, v0
	v_mul_f32_e32 v0, 0x4f7ffffe, v2
	v_cvt_f32_u32_e32 v2, s41
	v_cvt_u32_f32_e32 v0, v0
	s_add_i32 s4, s35, 3
	s_ashr_i32 s5, s4, 31
	v_rcp_iflag_f32_e32 v2, v2
	s_lshr_b32 s5, s5, 30
	s_add_i32 s4, s4, s5
	v_readfirstlane_b32 s5, v0
	v_mul_f32_e32 v0, 0x4f7ffffe, v2
	v_cvt_u32_f32_e32 v0, v0
	s_and_b32 s38, s4, -4
	s_sub_i32 s4, 0, s34
	s_mul_i32 s4, s4, s5
	s_mul_hi_u32 s4, s5, s4
	v_cmp_eq_u32_e32 vcc, 63, v1
	s_add_i32 s43, s5, s4
	v_readfirstlane_b32 s5, v0
	v_lshlrev_b32_e32 v77, 2, v1
                                        ; implicit-def: $vgpr0_vgpr1_vgpr2_vgpr3_vgpr4_vgpr5_vgpr6_vgpr7_vgpr8_vgpr9_vgpr10_vgpr11_vgpr12_vgpr13_vgpr14_vgpr15
                                        ; implicit-def: $vgpr4_vgpr5_vgpr6_vgpr7_vgpr8_vgpr9_vgpr10_vgpr11_vgpr12_vgpr13_vgpr14_vgpr15_vgpr16_vgpr17_vgpr18_vgpr19
	s_sub_i32 s4, 0, s41
                                        ; implicit-def: $vgpr10_vgpr11_vgpr12_vgpr13_vgpr14_vgpr15_vgpr16_vgpr17_vgpr18_vgpr19_vgpr20_vgpr21_vgpr22_vgpr23_vgpr24_vgpr25
	s_mul_i32 s4, s4, s5
                                        ; implicit-def: $vgpr18_vgpr19_vgpr20_vgpr21_vgpr22_vgpr23_vgpr24_vgpr25_vgpr26_vgpr27_vgpr28_vgpr29_vgpr30_vgpr31_vgpr32_vgpr33
	s_lshl_b32 s6, s8, 2
	s_mov_b32 s7, 0x20000
	s_mul_hi_u32 s4, s5, s4
                                        ; implicit-def: $vgpr28_vgpr29_vgpr30_vgpr31_vgpr32_vgpr33_vgpr34_vgpr35_vgpr36_vgpr37_vgpr38_vgpr39_vgpr40_vgpr41_vgpr42_vgpr43
	s_mov_b64 s[26:27], s[6:7]
	s_mov_b32 s15, s35
	s_lshl_b32 s30, s35, 1
	s_lshl_b32 s6, s35, 2
	s_mov_b32 s33, 0
	s_ashr_i32 s42, s10, 31
	s_ashr_i32 s44, s9, 31
	s_add_i32 s45, s5, s4
	s_mov_b32 s31, -1
	v_mov_b32_e32 v81, 0
	s_mov_b32 s46, 0x2edbe6ff
	v_mov_b32_e32 v78, 0
	v_mov_b32_e32 v79, 0xc3e00000
	;; [unrolled: 1-line block ×3, first 2 shown]
	s_mov_b32 s47, 0x5040100
	s_mov_b32 s48, 0x1060504
	;; [unrolled: 1-line block ×3, first 2 shown]
                                        ; implicit-def: $vgpr40_vgpr41_vgpr42_vgpr43_vgpr44_vgpr45_vgpr46_vgpr47_vgpr48_vgpr49_vgpr50_vgpr51_vgpr52_vgpr53_vgpr54_vgpr55
                                        ; implicit-def: $vgpr70
                                        ; implicit-def: $vgpr54_vgpr55_vgpr56_vgpr57_vgpr58_vgpr59_vgpr60_vgpr61_vgpr62_vgpr63_vgpr64_vgpr65_vgpr66_vgpr67_vgpr68_vgpr69
	s_branch .LBB76_11
.LBB76_9:                               ;   in Loop: Header=BB76_11 Depth=1
	s_or_b64 exec, exec, s[4:5]
.LBB76_10:                              ;   in Loop: Header=BB76_11 Depth=1
	s_add_i32 s33, s33, 1
	s_cmp_eq_u32 s8, s33
	v_add_u32_e32 v77, 4, v77
	s_cbranch_scc1 .LBB76_23
.LBB76_11:                              ; =>This Inner Loop Header: Depth=1
	s_and_b32 s4, s33, 63
	s_cmp_lg_u32 s4, 0
	s_cbranch_scc1 .LBB76_14
; %bb.12:                               ;   in Loop: Header=BB76_11 Depth=1
	buffer_load_dword v81, v77, s[24:27], 0 offen
	s_cmp_lg_u32 s33, 0
	s_waitcnt vmcnt(0)
	s_cbranch_scc1 .LBB76_14
; %bb.13:                               ;   in Loop: Header=BB76_11 Depth=1
	s_barrier
.LBB76_14:                              ;   in Loop: Header=BB76_11 Depth=1
	v_readlane_b32 s4, v81, s4
	s_cmp_lt_i32 s4, 0
	s_cbranch_scc1 .LBB76_10
; %bb.15:                               ;   in Loop: Header=BB76_11 Depth=1
	s_add_i32 s36, s40, s33
	s_abs_i32 s37, s36
	s_mul_hi_u32 s28, s37, s43
	s_mul_i32 s29, s28, s34
	s_ashr_i32 s39, s36, 31
	s_sub_i32 s29, s37, s29
	s_xor_b32 s5, s39, s42
	s_add_i32 s50, s28, 1
	s_sub_i32 s51, s29, s34
	s_cmp_ge_u32 s29, s34
	s_cselect_b32 s28, s50, s28
	s_cselect_b32 s29, s51, s29
	s_add_i32 s50, s28, 1
	s_cmp_ge_u32 s29, s34
	s_cselect_b32 s28, s50, s28
	s_xor_b32 s28, s28, s5
	s_sub_i32 s5, s28, s5
	s_mul_i32 s28, s5, s10
	s_sub_i32 s28, s36, s28
	s_mul_i32 s28, s28, s12
	s_mul_i32 s5, s5, s11
	s_add_i32 s5, s28, s5
	s_cmp_eq_u32 s5, s31
	s_cbranch_scc1 .LBB76_17
; %bb.16:                               ;   in Loop: Header=BB76_11 Depth=1
	s_mul_hi_i32 s29, s5, s15
	s_mul_i32 s28, s5, s15
	s_lshl_b64 s[28:29], s[28:29], 1
	s_add_u32 s28, s20, s28
	s_addc_u32 s29, s21, s29
	s_and_b32 s29, s29, 0xffff
	s_mov_b32 s31, s7
	buffer_load_dwordx4 v[2:5], v72, s[28:31], 0 offen
	buffer_load_dwordx4 v[10:13], v72, s[28:31], 16 offen
	s_mov_b32 s31, s5
	s_waitcnt vmcnt(1)
	v_cvt_f32_f16_e32 v70, v2
	v_cvt_f32_f16_sdwa v71, v2 dst_sel:DWORD dst_unused:UNUSED_PAD src0_sel:WORD_1
	v_cvt_f32_f16_e32 v2, v3
	v_cvt_f32_f16_sdwa v3, v3 dst_sel:DWORD dst_unused:UNUSED_PAD src0_sel:WORD_1
	;; [unrolled: 2-line block ×4, first 2 shown]
	s_waitcnt vmcnt(0)
	v_cvt_f32_f16_e32 v26, v10
	v_cvt_f32_f16_sdwa v27, v10 dst_sel:DWORD dst_unused:UNUSED_PAD src0_sel:WORD_1
	v_cvt_f32_f16_e32 v38, v11
	v_cvt_f32_f16_sdwa v39, v11 dst_sel:DWORD dst_unused:UNUSED_PAD src0_sel:WORD_1
	;; [unrolled: 2-line block ×4, first 2 shown]
.LBB76_17:                              ;   in Loop: Header=BB76_11 Depth=1
	s_mul_i32 s4, s4, s35
	s_ashr_i32 s5, s4, 31
	s_lshl_b64 s[4:5], s[4:5], 2
	s_add_u32 s4, s22, s4
	s_addc_u32 s5, s23, s5
	s_and_b32 s5, s5, 0xffff
	buffer_load_dwordx4 v[4:7], v73, s[4:7], 0 offen
	buffer_load_dwordx4 v[10:13], v73, s[4:7], 16 offen
	s_waitcnt vmcnt(1)
	v_pk_mul_f32 v[20:21], v[70:71], v[4:5]
	v_pk_mul_f32 v[18:19], v[2:3], v[6:7]
	buffer_load_dwordx4 v[4:7], v73, s[4:7], 32 offen
	buffer_load_dwordx4 v[22:25], v73, s[4:7], 48 offen
	s_waitcnt vmcnt(2)
	v_pk_mul_f32 v[14:15], v[8:9], v[10:11]
	v_pk_mul_f32 v[12:13], v[16:17], v[12:13]
	s_waitcnt vmcnt(1)
	v_pk_mul_f32 v[10:11], v[26:27], v[4:5]
	s_waitcnt vmcnt(0)
	v_pk_mul_f32 v[4:5], v[52:53], v[22:23]
	v_max3_f32 v22, |v20|, s46, |v21|
	v_max3_f32 v22, v22, |v18|, |v19|
	v_max3_f32 v22, v22, |v14|, |v15|
	;; [unrolled: 1-line block ×3, first 2 shown]
	v_pk_mul_f32 v[6:7], v[38:39], v[6:7]
	v_max3_f32 v22, v22, |v10|, |v11|
	v_max3_f32 v22, v22, |v6|, |v7|
	v_pk_mul_f32 v[0:1], v[68:69], v[24:25]
	v_max3_f32 v22, v22, |v4|, |v5|
	v_max3_f32 v22, v22, |v0|, |v1|
	s_nop 1
	v_mov_b32_dpp v23, v22 quad_perm:[1,0,3,2] row_mask:0xf bank_mask:0xf
	v_cmp_gt_f32_e64 s[4:5], v22, v23
	v_cndmask_b32_e64 v22, v23, v22, s[4:5]
	s_nop 1
	v_mov_b32_dpp v23, v22 quad_perm:[2,3,0,1] row_mask:0xf bank_mask:0xf
	v_cmp_gt_f32_e64 s[4:5], v22, v23
	v_cndmask_b32_e64 v22, v23, v22, s[4:5]
	s_nop 1
	v_mov_b32_dpp v23, v22 row_half_mirror row_mask:0xf bank_mask:0xf
	v_cmp_gt_f32_e64 s[4:5], v22, v23
	v_cndmask_b32_e64 v22, v23, v22, s[4:5]
	s_nop 1
	v_mov_b32_dpp v23, v22 row_mirror row_mask:0xf bank_mask:0xf
	v_cmp_gt_f32_e64 s[4:5], v22, v23
	v_cndmask_b32_e64 v22, v23, v22, s[4:5]
	s_nop 1
	v_mov_b32_dpp v23, v22 row_bcast:15 row_mask:0xf bank_mask:0xf
	v_cmp_gt_f32_e64 s[4:5], v22, v23
	v_cndmask_b32_e64 v22, v23, v22, s[4:5]
	s_nop 1
	v_mov_b32_dpp v23, v22 row_bcast:31 row_mask:0xf bank_mask:0xf
	s_and_saveexec_b64 s[28:29], vcc
	s_cbranch_execz .LBB76_19
; %bb.18:                               ;   in Loop: Header=BB76_11 Depth=1
	v_cmp_gt_f32_e64 s[4:5], v22, v23
	v_cndmask_b32_e64 v22, v23, v22, s[4:5]
	ds_write_b32 v74, v22
.LBB76_19:                              ;   in Loop: Header=BB76_11 Depth=1
	s_or_b64 exec, exec, s[28:29]
	s_waitcnt lgkmcnt(0)
	s_barrier
	ds_read_b32 v22, v75
	s_waitcnt lgkmcnt(0)
	s_nop 0
	v_mov_b32_dpp v23, v22 quad_perm:[1,0,3,2] row_mask:0xf bank_mask:0xf
	v_cmp_gt_f32_e64 s[4:5], v22, v23
	v_cndmask_b32_e64 v22, v23, v22, s[4:5]
	s_nop 1
	v_mov_b32_dpp v23, v22 quad_perm:[2,3,0,1] row_mask:0xf bank_mask:0xf
	v_cmp_gt_f32_e64 s[4:5], v22, v23
	v_cndmask_b32_e64 v22, v23, v22, s[4:5]
	s_mul_hi_u32 s5, s37, s45
	s_mul_i32 s28, s5, s41
	s_sub_i32 s28, s37, s28
	s_xor_b32 s4, s39, s44
	s_add_i32 s29, s5, 1
	s_sub_i32 s37, s28, s41
	s_cmp_ge_u32 s28, s41
	s_cselect_b32 s5, s29, s5
	s_cselect_b32 s28, s37, s28
	s_add_i32 s29, s5, 1
	s_cmp_ge_u32 s28, s41
	s_cselect_b32 s5, s29, s5
	s_xor_b32 s5, s5, s4
	s_sub_i32 s4, s5, s4
	s_mul_i32 s5, s4, s9
	s_sub_i32 s5, s36, s5
	s_mul_i32 s5, s5, s14
	s_mul_i32 s4, s4, s13
	v_mul_f32_e32 v22, 0x3b124925, v22
	s_add_i32 s28, s5, s4
	s_and_saveexec_b64 s[4:5], s[0:1]
	s_cbranch_execz .LBB76_21
; %bb.20:                               ;   in Loop: Header=BB76_11 Depth=1
	s_ashr_i32 s29, s28, 31
	s_lshl_b64 s[36:37], s[28:29], 2
	s_add_u32 s36, s18, s36
	s_addc_u32 s37, s19, s37
	global_store_dword v78, v22, s[36:37]
.LBB76_21:                              ;   in Loop: Header=BB76_11 Depth=1
	s_or_b64 exec, exec, s[4:5]
	s_and_saveexec_b64 s[4:5], s[2:3]
	s_cbranch_execz .LBB76_9
; %bb.22:                               ;   in Loop: Header=BB76_11 Depth=1
	v_rcp_f32_e32 v22, v22
	s_mul_hi_i32 s29, s28, s15
	s_mul_i32 s28, s28, s15
	s_add_u32 s36, s16, s28
	v_mov_b32_e32 v23, v22
	;;#ASMSTART
	v_pk_mul_f32 v[20:21], v[20:21], v[22:23]
	;;#ASMEND
	;;#ASMSTART
	v_med3_f32 v20, v20, v79, v80
v_med3_f32 v21, v21, v79, v80
v_cvt_pk_fp8_f32 v24, v20, v21
	;;#ASMEND
	;;#ASMSTART
	v_pk_mul_f32 v[18:19], v[18:19], v[22:23]
	;;#ASMEND
	;;#ASMSTART
	v_med3_f32 v18, v18, v79, v80
v_med3_f32 v19, v19, v79, v80
v_cvt_pk_fp8_f32 v20, v18, v19
	;;#ASMEND
	;; [unrolled: 8-line block ×6, first 2 shown]
	;;#ASMSTART
	v_pk_mul_f32 v[4:5], v[4:5], v[22:23]
	;;#ASMEND
	s_addc_u32 s28, s17, s29
	v_perm_b32 v18, v20, v24, s47
	;;#ASMSTART
	v_med3_f32 v4, v4, v79, v80
v_med3_f32 v5, v5, v79, v80
v_cvt_pk_fp8_f32 v6, v4, v5
	;;#ASMEND
	;;#ASMSTART
	v_pk_mul_f32 v[0:1], v[0:1], v[22:23]
	;;#ASMEND
	s_and_b32 s37, s28, 0xffff
	s_mov_b32 s39, s7
	v_perm_b32 v18, v18, v20, s48
	v_perm_b32 v19, v19, v14, s49
	;; [unrolled: 1-line block ×3, first 2 shown]
	;;#ASMSTART
	v_med3_f32 v0, v0, v79, v80
v_med3_f32 v1, v1, v79, v80
v_cvt_pk_fp8_f32 v4, v0, v1
	;;#ASMEND
	v_perm_b32 v21, v6, v4, s49
	buffer_store_dwordx4 v[18:21], v76, s[36:39], 0 offen
	;;#ASMSTART
	s_nop 0
	;;#ASMEND
	s_branch .LBB76_9
.LBB76_23:
	s_endpgm
.LBB76_24:
                                        ; implicit-def: $sgpr2
	s_branch .LBB76_2
	.section	.rodata,"a",@progbits
	.p2align	6, 0x0
	.amdhsa_kernel _ZN5aiter36smooth_per_token_scaled_quant_kernelIDF16_DB8_Li256ELi16ELb1ELb1ELb0ELi1024EEEvPT0_PfPT_S4_PiS7_iiPKiiiiiiiii
		.amdhsa_group_segment_fixed_size 16
		.amdhsa_private_segment_fixed_size 0
		.amdhsa_kernarg_size 96
		.amdhsa_user_sgpr_count 6
		.amdhsa_user_sgpr_private_segment_buffer 1
		.amdhsa_user_sgpr_dispatch_ptr 0
		.amdhsa_user_sgpr_queue_ptr 0
		.amdhsa_user_sgpr_kernarg_segment_ptr 1
		.amdhsa_user_sgpr_dispatch_id 0
		.amdhsa_user_sgpr_flat_scratch_init 0
		.amdhsa_user_sgpr_kernarg_preload_length 0
		.amdhsa_user_sgpr_kernarg_preload_offset 0
		.amdhsa_user_sgpr_private_segment_size 0
		.amdhsa_uses_dynamic_stack 0
		.amdhsa_system_sgpr_private_segment_wavefront_offset 0
		.amdhsa_system_sgpr_workgroup_id_x 1
		.amdhsa_system_sgpr_workgroup_id_y 0
		.amdhsa_system_sgpr_workgroup_id_z 0
		.amdhsa_system_sgpr_workgroup_info 0
		.amdhsa_system_vgpr_workitem_id 0
		.amdhsa_next_free_vgpr 82
		.amdhsa_next_free_sgpr 52
		.amdhsa_accum_offset 84
		.amdhsa_reserve_vcc 1
		.amdhsa_reserve_flat_scratch 0
		.amdhsa_float_round_mode_32 0
		.amdhsa_float_round_mode_16_64 0
		.amdhsa_float_denorm_mode_32 3
		.amdhsa_float_denorm_mode_16_64 3
		.amdhsa_dx10_clamp 1
		.amdhsa_ieee_mode 1
		.amdhsa_fp16_overflow 0
		.amdhsa_tg_split 0
		.amdhsa_exception_fp_ieee_invalid_op 0
		.amdhsa_exception_fp_denorm_src 0
		.amdhsa_exception_fp_ieee_div_zero 0
		.amdhsa_exception_fp_ieee_overflow 0
		.amdhsa_exception_fp_ieee_underflow 0
		.amdhsa_exception_fp_ieee_inexact 0
		.amdhsa_exception_int_div_zero 0
	.end_amdhsa_kernel
	.section	.text._ZN5aiter36smooth_per_token_scaled_quant_kernelIDF16_DB8_Li256ELi16ELb1ELb1ELb0ELi1024EEEvPT0_PfPT_S4_PiS7_iiPKiiiiiiiii,"axG",@progbits,_ZN5aiter36smooth_per_token_scaled_quant_kernelIDF16_DB8_Li256ELi16ELb1ELb1ELb0ELi1024EEEvPT0_PfPT_S4_PiS7_iiPKiiiiiiiii,comdat
.Lfunc_end76:
	.size	_ZN5aiter36smooth_per_token_scaled_quant_kernelIDF16_DB8_Li256ELi16ELb1ELb1ELb0ELi1024EEEvPT0_PfPT_S4_PiS7_iiPKiiiiiiiii, .Lfunc_end76-_ZN5aiter36smooth_per_token_scaled_quant_kernelIDF16_DB8_Li256ELi16ELb1ELb1ELb0ELi1024EEEvPT0_PfPT_S4_PiS7_iiPKiiiiiiiii
                                        ; -- End function
	.section	.AMDGPU.csdata,"",@progbits
; Kernel info:
; codeLenInByte = 1872
; NumSgprs: 56
; NumVgprs: 82
; NumAgprs: 0
; TotalNumVgprs: 82
; ScratchSize: 0
; MemoryBound: 0
; FloatMode: 240
; IeeeMode: 1
; LDSByteSize: 16 bytes/workgroup (compile time only)
; SGPRBlocks: 6
; VGPRBlocks: 10
; NumSGPRsForWavesPerEU: 56
; NumVGPRsForWavesPerEU: 82
; AccumOffset: 84
; Occupancy: 5
; WaveLimiterHint : 0
; COMPUTE_PGM_RSRC2:SCRATCH_EN: 0
; COMPUTE_PGM_RSRC2:USER_SGPR: 6
; COMPUTE_PGM_RSRC2:TRAP_HANDLER: 0
; COMPUTE_PGM_RSRC2:TGID_X_EN: 1
; COMPUTE_PGM_RSRC2:TGID_Y_EN: 0
; COMPUTE_PGM_RSRC2:TGID_Z_EN: 0
; COMPUTE_PGM_RSRC2:TIDIG_COMP_CNT: 0
; COMPUTE_PGM_RSRC3_GFX90A:ACCUM_OFFSET: 20
; COMPUTE_PGM_RSRC3_GFX90A:TG_SPLIT: 0
	.section	.text._ZN5aiter36smooth_per_token_scaled_quant_kernelItDB8_Li256ELi16ELb1ELb1ELb0ELi1024EEEvPT0_PfPT_S4_PiS7_iiPKiiiiiiiii,"axG",@progbits,_ZN5aiter36smooth_per_token_scaled_quant_kernelItDB8_Li256ELi16ELb1ELb1ELb0ELi1024EEEvPT0_PfPT_S4_PiS7_iiPKiiiiiiiii,comdat
	.protected	_ZN5aiter36smooth_per_token_scaled_quant_kernelItDB8_Li256ELi16ELb1ELb1ELb0ELi1024EEEvPT0_PfPT_S4_PiS7_iiPKiiiiiiiii ; -- Begin function _ZN5aiter36smooth_per_token_scaled_quant_kernelItDB8_Li256ELi16ELb1ELb1ELb0ELi1024EEEvPT0_PfPT_S4_PiS7_iiPKiiiiiiiii
	.globl	_ZN5aiter36smooth_per_token_scaled_quant_kernelItDB8_Li256ELi16ELb1ELb1ELb0ELi1024EEEvPT0_PfPT_S4_PiS7_iiPKiiiiiiiii
	.p2align	8
	.type	_ZN5aiter36smooth_per_token_scaled_quant_kernelItDB8_Li256ELi16ELb1ELb1ELb0ELi1024EEEvPT0_PfPT_S4_PiS7_iiPKiiiiiiiii,@function
_ZN5aiter36smooth_per_token_scaled_quant_kernelItDB8_Li256ELi16ELb1ELb1ELb0ELi1024EEEvPT0_PfPT_S4_PiS7_iiPKiiiiiiiii: ; @_ZN5aiter36smooth_per_token_scaled_quant_kernelItDB8_Li256ELi16ELb1ELb1ELb0ELi1024EEEvPT0_PfPT_S4_PiS7_iiPKiiiiiiiii
; %bb.0:
	s_load_dwordx2 s[2:3], s[4:5], 0x38
	s_load_dwordx8 s[8:15], s[4:5], 0x40
	s_mov_b64 s[0:1], 0
	s_waitcnt lgkmcnt(0)
	s_cmp_lg_u64 s[2:3], 0
	s_cbranch_scc0 .LBB77_24
; %bb.1:
	s_load_dword s2, s[2:3], 0x0
	s_waitcnt lgkmcnt(0)
	s_mul_i32 s2, s2, s8
	s_andn2_b64 vcc, exec, s[0:1]
	s_cbranch_vccnz .LBB77_3
.LBB77_2:
	s_mul_i32 s2, s10, s9
.LBB77_3:
	s_load_dwordx2 s[34:35], s[4:5], 0x30
	s_abs_i32 s1, s2
	s_waitcnt lgkmcnt(0)
	s_abs_i32 s0, s34
	v_cvt_f32_u32_e32 v1, s0
	s_sub_i32 s7, 0, s0
	s_xor_b32 s3, s2, s34
	s_ashr_i32 s3, s3, 31
	v_rcp_iflag_f32_e32 v1, v1
	v_mul_f32_e32 v1, 0x4f7ffffe, v1
	v_cvt_u32_f32_e32 v1, v1
	v_readfirstlane_b32 s8, v1
	s_mul_i32 s7, s7, s8
	s_mul_hi_u32 s7, s8, s7
	s_add_i32 s8, s8, s7
	s_mul_hi_u32 s7, s1, s8
	s_mul_i32 s8, s7, s0
	s_sub_i32 s1, s1, s8
	s_add_i32 s15, s7, 1
	s_sub_i32 s8, s1, s0
	s_cmp_ge_u32 s1, s0
	s_cselect_b32 s7, s15, s7
	s_cselect_b32 s1, s8, s1
	s_add_i32 s8, s7, 1
	s_cmp_ge_u32 s1, s0
	s_cselect_b32 s0, s8, s7
	s_xor_b32 s0, s0, s3
	s_sub_i32 s8, s0, s3
	s_mul_i32 s0, s8, s34
	s_sub_i32 s2, s2, s0
	s_cmp_lt_u32 s6, s2
	s_cselect_b64 s[0:1], -1, 0
	s_add_i32 s7, s8, 1
	s_cmp_ge_u32 s6, s2
	s_cbranch_scc0 .LBB77_5
; %bb.4:
	s_mul_i32 s3, s2, s7
	s_sub_i32 s2, s6, s2
	s_mul_i32 s2, s2, s8
	s_add_i32 s40, s2, s3
	s_cbranch_execz .LBB77_6
	s_branch .LBB77_7
.LBB77_5:
                                        ; implicit-def: $sgpr40
.LBB77_6:
	s_mul_i32 s40, s7, s6
.LBB77_7:
	v_cndmask_b32_e64 v1, 0, 1, s[0:1]
	v_readfirstlane_b32 s0, v1
	s_add_i32 s8, s8, s0
	s_cmp_lt_i32 s8, 1
	s_cbranch_scc1 .LBB77_23
; %bb.8:
	s_load_dwordx2 s[0:1], s[4:5], 0x20
	s_load_dwordx8 s[16:23], s[4:5], 0x0
	s_ashr_i32 s41, s40, 31
	s_lshl_b64 s[2:3], s[40:41], 2
	v_lshrrev_b32_e32 v2, 4, v0
	s_waitcnt lgkmcnt(0)
	s_add_u32 s24, s0, s2
	s_addc_u32 s0, s1, s3
	v_and_b32_e32 v74, 60, v2
	v_and_b32_e32 v2, 3, v0
	s_abs_i32 s34, s10
	v_lshlrev_b32_e32 v75, 2, v2
	v_cvt_f32_u32_e32 v2, s34
	s_add_i32 s2, s35, 15
	s_ashr_i32 s3, s2, 31
	s_lshr_b32 s3, s3, 28
	v_rcp_iflag_f32_e32 v2, v2
	s_add_i32 s2, s2, s3
	s_ashr_i32 s2, s2, 4
	s_abs_i32 s41, s9
	v_and_b32_e32 v1, 63, v0
	s_and_b32 s25, s0, 0xffff
	v_lshlrev_b32_e32 v72, 5, v0
	v_lshlrev_b32_e32 v73, 6, v0
	v_cmp_eq_u32_e64 s[0:1], 0, v0
	v_cmp_gt_u32_e64 s[2:3], s2, v0
	v_lshlrev_b32_e32 v76, 4, v0
	v_mul_f32_e32 v0, 0x4f7ffffe, v2
	v_cvt_f32_u32_e32 v2, s41
	v_cvt_u32_f32_e32 v0, v0
	s_add_i32 s4, s35, 3
	s_ashr_i32 s5, s4, 31
	v_rcp_iflag_f32_e32 v2, v2
	s_lshr_b32 s5, s5, 30
	s_add_i32 s4, s4, s5
	v_readfirstlane_b32 s5, v0
	v_mul_f32_e32 v0, 0x4f7ffffe, v2
	v_cvt_u32_f32_e32 v0, v0
	s_and_b32 s38, s4, -4
	s_sub_i32 s4, 0, s34
	s_mul_i32 s4, s4, s5
	s_mul_hi_u32 s4, s5, s4
	v_cmp_eq_u32_e32 vcc, 63, v1
	s_add_i32 s43, s5, s4
	v_readfirstlane_b32 s5, v0
	v_lshlrev_b32_e32 v77, 2, v1
                                        ; implicit-def: $vgpr0_vgpr1_vgpr2_vgpr3_vgpr4_vgpr5_vgpr6_vgpr7_vgpr8_vgpr9_vgpr10_vgpr11_vgpr12_vgpr13_vgpr14_vgpr15
                                        ; implicit-def: $vgpr4_vgpr5_vgpr6_vgpr7_vgpr8_vgpr9_vgpr10_vgpr11_vgpr12_vgpr13_vgpr14_vgpr15_vgpr16_vgpr17_vgpr18_vgpr19
	s_sub_i32 s4, 0, s41
                                        ; implicit-def: $vgpr10_vgpr11_vgpr12_vgpr13_vgpr14_vgpr15_vgpr16_vgpr17_vgpr18_vgpr19_vgpr20_vgpr21_vgpr22_vgpr23_vgpr24_vgpr25
	s_mul_i32 s4, s4, s5
                                        ; implicit-def: $vgpr18_vgpr19_vgpr20_vgpr21_vgpr22_vgpr23_vgpr24_vgpr25_vgpr26_vgpr27_vgpr28_vgpr29_vgpr30_vgpr31_vgpr32_vgpr33
	s_lshl_b32 s6, s8, 2
	s_mov_b32 s7, 0x20000
	s_mul_hi_u32 s4, s5, s4
                                        ; implicit-def: $vgpr28_vgpr29_vgpr30_vgpr31_vgpr32_vgpr33_vgpr34_vgpr35_vgpr36_vgpr37_vgpr38_vgpr39_vgpr40_vgpr41_vgpr42_vgpr43
	s_mov_b64 s[26:27], s[6:7]
	s_mov_b32 s15, s35
	s_lshl_b32 s30, s35, 1
	s_lshl_b32 s6, s35, 2
	s_mov_b32 s33, 0
	s_ashr_i32 s42, s10, 31
	s_ashr_i32 s44, s9, 31
	s_add_i32 s45, s5, s4
	s_mov_b32 s31, -1
	v_mov_b32_e32 v81, 0
	s_mov_b32 s46, 0x2edbe6ff
	v_mov_b32_e32 v78, 0
	v_mov_b32_e32 v79, 0xc3e00000
	;; [unrolled: 1-line block ×3, first 2 shown]
	s_mov_b32 s47, 0x5040100
	s_mov_b32 s48, 0x1060504
	;; [unrolled: 1-line block ×3, first 2 shown]
                                        ; implicit-def: $vgpr40_vgpr41_vgpr42_vgpr43_vgpr44_vgpr45_vgpr46_vgpr47_vgpr48_vgpr49_vgpr50_vgpr51_vgpr52_vgpr53_vgpr54_vgpr55
                                        ; implicit-def: $vgpr70
                                        ; implicit-def: $vgpr54_vgpr55_vgpr56_vgpr57_vgpr58_vgpr59_vgpr60_vgpr61_vgpr62_vgpr63_vgpr64_vgpr65_vgpr66_vgpr67_vgpr68_vgpr69
	s_branch .LBB77_11
.LBB77_9:                               ;   in Loop: Header=BB77_11 Depth=1
	s_or_b64 exec, exec, s[4:5]
.LBB77_10:                              ;   in Loop: Header=BB77_11 Depth=1
	s_add_i32 s33, s33, 1
	s_cmp_eq_u32 s8, s33
	v_add_u32_e32 v77, 4, v77
	s_cbranch_scc1 .LBB77_23
.LBB77_11:                              ; =>This Inner Loop Header: Depth=1
	s_and_b32 s4, s33, 63
	s_cmp_lg_u32 s4, 0
	s_cbranch_scc1 .LBB77_14
; %bb.12:                               ;   in Loop: Header=BB77_11 Depth=1
	buffer_load_dword v81, v77, s[24:27], 0 offen
	s_cmp_lg_u32 s33, 0
	s_waitcnt vmcnt(0)
	s_cbranch_scc1 .LBB77_14
; %bb.13:                               ;   in Loop: Header=BB77_11 Depth=1
	s_barrier
.LBB77_14:                              ;   in Loop: Header=BB77_11 Depth=1
	v_readlane_b32 s4, v81, s4
	s_cmp_lt_i32 s4, 0
	s_cbranch_scc1 .LBB77_10
; %bb.15:                               ;   in Loop: Header=BB77_11 Depth=1
	s_add_i32 s36, s40, s33
	s_abs_i32 s37, s36
	s_mul_hi_u32 s28, s37, s43
	s_mul_i32 s29, s28, s34
	s_ashr_i32 s39, s36, 31
	s_sub_i32 s29, s37, s29
	s_xor_b32 s5, s39, s42
	s_add_i32 s50, s28, 1
	s_sub_i32 s51, s29, s34
	s_cmp_ge_u32 s29, s34
	s_cselect_b32 s28, s50, s28
	s_cselect_b32 s29, s51, s29
	s_add_i32 s50, s28, 1
	s_cmp_ge_u32 s29, s34
	s_cselect_b32 s28, s50, s28
	s_xor_b32 s28, s28, s5
	s_sub_i32 s5, s28, s5
	s_mul_i32 s28, s5, s10
	s_sub_i32 s28, s36, s28
	s_mul_i32 s28, s28, s12
	s_mul_i32 s5, s5, s11
	s_add_i32 s5, s28, s5
	s_cmp_eq_u32 s5, s31
	s_cbranch_scc1 .LBB77_17
; %bb.16:                               ;   in Loop: Header=BB77_11 Depth=1
	s_mul_hi_i32 s29, s5, s15
	s_mul_i32 s28, s5, s15
	s_lshl_b64 s[28:29], s[28:29], 1
	s_add_u32 s28, s20, s28
	s_addc_u32 s29, s21, s29
	s_and_b32 s29, s29, 0xffff
	s_mov_b32 s31, s7
	buffer_load_dwordx4 v[4:7], v72, s[28:31], 0 offen
	buffer_load_dwordx4 v[10:13], v72, s[28:31], 16 offen
	s_mov_b32 s31, s5
	s_waitcnt vmcnt(1)
	v_cvt_f32_u32_sdwa v71, v4 dst_sel:DWORD dst_unused:UNUSED_PAD src0_sel:WORD_1
	v_cvt_f32_u32_sdwa v70, v4 dst_sel:DWORD dst_unused:UNUSED_PAD src0_sel:WORD_0
	v_cvt_f32_u32_sdwa v3, v5 dst_sel:DWORD dst_unused:UNUSED_PAD src0_sel:WORD_1
	v_cvt_f32_u32_sdwa v2, v5 dst_sel:DWORD dst_unused:UNUSED_PAD src0_sel:WORD_0
	;; [unrolled: 2-line block ×4, first 2 shown]
	s_waitcnt vmcnt(0)
	v_cvt_f32_u32_sdwa v27, v10 dst_sel:DWORD dst_unused:UNUSED_PAD src0_sel:WORD_1
	v_cvt_f32_u32_sdwa v26, v10 dst_sel:DWORD dst_unused:UNUSED_PAD src0_sel:WORD_0
	v_cvt_f32_u32_sdwa v39, v11 dst_sel:DWORD dst_unused:UNUSED_PAD src0_sel:WORD_1
	v_cvt_f32_u32_sdwa v38, v11 dst_sel:DWORD dst_unused:UNUSED_PAD src0_sel:WORD_0
	;; [unrolled: 2-line block ×4, first 2 shown]
.LBB77_17:                              ;   in Loop: Header=BB77_11 Depth=1
	s_mul_i32 s4, s4, s35
	s_ashr_i32 s5, s4, 31
	s_lshl_b64 s[4:5], s[4:5], 2
	s_add_u32 s4, s22, s4
	s_addc_u32 s5, s23, s5
	s_and_b32 s5, s5, 0xffff
	buffer_load_dwordx4 v[4:7], v73, s[4:7], 0 offen
	buffer_load_dwordx4 v[10:13], v73, s[4:7], 16 offen
	s_waitcnt vmcnt(1)
	v_pk_mul_f32 v[20:21], v[70:71], v[4:5]
	v_pk_mul_f32 v[18:19], v[2:3], v[6:7]
	buffer_load_dwordx4 v[4:7], v73, s[4:7], 32 offen
	buffer_load_dwordx4 v[22:25], v73, s[4:7], 48 offen
	s_waitcnt vmcnt(2)
	v_pk_mul_f32 v[14:15], v[8:9], v[10:11]
	v_pk_mul_f32 v[12:13], v[16:17], v[12:13]
	s_waitcnt vmcnt(1)
	v_pk_mul_f32 v[10:11], v[26:27], v[4:5]
	s_waitcnt vmcnt(0)
	v_pk_mul_f32 v[4:5], v[52:53], v[22:23]
	v_max3_f32 v22, |v20|, s46, |v21|
	v_max3_f32 v22, v22, |v18|, |v19|
	v_max3_f32 v22, v22, |v14|, |v15|
	;; [unrolled: 1-line block ×3, first 2 shown]
	v_pk_mul_f32 v[6:7], v[38:39], v[6:7]
	v_max3_f32 v22, v22, |v10|, |v11|
	v_max3_f32 v22, v22, |v6|, |v7|
	v_pk_mul_f32 v[0:1], v[68:69], v[24:25]
	v_max3_f32 v22, v22, |v4|, |v5|
	v_max3_f32 v22, v22, |v0|, |v1|
	s_nop 1
	v_mov_b32_dpp v23, v22 quad_perm:[1,0,3,2] row_mask:0xf bank_mask:0xf
	v_cmp_gt_f32_e64 s[4:5], v22, v23
	v_cndmask_b32_e64 v22, v23, v22, s[4:5]
	s_nop 1
	v_mov_b32_dpp v23, v22 quad_perm:[2,3,0,1] row_mask:0xf bank_mask:0xf
	v_cmp_gt_f32_e64 s[4:5], v22, v23
	v_cndmask_b32_e64 v22, v23, v22, s[4:5]
	s_nop 1
	v_mov_b32_dpp v23, v22 row_half_mirror row_mask:0xf bank_mask:0xf
	v_cmp_gt_f32_e64 s[4:5], v22, v23
	v_cndmask_b32_e64 v22, v23, v22, s[4:5]
	s_nop 1
	v_mov_b32_dpp v23, v22 row_mirror row_mask:0xf bank_mask:0xf
	v_cmp_gt_f32_e64 s[4:5], v22, v23
	v_cndmask_b32_e64 v22, v23, v22, s[4:5]
	s_nop 1
	v_mov_b32_dpp v23, v22 row_bcast:15 row_mask:0xf bank_mask:0xf
	v_cmp_gt_f32_e64 s[4:5], v22, v23
	v_cndmask_b32_e64 v22, v23, v22, s[4:5]
	s_nop 1
	v_mov_b32_dpp v23, v22 row_bcast:31 row_mask:0xf bank_mask:0xf
	s_and_saveexec_b64 s[28:29], vcc
	s_cbranch_execz .LBB77_19
; %bb.18:                               ;   in Loop: Header=BB77_11 Depth=1
	v_cmp_gt_f32_e64 s[4:5], v22, v23
	v_cndmask_b32_e64 v22, v23, v22, s[4:5]
	ds_write_b32 v74, v22
.LBB77_19:                              ;   in Loop: Header=BB77_11 Depth=1
	s_or_b64 exec, exec, s[28:29]
	s_waitcnt lgkmcnt(0)
	s_barrier
	ds_read_b32 v22, v75
	s_waitcnt lgkmcnt(0)
	s_nop 0
	v_mov_b32_dpp v23, v22 quad_perm:[1,0,3,2] row_mask:0xf bank_mask:0xf
	v_cmp_gt_f32_e64 s[4:5], v22, v23
	v_cndmask_b32_e64 v22, v23, v22, s[4:5]
	s_nop 1
	v_mov_b32_dpp v23, v22 quad_perm:[2,3,0,1] row_mask:0xf bank_mask:0xf
	v_cmp_gt_f32_e64 s[4:5], v22, v23
	v_cndmask_b32_e64 v22, v23, v22, s[4:5]
	s_mul_hi_u32 s5, s37, s45
	s_mul_i32 s28, s5, s41
	s_sub_i32 s28, s37, s28
	s_xor_b32 s4, s39, s44
	s_add_i32 s29, s5, 1
	s_sub_i32 s37, s28, s41
	s_cmp_ge_u32 s28, s41
	s_cselect_b32 s5, s29, s5
	s_cselect_b32 s28, s37, s28
	s_add_i32 s29, s5, 1
	s_cmp_ge_u32 s28, s41
	s_cselect_b32 s5, s29, s5
	s_xor_b32 s5, s5, s4
	s_sub_i32 s4, s5, s4
	s_mul_i32 s5, s4, s9
	s_sub_i32 s5, s36, s5
	s_mul_i32 s5, s5, s14
	s_mul_i32 s4, s4, s13
	v_mul_f32_e32 v22, 0x3b124925, v22
	s_add_i32 s28, s5, s4
	s_and_saveexec_b64 s[4:5], s[0:1]
	s_cbranch_execz .LBB77_21
; %bb.20:                               ;   in Loop: Header=BB77_11 Depth=1
	s_ashr_i32 s29, s28, 31
	s_lshl_b64 s[36:37], s[28:29], 2
	s_add_u32 s36, s18, s36
	s_addc_u32 s37, s19, s37
	global_store_dword v78, v22, s[36:37]
.LBB77_21:                              ;   in Loop: Header=BB77_11 Depth=1
	s_or_b64 exec, exec, s[4:5]
	s_and_saveexec_b64 s[4:5], s[2:3]
	s_cbranch_execz .LBB77_9
; %bb.22:                               ;   in Loop: Header=BB77_11 Depth=1
	v_rcp_f32_e32 v22, v22
	s_mul_hi_i32 s29, s28, s15
	s_mul_i32 s28, s28, s15
	s_add_u32 s36, s16, s28
	v_mov_b32_e32 v23, v22
	;;#ASMSTART
	v_pk_mul_f32 v[20:21], v[20:21], v[22:23]
	;;#ASMEND
	;;#ASMSTART
	v_med3_f32 v20, v20, v79, v80
v_med3_f32 v21, v21, v79, v80
v_cvt_pk_fp8_f32 v24, v20, v21
	;;#ASMEND
	;;#ASMSTART
	v_pk_mul_f32 v[18:19], v[18:19], v[22:23]
	;;#ASMEND
	;;#ASMSTART
	v_med3_f32 v18, v18, v79, v80
v_med3_f32 v19, v19, v79, v80
v_cvt_pk_fp8_f32 v20, v18, v19
	;;#ASMEND
	;; [unrolled: 8-line block ×6, first 2 shown]
	;;#ASMSTART
	v_pk_mul_f32 v[4:5], v[4:5], v[22:23]
	;;#ASMEND
	s_addc_u32 s28, s17, s29
	v_perm_b32 v18, v20, v24, s47
	;;#ASMSTART
	v_med3_f32 v4, v4, v79, v80
v_med3_f32 v5, v5, v79, v80
v_cvt_pk_fp8_f32 v6, v4, v5
	;;#ASMEND
	;;#ASMSTART
	v_pk_mul_f32 v[0:1], v[0:1], v[22:23]
	;;#ASMEND
	s_and_b32 s37, s28, 0xffff
	s_mov_b32 s39, s7
	v_perm_b32 v18, v18, v20, s48
	v_perm_b32 v19, v19, v14, s49
	;; [unrolled: 1-line block ×3, first 2 shown]
	;;#ASMSTART
	v_med3_f32 v0, v0, v79, v80
v_med3_f32 v1, v1, v79, v80
v_cvt_pk_fp8_f32 v4, v0, v1
	;;#ASMEND
	v_perm_b32 v21, v6, v4, s49
	buffer_store_dwordx4 v[18:21], v76, s[36:39], 0 offen
	;;#ASMSTART
	s_nop 0
	;;#ASMEND
	s_branch .LBB77_9
.LBB77_23:
	s_endpgm
.LBB77_24:
                                        ; implicit-def: $sgpr2
	s_branch .LBB77_2
	.section	.rodata,"a",@progbits
	.p2align	6, 0x0
	.amdhsa_kernel _ZN5aiter36smooth_per_token_scaled_quant_kernelItDB8_Li256ELi16ELb1ELb1ELb0ELi1024EEEvPT0_PfPT_S4_PiS7_iiPKiiiiiiiii
		.amdhsa_group_segment_fixed_size 16
		.amdhsa_private_segment_fixed_size 0
		.amdhsa_kernarg_size 96
		.amdhsa_user_sgpr_count 6
		.amdhsa_user_sgpr_private_segment_buffer 1
		.amdhsa_user_sgpr_dispatch_ptr 0
		.amdhsa_user_sgpr_queue_ptr 0
		.amdhsa_user_sgpr_kernarg_segment_ptr 1
		.amdhsa_user_sgpr_dispatch_id 0
		.amdhsa_user_sgpr_flat_scratch_init 0
		.amdhsa_user_sgpr_kernarg_preload_length 0
		.amdhsa_user_sgpr_kernarg_preload_offset 0
		.amdhsa_user_sgpr_private_segment_size 0
		.amdhsa_uses_dynamic_stack 0
		.amdhsa_system_sgpr_private_segment_wavefront_offset 0
		.amdhsa_system_sgpr_workgroup_id_x 1
		.amdhsa_system_sgpr_workgroup_id_y 0
		.amdhsa_system_sgpr_workgroup_id_z 0
		.amdhsa_system_sgpr_workgroup_info 0
		.amdhsa_system_vgpr_workitem_id 0
		.amdhsa_next_free_vgpr 82
		.amdhsa_next_free_sgpr 52
		.amdhsa_accum_offset 84
		.amdhsa_reserve_vcc 1
		.amdhsa_reserve_flat_scratch 0
		.amdhsa_float_round_mode_32 0
		.amdhsa_float_round_mode_16_64 0
		.amdhsa_float_denorm_mode_32 3
		.amdhsa_float_denorm_mode_16_64 3
		.amdhsa_dx10_clamp 1
		.amdhsa_ieee_mode 1
		.amdhsa_fp16_overflow 0
		.amdhsa_tg_split 0
		.amdhsa_exception_fp_ieee_invalid_op 0
		.amdhsa_exception_fp_denorm_src 0
		.amdhsa_exception_fp_ieee_div_zero 0
		.amdhsa_exception_fp_ieee_overflow 0
		.amdhsa_exception_fp_ieee_underflow 0
		.amdhsa_exception_fp_ieee_inexact 0
		.amdhsa_exception_int_div_zero 0
	.end_amdhsa_kernel
	.section	.text._ZN5aiter36smooth_per_token_scaled_quant_kernelItDB8_Li256ELi16ELb1ELb1ELb0ELi1024EEEvPT0_PfPT_S4_PiS7_iiPKiiiiiiiii,"axG",@progbits,_ZN5aiter36smooth_per_token_scaled_quant_kernelItDB8_Li256ELi16ELb1ELb1ELb0ELi1024EEEvPT0_PfPT_S4_PiS7_iiPKiiiiiiiii,comdat
.Lfunc_end77:
	.size	_ZN5aiter36smooth_per_token_scaled_quant_kernelItDB8_Li256ELi16ELb1ELb1ELb0ELi1024EEEvPT0_PfPT_S4_PiS7_iiPKiiiiiiiii, .Lfunc_end77-_ZN5aiter36smooth_per_token_scaled_quant_kernelItDB8_Li256ELi16ELb1ELb1ELb0ELi1024EEEvPT0_PfPT_S4_PiS7_iiPKiiiiiiiii
                                        ; -- End function
	.section	.AMDGPU.csdata,"",@progbits
; Kernel info:
; codeLenInByte = 1904
; NumSgprs: 56
; NumVgprs: 82
; NumAgprs: 0
; TotalNumVgprs: 82
; ScratchSize: 0
; MemoryBound: 0
; FloatMode: 240
; IeeeMode: 1
; LDSByteSize: 16 bytes/workgroup (compile time only)
; SGPRBlocks: 6
; VGPRBlocks: 10
; NumSGPRsForWavesPerEU: 56
; NumVGPRsForWavesPerEU: 82
; AccumOffset: 84
; Occupancy: 5
; WaveLimiterHint : 0
; COMPUTE_PGM_RSRC2:SCRATCH_EN: 0
; COMPUTE_PGM_RSRC2:USER_SGPR: 6
; COMPUTE_PGM_RSRC2:TRAP_HANDLER: 0
; COMPUTE_PGM_RSRC2:TGID_X_EN: 1
; COMPUTE_PGM_RSRC2:TGID_Y_EN: 0
; COMPUTE_PGM_RSRC2:TGID_Z_EN: 0
; COMPUTE_PGM_RSRC2:TIDIG_COMP_CNT: 0
; COMPUTE_PGM_RSRC3_GFX90A:ACCUM_OFFSET: 20
; COMPUTE_PGM_RSRC3_GFX90A:TG_SPLIT: 0
	.section	.text._ZN5aiter36smooth_per_token_scaled_quant_kernelIDF16_DB8_Li256ELi16ELb1ELb0ELb0ELi1024EEEvPT0_PfPT_S4_PiS7_iiPKiiiiiiiii,"axG",@progbits,_ZN5aiter36smooth_per_token_scaled_quant_kernelIDF16_DB8_Li256ELi16ELb1ELb0ELb0ELi1024EEEvPT0_PfPT_S4_PiS7_iiPKiiiiiiiii,comdat
	.protected	_ZN5aiter36smooth_per_token_scaled_quant_kernelIDF16_DB8_Li256ELi16ELb1ELb0ELb0ELi1024EEEvPT0_PfPT_S4_PiS7_iiPKiiiiiiiii ; -- Begin function _ZN5aiter36smooth_per_token_scaled_quant_kernelIDF16_DB8_Li256ELi16ELb1ELb0ELb0ELi1024EEEvPT0_PfPT_S4_PiS7_iiPKiiiiiiiii
	.globl	_ZN5aiter36smooth_per_token_scaled_quant_kernelIDF16_DB8_Li256ELi16ELb1ELb0ELb0ELi1024EEEvPT0_PfPT_S4_PiS7_iiPKiiiiiiiii
	.p2align	8
	.type	_ZN5aiter36smooth_per_token_scaled_quant_kernelIDF16_DB8_Li256ELi16ELb1ELb0ELb0ELi1024EEEvPT0_PfPT_S4_PiS7_iiPKiiiiiiiii,@function
_ZN5aiter36smooth_per_token_scaled_quant_kernelIDF16_DB8_Li256ELi16ELb1ELb0ELb0ELi1024EEEvPT0_PfPT_S4_PiS7_iiPKiiiiiiiii: ; @_ZN5aiter36smooth_per_token_scaled_quant_kernelIDF16_DB8_Li256ELi16ELb1ELb0ELb0ELi1024EEEvPT0_PfPT_S4_PiS7_iiPKiiiiiiiii
; %bb.0:
	s_load_dwordx2 s[2:3], s[4:5], 0x38
	s_load_dwordx8 s[8:15], s[4:5], 0x40
	s_mov_b64 s[0:1], 0
	s_waitcnt lgkmcnt(0)
	s_cmp_lg_u64 s[2:3], 0
	s_cbranch_scc0 .LBB78_19
; %bb.1:
	s_load_dword s2, s[2:3], 0x0
	s_waitcnt lgkmcnt(0)
	s_mul_i32 s2, s2, s8
	s_andn2_b64 vcc, exec, s[0:1]
	s_cbranch_vccnz .LBB78_3
.LBB78_2:
	s_mul_i32 s2, s10, s9
.LBB78_3:
	s_load_dwordx2 s[24:25], s[4:5], 0x30
	s_abs_i32 s1, s2
	s_waitcnt lgkmcnt(0)
	s_abs_i32 s0, s24
	v_cvt_f32_u32_e32 v1, s0
	s_sub_i32 s7, 0, s0
	s_xor_b32 s3, s2, s24
	s_ashr_i32 s3, s3, 31
	v_rcp_iflag_f32_e32 v1, v1
	v_mul_f32_e32 v1, 0x4f7ffffe, v1
	v_cvt_u32_f32_e32 v1, v1
	v_readfirstlane_b32 s8, v1
	s_mul_i32 s7, s7, s8
	s_mul_hi_u32 s7, s8, s7
	s_add_i32 s8, s8, s7
	s_mul_hi_u32 s7, s1, s8
	s_mul_i32 s8, s7, s0
	s_sub_i32 s1, s1, s8
	s_add_i32 s15, s7, 1
	s_sub_i32 s8, s1, s0
	s_cmp_ge_u32 s1, s0
	s_cselect_b32 s7, s15, s7
	s_cselect_b32 s1, s8, s1
	s_add_i32 s8, s7, 1
	s_cmp_ge_u32 s1, s0
	s_cselect_b32 s0, s8, s7
	s_xor_b32 s0, s0, s3
	s_sub_i32 s7, s0, s3
	s_mul_i32 s0, s7, s24
	s_sub_i32 s2, s2, s0
	s_cmp_lt_u32 s6, s2
	s_cselect_b64 s[0:1], -1, 0
	s_add_i32 s15, s7, 1
	s_cmp_ge_u32 s6, s2
	s_cbranch_scc0 .LBB78_5
; %bb.4:
	s_mul_i32 s3, s2, s15
	s_sub_i32 s2, s6, s2
	s_mul_i32 s2, s2, s7
	s_add_i32 s8, s2, s3
	s_cbranch_execz .LBB78_6
	s_branch .LBB78_7
.LBB78_5:
                                        ; implicit-def: $sgpr8
.LBB78_6:
	s_mul_i32 s8, s15, s6
.LBB78_7:
	v_cndmask_b32_e64 v1, 0, 1, s[0:1]
	v_readfirstlane_b32 s0, v1
	s_add_i32 s15, s7, s0
	s_cmp_lt_i32 s15, 1
	s_cbranch_scc1 .LBB78_18
; %bb.8:
	v_and_b32_e32 v1, 63, v0
	v_cmp_eq_u32_e32 vcc, 63, v1
	v_lshrrev_b32_e32 v1, 4, v0
	v_and_b32_e32 v74, 60, v1
	v_and_b32_e32 v1, 3, v0
	s_abs_i32 s34, s10
	v_lshlrev_b32_e32 v75, 2, v1
	v_cvt_f32_u32_e32 v1, s34
	s_add_i32 s2, s25, 15
	s_ashr_i32 s3, s2, 31
	s_lshr_b32 s3, s3, 28
	v_rcp_iflag_f32_e32 v1, v1
	s_add_i32 s2, s2, s3
	s_ashr_i32 s2, s2, 4
	s_abs_i32 s35, s9
	v_lshlrev_b32_e32 v72, 5, v0
	v_lshlrev_b32_e32 v73, 6, v0
	v_cmp_eq_u32_e64 s[0:1], 0, v0
	v_cmp_gt_u32_e64 s[2:3], s2, v0
	v_lshlrev_b32_e32 v76, 4, v0
	v_mul_f32_e32 v0, 0x4f7ffffe, v1
	v_cvt_f32_u32_e32 v1, s35
	v_cvt_u32_f32_e32 v0, v0
	s_load_dwordx8 s[16:23], s[4:5], 0x0
	s_add_i32 s4, s25, 3
	v_rcp_iflag_f32_e32 v1, v1
	s_ashr_i32 s5, s4, 31
	s_lshr_b32 s5, s5, 30
	s_add_i32 s4, s4, s5
	v_readfirstlane_b32 s5, v0
	v_mul_f32_e32 v0, 0x4f7ffffe, v1
	v_cvt_u32_f32_e32 v0, v0
	s_and_b32 s30, s4, -4
	s_sub_i32 s4, 0, s34
	s_mul_i32 s4, s4, s5
	s_mul_hi_u32 s4, s5, s4
	s_add_i32 s37, s5, s4
	v_readfirstlane_b32 s5, v0
                                        ; implicit-def: $vgpr0_vgpr1_vgpr2_vgpr3_vgpr4_vgpr5_vgpr6_vgpr7_vgpr8_vgpr9_vgpr10_vgpr11_vgpr12_vgpr13_vgpr14_vgpr15
                                        ; implicit-def: $vgpr4_vgpr5_vgpr6_vgpr7_vgpr8_vgpr9_vgpr10_vgpr11_vgpr12_vgpr13_vgpr14_vgpr15_vgpr16_vgpr17_vgpr18_vgpr19
	s_sub_i32 s4, 0, s35
                                        ; implicit-def: $vgpr10_vgpr11_vgpr12_vgpr13_vgpr14_vgpr15_vgpr16_vgpr17_vgpr18_vgpr19_vgpr20_vgpr21_vgpr22_vgpr23_vgpr24_vgpr25
	s_mul_i32 s4, s4, s5
                                        ; implicit-def: $vgpr18_vgpr19_vgpr20_vgpr21_vgpr22_vgpr23_vgpr24_vgpr25_vgpr26_vgpr27_vgpr28_vgpr29_vgpr30_vgpr31_vgpr32_vgpr33
	s_mov_b32 s7, 0x20000
	s_waitcnt lgkmcnt(0)
	s_and_b32 s23, s23, 0xffff
	s_mul_hi_u32 s4, s5, s4
                                        ; implicit-def: $vgpr28_vgpr29_vgpr30_vgpr31_vgpr32_vgpr33_vgpr34_vgpr35_vgpr36_vgpr37_vgpr38_vgpr39_vgpr40_vgpr41_vgpr42_vgpr43
	s_mov_b32 s33, s25
	s_lshl_b32 s6, s25, 1
	s_lshl_b32 s26, s25, 2
	s_mov_b32 s27, s7
	s_ashr_i32 s36, s10, 31
	s_ashr_i32 s38, s9, 31
	s_add_i32 s39, s5, s4
	s_mov_b32 s44, -1
	s_mov_b32 s25, s23
	s_mov_b32 s40, 0x2edbe6ff
	v_mov_b32_e32 v77, 0
	v_mov_b32_e32 v78, 0xc3e00000
	;; [unrolled: 1-line block ×3, first 2 shown]
	s_mov_b32 s41, 0x5040100
	s_mov_b32 s42, 0x1060504
	;; [unrolled: 1-line block ×4, first 2 shown]
                                        ; implicit-def: $vgpr40_vgpr41_vgpr42_vgpr43_vgpr44_vgpr45_vgpr46_vgpr47_vgpr48_vgpr49_vgpr50_vgpr51_vgpr52_vgpr53_vgpr54_vgpr55
                                        ; implicit-def: $vgpr70
                                        ; implicit-def: $vgpr54_vgpr55_vgpr56_vgpr57_vgpr58_vgpr59_vgpr60_vgpr61_vgpr62_vgpr63_vgpr64_vgpr65_vgpr66_vgpr67_vgpr68_vgpr69
	s_branch .LBB78_10
.LBB78_9:                               ;   in Loop: Header=BB78_10 Depth=1
	s_or_b64 exec, exec, s[4:5]
	s_add_i32 s15, s15, -1
	s_add_i32 s8, s8, 1
	s_cmp_eq_u32 s15, 0
	s_cbranch_scc1 .LBB78_18
.LBB78_10:                              ; =>This Inner Loop Header: Depth=1
	s_abs_i32 s28, s8
	s_mul_hi_u32 s5, s28, s37
	s_mul_i32 s22, s5, s34
	s_ashr_i32 s29, s8, 31
	s_sub_i32 s22, s28, s22
	s_xor_b32 s4, s29, s36
	s_add_i32 s23, s5, 1
	s_sub_i32 s31, s22, s34
	s_cmp_ge_u32 s22, s34
	s_cselect_b32 s5, s23, s5
	s_cselect_b32 s22, s31, s22
	s_add_i32 s23, s5, 1
	s_cmp_ge_u32 s22, s34
	s_cselect_b32 s5, s23, s5
	s_xor_b32 s5, s5, s4
	s_sub_i32 s4, s5, s4
	s_mul_i32 s5, s4, s10
	s_sub_i32 s5, s8, s5
	s_mul_i32 s22, s5, s12
	s_mul_i32 s4, s4, s11
	s_add_i32 s22, s22, s4
	s_cmp_eq_u32 s22, s44
	s_cbranch_scc1 .LBB78_12
; %bb.11:                               ;   in Loop: Header=BB78_10 Depth=1
	s_mul_hi_i32 s5, s22, s33
	s_mul_i32 s4, s22, s33
	s_lshl_b64 s[4:5], s[4:5], 1
	s_add_u32 s4, s20, s4
	s_addc_u32 s5, s21, s5
	s_and_b32 s5, s5, 0xffff
	buffer_load_dwordx4 v[2:5], v72, s[4:7], 0 offen
	buffer_load_dwordx4 v[10:13], v72, s[4:7], 16 offen
	s_mov_b32 s44, s22
	s_waitcnt vmcnt(1)
	v_cvt_f32_f16_e32 v70, v2
	v_cvt_f32_f16_sdwa v71, v2 dst_sel:DWORD dst_unused:UNUSED_PAD src0_sel:WORD_1
	v_cvt_f32_f16_e32 v2, v3
	v_cvt_f32_f16_sdwa v3, v3 dst_sel:DWORD dst_unused:UNUSED_PAD src0_sel:WORD_1
	v_cvt_f32_f16_e32 v8, v4
	v_cvt_f32_f16_sdwa v9, v4 dst_sel:DWORD dst_unused:UNUSED_PAD src0_sel:WORD_1
	v_cvt_f32_f16_e32 v16, v5
	v_cvt_f32_f16_sdwa v17, v5 dst_sel:DWORD dst_unused:UNUSED_PAD src0_sel:WORD_1
	s_waitcnt vmcnt(0)
	v_cvt_f32_f16_e32 v26, v10
	v_cvt_f32_f16_sdwa v27, v10 dst_sel:DWORD dst_unused:UNUSED_PAD src0_sel:WORD_1
	v_cvt_f32_f16_e32 v38, v11
	v_cvt_f32_f16_sdwa v39, v11 dst_sel:DWORD dst_unused:UNUSED_PAD src0_sel:WORD_1
	v_cvt_f32_f16_e32 v52, v12
	v_cvt_f32_f16_sdwa v53, v12 dst_sel:DWORD dst_unused:UNUSED_PAD src0_sel:WORD_1
	v_cvt_f32_f16_e32 v68, v13
	v_cvt_f32_f16_sdwa v69, v13 dst_sel:DWORD dst_unused:UNUSED_PAD src0_sel:WORD_1
.LBB78_12:                              ;   in Loop: Header=BB78_10 Depth=1
	buffer_load_dwordx4 v[4:7], v73, s[24:27], 0 offen
	buffer_load_dwordx4 v[10:13], v73, s[24:27], 16 offen
	s_waitcnt vmcnt(1)
	v_pk_mul_f32 v[20:21], v[70:71], v[4:5]
	v_pk_mul_f32 v[18:19], v[2:3], v[6:7]
	buffer_load_dwordx4 v[4:7], v73, s[24:27], 32 offen
	buffer_load_dwordx4 v[22:25], v73, s[24:27], 48 offen
	s_waitcnt vmcnt(2)
	v_pk_mul_f32 v[14:15], v[8:9], v[10:11]
	v_pk_mul_f32 v[12:13], v[16:17], v[12:13]
	s_waitcnt vmcnt(1)
	v_pk_mul_f32 v[10:11], v[26:27], v[4:5]
	s_waitcnt vmcnt(0)
	v_pk_mul_f32 v[4:5], v[52:53], v[22:23]
	v_max3_f32 v22, |v20|, s40, |v21|
	v_max3_f32 v22, v22, |v18|, |v19|
	v_max3_f32 v22, v22, |v14|, |v15|
	;; [unrolled: 1-line block ×3, first 2 shown]
	v_pk_mul_f32 v[6:7], v[38:39], v[6:7]
	v_max3_f32 v22, v22, |v10|, |v11|
	v_max3_f32 v22, v22, |v6|, |v7|
	v_pk_mul_f32 v[0:1], v[68:69], v[24:25]
	v_max3_f32 v22, v22, |v4|, |v5|
	v_max3_f32 v22, v22, |v0|, |v1|
	s_nop 1
	v_mov_b32_dpp v23, v22 quad_perm:[1,0,3,2] row_mask:0xf bank_mask:0xf
	v_cmp_gt_f32_e64 s[4:5], v22, v23
	v_cndmask_b32_e64 v22, v23, v22, s[4:5]
	s_nop 1
	v_mov_b32_dpp v23, v22 quad_perm:[2,3,0,1] row_mask:0xf bank_mask:0xf
	v_cmp_gt_f32_e64 s[4:5], v22, v23
	v_cndmask_b32_e64 v22, v23, v22, s[4:5]
	s_nop 1
	v_mov_b32_dpp v23, v22 row_half_mirror row_mask:0xf bank_mask:0xf
	v_cmp_gt_f32_e64 s[4:5], v22, v23
	v_cndmask_b32_e64 v22, v23, v22, s[4:5]
	s_nop 1
	v_mov_b32_dpp v23, v22 row_mirror row_mask:0xf bank_mask:0xf
	v_cmp_gt_f32_e64 s[4:5], v22, v23
	v_cndmask_b32_e64 v22, v23, v22, s[4:5]
	s_nop 1
	v_mov_b32_dpp v23, v22 row_bcast:15 row_mask:0xf bank_mask:0xf
	v_cmp_gt_f32_e64 s[4:5], v22, v23
	v_cndmask_b32_e64 v22, v23, v22, s[4:5]
	s_nop 1
	v_mov_b32_dpp v23, v22 row_bcast:31 row_mask:0xf bank_mask:0xf
	s_and_saveexec_b64 s[22:23], vcc
	s_cbranch_execz .LBB78_14
; %bb.13:                               ;   in Loop: Header=BB78_10 Depth=1
	v_cmp_gt_f32_e64 s[4:5], v22, v23
	v_cndmask_b32_e64 v22, v23, v22, s[4:5]
	ds_write_b32 v74, v22
.LBB78_14:                              ;   in Loop: Header=BB78_10 Depth=1
	s_or_b64 exec, exec, s[22:23]
	s_waitcnt lgkmcnt(0)
	s_barrier
	ds_read_b32 v22, v75
	s_waitcnt lgkmcnt(0)
	s_nop 0
	v_mov_b32_dpp v23, v22 quad_perm:[1,0,3,2] row_mask:0xf bank_mask:0xf
	v_cmp_gt_f32_e64 s[4:5], v22, v23
	v_cndmask_b32_e64 v22, v23, v22, s[4:5]
	s_nop 1
	v_mov_b32_dpp v23, v22 quad_perm:[2,3,0,1] row_mask:0xf bank_mask:0xf
	v_cmp_gt_f32_e64 s[4:5], v22, v23
	v_cndmask_b32_e64 v22, v23, v22, s[4:5]
	s_mul_hi_u32 s5, s28, s39
	s_mul_i32 s22, s5, s35
	s_sub_i32 s22, s28, s22
	s_xor_b32 s4, s29, s38
	s_add_i32 s23, s5, 1
	s_sub_i32 s28, s22, s35
	s_cmp_ge_u32 s22, s35
	s_cselect_b32 s5, s23, s5
	s_cselect_b32 s22, s28, s22
	s_add_i32 s23, s5, 1
	s_cmp_ge_u32 s22, s35
	s_cselect_b32 s5, s23, s5
	s_xor_b32 s5, s5, s4
	s_sub_i32 s4, s5, s4
	s_mul_i32 s5, s4, s9
	s_sub_i32 s5, s8, s5
	s_mul_i32 s5, s5, s14
	s_mul_i32 s4, s4, s13
	v_mul_f32_e32 v22, 0x3b124925, v22
	s_add_i32 s22, s5, s4
	s_and_saveexec_b64 s[4:5], s[0:1]
	s_cbranch_execz .LBB78_16
; %bb.15:                               ;   in Loop: Header=BB78_10 Depth=1
	s_ashr_i32 s23, s22, 31
	s_lshl_b64 s[28:29], s[22:23], 2
	s_add_u32 s28, s18, s28
	s_addc_u32 s29, s19, s29
	global_store_dword v77, v22, s[28:29]
.LBB78_16:                              ;   in Loop: Header=BB78_10 Depth=1
	s_or_b64 exec, exec, s[4:5]
	s_and_saveexec_b64 s[4:5], s[2:3]
	s_cbranch_execz .LBB78_9
; %bb.17:                               ;   in Loop: Header=BB78_10 Depth=1
	v_rcp_f32_e32 v22, v22
	s_mul_hi_i32 s23, s22, s33
	s_mul_i32 s22, s22, s33
	s_add_u32 s28, s16, s22
	v_mov_b32_e32 v23, v22
	;;#ASMSTART
	v_pk_mul_f32 v[20:21], v[20:21], v[22:23]
	;;#ASMEND
	;;#ASMSTART
	v_med3_f32 v20, v20, v78, v79
v_med3_f32 v21, v21, v78, v79
v_cvt_pk_fp8_f32 v24, v20, v21
	;;#ASMEND
	;;#ASMSTART
	v_pk_mul_f32 v[18:19], v[18:19], v[22:23]
	;;#ASMEND
	;;#ASMSTART
	v_med3_f32 v18, v18, v78, v79
v_med3_f32 v19, v19, v78, v79
v_cvt_pk_fp8_f32 v20, v18, v19
	;;#ASMEND
	;; [unrolled: 8-line block ×6, first 2 shown]
	;;#ASMSTART
	v_pk_mul_f32 v[4:5], v[4:5], v[22:23]
	;;#ASMEND
	s_addc_u32 s22, s17, s23
	v_perm_b32 v18, v20, v24, s41
	;;#ASMSTART
	v_med3_f32 v4, v4, v78, v79
v_med3_f32 v5, v5, v78, v79
v_cvt_pk_fp8_f32 v6, v4, v5
	;;#ASMEND
	;;#ASMSTART
	v_pk_mul_f32 v[0:1], v[0:1], v[22:23]
	;;#ASMEND
	s_and_b32 s29, s22, 0xffff
	s_mov_b32 s31, s7
	v_perm_b32 v18, v18, v20, s42
	v_perm_b32 v19, v19, v14, s43
	v_perm_b32 v20, v12, v10, s43
	;;#ASMSTART
	v_med3_f32 v0, v0, v78, v79
v_med3_f32 v1, v1, v78, v79
v_cvt_pk_fp8_f32 v4, v0, v1
	;;#ASMEND
	v_perm_b32 v21, v6, v4, s43
	buffer_store_dwordx4 v[18:21], v76, s[28:31], 0 offen
	;;#ASMSTART
	s_nop 0
	;;#ASMEND
	s_branch .LBB78_9
.LBB78_18:
	s_endpgm
.LBB78_19:
                                        ; implicit-def: $sgpr2
	s_branch .LBB78_2
	.section	.rodata,"a",@progbits
	.p2align	6, 0x0
	.amdhsa_kernel _ZN5aiter36smooth_per_token_scaled_quant_kernelIDF16_DB8_Li256ELi16ELb1ELb0ELb0ELi1024EEEvPT0_PfPT_S4_PiS7_iiPKiiiiiiiii
		.amdhsa_group_segment_fixed_size 16
		.amdhsa_private_segment_fixed_size 0
		.amdhsa_kernarg_size 96
		.amdhsa_user_sgpr_count 6
		.amdhsa_user_sgpr_private_segment_buffer 1
		.amdhsa_user_sgpr_dispatch_ptr 0
		.amdhsa_user_sgpr_queue_ptr 0
		.amdhsa_user_sgpr_kernarg_segment_ptr 1
		.amdhsa_user_sgpr_dispatch_id 0
		.amdhsa_user_sgpr_flat_scratch_init 0
		.amdhsa_user_sgpr_kernarg_preload_length 0
		.amdhsa_user_sgpr_kernarg_preload_offset 0
		.amdhsa_user_sgpr_private_segment_size 0
		.amdhsa_uses_dynamic_stack 0
		.amdhsa_system_sgpr_private_segment_wavefront_offset 0
		.amdhsa_system_sgpr_workgroup_id_x 1
		.amdhsa_system_sgpr_workgroup_id_y 0
		.amdhsa_system_sgpr_workgroup_id_z 0
		.amdhsa_system_sgpr_workgroup_info 0
		.amdhsa_system_vgpr_workitem_id 0
		.amdhsa_next_free_vgpr 80
		.amdhsa_next_free_sgpr 45
		.amdhsa_accum_offset 80
		.amdhsa_reserve_vcc 1
		.amdhsa_reserve_flat_scratch 0
		.amdhsa_float_round_mode_32 0
		.amdhsa_float_round_mode_16_64 0
		.amdhsa_float_denorm_mode_32 3
		.amdhsa_float_denorm_mode_16_64 3
		.amdhsa_dx10_clamp 1
		.amdhsa_ieee_mode 1
		.amdhsa_fp16_overflow 0
		.amdhsa_tg_split 0
		.amdhsa_exception_fp_ieee_invalid_op 0
		.amdhsa_exception_fp_denorm_src 0
		.amdhsa_exception_fp_ieee_div_zero 0
		.amdhsa_exception_fp_ieee_overflow 0
		.amdhsa_exception_fp_ieee_underflow 0
		.amdhsa_exception_fp_ieee_inexact 0
		.amdhsa_exception_int_div_zero 0
	.end_amdhsa_kernel
	.section	.text._ZN5aiter36smooth_per_token_scaled_quant_kernelIDF16_DB8_Li256ELi16ELb1ELb0ELb0ELi1024EEEvPT0_PfPT_S4_PiS7_iiPKiiiiiiiii,"axG",@progbits,_ZN5aiter36smooth_per_token_scaled_quant_kernelIDF16_DB8_Li256ELi16ELb1ELb0ELb0ELi1024EEEvPT0_PfPT_S4_PiS7_iiPKiiiiiiiii,comdat
.Lfunc_end78:
	.size	_ZN5aiter36smooth_per_token_scaled_quant_kernelIDF16_DB8_Li256ELi16ELb1ELb0ELb0ELi1024EEEvPT0_PfPT_S4_PiS7_iiPKiiiiiiiii, .Lfunc_end78-_ZN5aiter36smooth_per_token_scaled_quant_kernelIDF16_DB8_Li256ELi16ELb1ELb0ELb0ELi1024EEEvPT0_PfPT_S4_PiS7_iiPKiiiiiiiii
                                        ; -- End function
	.section	.AMDGPU.csdata,"",@progbits
; Kernel info:
; codeLenInByte = 1752
; NumSgprs: 49
; NumVgprs: 80
; NumAgprs: 0
; TotalNumVgprs: 80
; ScratchSize: 0
; MemoryBound: 0
; FloatMode: 240
; IeeeMode: 1
; LDSByteSize: 16 bytes/workgroup (compile time only)
; SGPRBlocks: 6
; VGPRBlocks: 9
; NumSGPRsForWavesPerEU: 49
; NumVGPRsForWavesPerEU: 80
; AccumOffset: 80
; Occupancy: 6
; WaveLimiterHint : 0
; COMPUTE_PGM_RSRC2:SCRATCH_EN: 0
; COMPUTE_PGM_RSRC2:USER_SGPR: 6
; COMPUTE_PGM_RSRC2:TRAP_HANDLER: 0
; COMPUTE_PGM_RSRC2:TGID_X_EN: 1
; COMPUTE_PGM_RSRC2:TGID_Y_EN: 0
; COMPUTE_PGM_RSRC2:TGID_Z_EN: 0
; COMPUTE_PGM_RSRC2:TIDIG_COMP_CNT: 0
; COMPUTE_PGM_RSRC3_GFX90A:ACCUM_OFFSET: 19
; COMPUTE_PGM_RSRC3_GFX90A:TG_SPLIT: 0
	.section	.text._ZN5aiter36smooth_per_token_scaled_quant_kernelItDB8_Li256ELi16ELb1ELb0ELb0ELi1024EEEvPT0_PfPT_S4_PiS7_iiPKiiiiiiiii,"axG",@progbits,_ZN5aiter36smooth_per_token_scaled_quant_kernelItDB8_Li256ELi16ELb1ELb0ELb0ELi1024EEEvPT0_PfPT_S4_PiS7_iiPKiiiiiiiii,comdat
	.protected	_ZN5aiter36smooth_per_token_scaled_quant_kernelItDB8_Li256ELi16ELb1ELb0ELb0ELi1024EEEvPT0_PfPT_S4_PiS7_iiPKiiiiiiiii ; -- Begin function _ZN5aiter36smooth_per_token_scaled_quant_kernelItDB8_Li256ELi16ELb1ELb0ELb0ELi1024EEEvPT0_PfPT_S4_PiS7_iiPKiiiiiiiii
	.globl	_ZN5aiter36smooth_per_token_scaled_quant_kernelItDB8_Li256ELi16ELb1ELb0ELb0ELi1024EEEvPT0_PfPT_S4_PiS7_iiPKiiiiiiiii
	.p2align	8
	.type	_ZN5aiter36smooth_per_token_scaled_quant_kernelItDB8_Li256ELi16ELb1ELb0ELb0ELi1024EEEvPT0_PfPT_S4_PiS7_iiPKiiiiiiiii,@function
_ZN5aiter36smooth_per_token_scaled_quant_kernelItDB8_Li256ELi16ELb1ELb0ELb0ELi1024EEEvPT0_PfPT_S4_PiS7_iiPKiiiiiiiii: ; @_ZN5aiter36smooth_per_token_scaled_quant_kernelItDB8_Li256ELi16ELb1ELb0ELb0ELi1024EEEvPT0_PfPT_S4_PiS7_iiPKiiiiiiiii
; %bb.0:
	s_load_dwordx2 s[2:3], s[4:5], 0x38
	s_load_dwordx8 s[8:15], s[4:5], 0x40
	s_mov_b64 s[0:1], 0
	s_waitcnt lgkmcnt(0)
	s_cmp_lg_u64 s[2:3], 0
	s_cbranch_scc0 .LBB79_19
; %bb.1:
	s_load_dword s2, s[2:3], 0x0
	s_waitcnt lgkmcnt(0)
	s_mul_i32 s2, s2, s8
	s_andn2_b64 vcc, exec, s[0:1]
	s_cbranch_vccnz .LBB79_3
.LBB79_2:
	s_mul_i32 s2, s10, s9
.LBB79_3:
	s_load_dwordx2 s[24:25], s[4:5], 0x30
	s_abs_i32 s1, s2
	s_waitcnt lgkmcnt(0)
	s_abs_i32 s0, s24
	v_cvt_f32_u32_e32 v1, s0
	s_sub_i32 s7, 0, s0
	s_xor_b32 s3, s2, s24
	s_ashr_i32 s3, s3, 31
	v_rcp_iflag_f32_e32 v1, v1
	v_mul_f32_e32 v1, 0x4f7ffffe, v1
	v_cvt_u32_f32_e32 v1, v1
	v_readfirstlane_b32 s8, v1
	s_mul_i32 s7, s7, s8
	s_mul_hi_u32 s7, s8, s7
	s_add_i32 s8, s8, s7
	s_mul_hi_u32 s7, s1, s8
	s_mul_i32 s8, s7, s0
	s_sub_i32 s1, s1, s8
	s_add_i32 s15, s7, 1
	s_sub_i32 s8, s1, s0
	s_cmp_ge_u32 s1, s0
	s_cselect_b32 s7, s15, s7
	s_cselect_b32 s1, s8, s1
	s_add_i32 s8, s7, 1
	s_cmp_ge_u32 s1, s0
	s_cselect_b32 s0, s8, s7
	s_xor_b32 s0, s0, s3
	s_sub_i32 s7, s0, s3
	s_mul_i32 s0, s7, s24
	s_sub_i32 s2, s2, s0
	s_cmp_lt_u32 s6, s2
	s_cselect_b64 s[0:1], -1, 0
	s_add_i32 s15, s7, 1
	s_cmp_ge_u32 s6, s2
	s_cbranch_scc0 .LBB79_5
; %bb.4:
	s_mul_i32 s3, s2, s15
	s_sub_i32 s2, s6, s2
	s_mul_i32 s2, s2, s7
	s_add_i32 s8, s2, s3
	s_cbranch_execz .LBB79_6
	s_branch .LBB79_7
.LBB79_5:
                                        ; implicit-def: $sgpr8
.LBB79_6:
	s_mul_i32 s8, s15, s6
.LBB79_7:
	v_cndmask_b32_e64 v1, 0, 1, s[0:1]
	v_readfirstlane_b32 s0, v1
	s_add_i32 s15, s7, s0
	s_cmp_lt_i32 s15, 1
	s_cbranch_scc1 .LBB79_18
; %bb.8:
	v_and_b32_e32 v1, 63, v0
	v_cmp_eq_u32_e32 vcc, 63, v1
	v_lshrrev_b32_e32 v1, 4, v0
	v_and_b32_e32 v74, 60, v1
	v_and_b32_e32 v1, 3, v0
	s_abs_i32 s34, s10
	v_lshlrev_b32_e32 v75, 2, v1
	v_cvt_f32_u32_e32 v1, s34
	s_add_i32 s2, s25, 15
	s_ashr_i32 s3, s2, 31
	s_lshr_b32 s3, s3, 28
	v_rcp_iflag_f32_e32 v1, v1
	s_add_i32 s2, s2, s3
	s_ashr_i32 s2, s2, 4
	s_abs_i32 s35, s9
	v_lshlrev_b32_e32 v72, 5, v0
	v_lshlrev_b32_e32 v73, 6, v0
	v_cmp_eq_u32_e64 s[0:1], 0, v0
	v_cmp_gt_u32_e64 s[2:3], s2, v0
	v_lshlrev_b32_e32 v76, 4, v0
	v_mul_f32_e32 v0, 0x4f7ffffe, v1
	v_cvt_f32_u32_e32 v1, s35
	v_cvt_u32_f32_e32 v0, v0
	s_load_dwordx8 s[16:23], s[4:5], 0x0
	s_add_i32 s4, s25, 3
	v_rcp_iflag_f32_e32 v1, v1
	s_ashr_i32 s5, s4, 31
	s_lshr_b32 s5, s5, 30
	s_add_i32 s4, s4, s5
	v_readfirstlane_b32 s5, v0
	v_mul_f32_e32 v0, 0x4f7ffffe, v1
	v_cvt_u32_f32_e32 v0, v0
	s_and_b32 s30, s4, -4
	s_sub_i32 s4, 0, s34
	s_mul_i32 s4, s4, s5
	s_mul_hi_u32 s4, s5, s4
	s_add_i32 s37, s5, s4
	v_readfirstlane_b32 s5, v0
                                        ; implicit-def: $vgpr0_vgpr1_vgpr2_vgpr3_vgpr4_vgpr5_vgpr6_vgpr7_vgpr8_vgpr9_vgpr10_vgpr11_vgpr12_vgpr13_vgpr14_vgpr15
                                        ; implicit-def: $vgpr4_vgpr5_vgpr6_vgpr7_vgpr8_vgpr9_vgpr10_vgpr11_vgpr12_vgpr13_vgpr14_vgpr15_vgpr16_vgpr17_vgpr18_vgpr19
	s_sub_i32 s4, 0, s35
                                        ; implicit-def: $vgpr10_vgpr11_vgpr12_vgpr13_vgpr14_vgpr15_vgpr16_vgpr17_vgpr18_vgpr19_vgpr20_vgpr21_vgpr22_vgpr23_vgpr24_vgpr25
	s_mul_i32 s4, s4, s5
                                        ; implicit-def: $vgpr18_vgpr19_vgpr20_vgpr21_vgpr22_vgpr23_vgpr24_vgpr25_vgpr26_vgpr27_vgpr28_vgpr29_vgpr30_vgpr31_vgpr32_vgpr33
	s_mov_b32 s7, 0x20000
	s_waitcnt lgkmcnt(0)
	s_and_b32 s23, s23, 0xffff
	s_mul_hi_u32 s4, s5, s4
                                        ; implicit-def: $vgpr28_vgpr29_vgpr30_vgpr31_vgpr32_vgpr33_vgpr34_vgpr35_vgpr36_vgpr37_vgpr38_vgpr39_vgpr40_vgpr41_vgpr42_vgpr43
	s_mov_b32 s33, s25
	s_lshl_b32 s6, s25, 1
	s_lshl_b32 s26, s25, 2
	s_mov_b32 s27, s7
	s_ashr_i32 s36, s10, 31
	s_ashr_i32 s38, s9, 31
	s_add_i32 s39, s5, s4
	s_mov_b32 s44, -1
	s_mov_b32 s25, s23
	s_mov_b32 s40, 0x2edbe6ff
	v_mov_b32_e32 v77, 0
	v_mov_b32_e32 v78, 0xc3e00000
	;; [unrolled: 1-line block ×3, first 2 shown]
	s_mov_b32 s41, 0x5040100
	s_mov_b32 s42, 0x1060504
	;; [unrolled: 1-line block ×4, first 2 shown]
                                        ; implicit-def: $vgpr40_vgpr41_vgpr42_vgpr43_vgpr44_vgpr45_vgpr46_vgpr47_vgpr48_vgpr49_vgpr50_vgpr51_vgpr52_vgpr53_vgpr54_vgpr55
                                        ; implicit-def: $vgpr70
                                        ; implicit-def: $vgpr54_vgpr55_vgpr56_vgpr57_vgpr58_vgpr59_vgpr60_vgpr61_vgpr62_vgpr63_vgpr64_vgpr65_vgpr66_vgpr67_vgpr68_vgpr69
	s_branch .LBB79_10
.LBB79_9:                               ;   in Loop: Header=BB79_10 Depth=1
	s_or_b64 exec, exec, s[4:5]
	s_add_i32 s15, s15, -1
	s_add_i32 s8, s8, 1
	s_cmp_eq_u32 s15, 0
	s_cbranch_scc1 .LBB79_18
.LBB79_10:                              ; =>This Inner Loop Header: Depth=1
	s_abs_i32 s28, s8
	s_mul_hi_u32 s5, s28, s37
	s_mul_i32 s22, s5, s34
	s_ashr_i32 s29, s8, 31
	s_sub_i32 s22, s28, s22
	s_xor_b32 s4, s29, s36
	s_add_i32 s23, s5, 1
	s_sub_i32 s31, s22, s34
	s_cmp_ge_u32 s22, s34
	s_cselect_b32 s5, s23, s5
	s_cselect_b32 s22, s31, s22
	s_add_i32 s23, s5, 1
	s_cmp_ge_u32 s22, s34
	s_cselect_b32 s5, s23, s5
	s_xor_b32 s5, s5, s4
	s_sub_i32 s4, s5, s4
	s_mul_i32 s5, s4, s10
	s_sub_i32 s5, s8, s5
	s_mul_i32 s22, s5, s12
	s_mul_i32 s4, s4, s11
	s_add_i32 s22, s22, s4
	s_cmp_eq_u32 s22, s44
	s_cbranch_scc1 .LBB79_12
; %bb.11:                               ;   in Loop: Header=BB79_10 Depth=1
	s_mul_hi_i32 s5, s22, s33
	s_mul_i32 s4, s22, s33
	s_lshl_b64 s[4:5], s[4:5], 1
	s_add_u32 s4, s20, s4
	s_addc_u32 s5, s21, s5
	s_and_b32 s5, s5, 0xffff
	buffer_load_dwordx4 v[4:7], v72, s[4:7], 0 offen
	buffer_load_dwordx4 v[10:13], v72, s[4:7], 16 offen
	s_mov_b32 s44, s22
	s_waitcnt vmcnt(1)
	v_cvt_f32_u32_sdwa v71, v4 dst_sel:DWORD dst_unused:UNUSED_PAD src0_sel:WORD_1
	v_cvt_f32_u32_sdwa v70, v4 dst_sel:DWORD dst_unused:UNUSED_PAD src0_sel:WORD_0
	v_cvt_f32_u32_sdwa v3, v5 dst_sel:DWORD dst_unused:UNUSED_PAD src0_sel:WORD_1
	v_cvt_f32_u32_sdwa v2, v5 dst_sel:DWORD dst_unused:UNUSED_PAD src0_sel:WORD_0
	;; [unrolled: 2-line block ×4, first 2 shown]
	s_waitcnt vmcnt(0)
	v_cvt_f32_u32_sdwa v27, v10 dst_sel:DWORD dst_unused:UNUSED_PAD src0_sel:WORD_1
	v_cvt_f32_u32_sdwa v26, v10 dst_sel:DWORD dst_unused:UNUSED_PAD src0_sel:WORD_0
	v_cvt_f32_u32_sdwa v39, v11 dst_sel:DWORD dst_unused:UNUSED_PAD src0_sel:WORD_1
	v_cvt_f32_u32_sdwa v38, v11 dst_sel:DWORD dst_unused:UNUSED_PAD src0_sel:WORD_0
	;; [unrolled: 2-line block ×4, first 2 shown]
.LBB79_12:                              ;   in Loop: Header=BB79_10 Depth=1
	buffer_load_dwordx4 v[4:7], v73, s[24:27], 0 offen
	buffer_load_dwordx4 v[10:13], v73, s[24:27], 16 offen
	s_waitcnt vmcnt(1)
	v_pk_mul_f32 v[20:21], v[70:71], v[4:5]
	v_pk_mul_f32 v[18:19], v[2:3], v[6:7]
	buffer_load_dwordx4 v[4:7], v73, s[24:27], 32 offen
	buffer_load_dwordx4 v[22:25], v73, s[24:27], 48 offen
	s_waitcnt vmcnt(2)
	v_pk_mul_f32 v[14:15], v[8:9], v[10:11]
	v_pk_mul_f32 v[12:13], v[16:17], v[12:13]
	s_waitcnt vmcnt(1)
	v_pk_mul_f32 v[10:11], v[26:27], v[4:5]
	s_waitcnt vmcnt(0)
	v_pk_mul_f32 v[4:5], v[52:53], v[22:23]
	v_max3_f32 v22, |v20|, s40, |v21|
	v_max3_f32 v22, v22, |v18|, |v19|
	v_max3_f32 v22, v22, |v14|, |v15|
	;; [unrolled: 1-line block ×3, first 2 shown]
	v_pk_mul_f32 v[6:7], v[38:39], v[6:7]
	v_max3_f32 v22, v22, |v10|, |v11|
	v_max3_f32 v22, v22, |v6|, |v7|
	v_pk_mul_f32 v[0:1], v[68:69], v[24:25]
	v_max3_f32 v22, v22, |v4|, |v5|
	v_max3_f32 v22, v22, |v0|, |v1|
	s_nop 1
	v_mov_b32_dpp v23, v22 quad_perm:[1,0,3,2] row_mask:0xf bank_mask:0xf
	v_cmp_gt_f32_e64 s[4:5], v22, v23
	v_cndmask_b32_e64 v22, v23, v22, s[4:5]
	s_nop 1
	v_mov_b32_dpp v23, v22 quad_perm:[2,3,0,1] row_mask:0xf bank_mask:0xf
	v_cmp_gt_f32_e64 s[4:5], v22, v23
	v_cndmask_b32_e64 v22, v23, v22, s[4:5]
	s_nop 1
	v_mov_b32_dpp v23, v22 row_half_mirror row_mask:0xf bank_mask:0xf
	v_cmp_gt_f32_e64 s[4:5], v22, v23
	v_cndmask_b32_e64 v22, v23, v22, s[4:5]
	s_nop 1
	v_mov_b32_dpp v23, v22 row_mirror row_mask:0xf bank_mask:0xf
	v_cmp_gt_f32_e64 s[4:5], v22, v23
	v_cndmask_b32_e64 v22, v23, v22, s[4:5]
	s_nop 1
	v_mov_b32_dpp v23, v22 row_bcast:15 row_mask:0xf bank_mask:0xf
	v_cmp_gt_f32_e64 s[4:5], v22, v23
	v_cndmask_b32_e64 v22, v23, v22, s[4:5]
	s_nop 1
	v_mov_b32_dpp v23, v22 row_bcast:31 row_mask:0xf bank_mask:0xf
	s_and_saveexec_b64 s[22:23], vcc
	s_cbranch_execz .LBB79_14
; %bb.13:                               ;   in Loop: Header=BB79_10 Depth=1
	v_cmp_gt_f32_e64 s[4:5], v22, v23
	v_cndmask_b32_e64 v22, v23, v22, s[4:5]
	ds_write_b32 v74, v22
.LBB79_14:                              ;   in Loop: Header=BB79_10 Depth=1
	s_or_b64 exec, exec, s[22:23]
	s_waitcnt lgkmcnt(0)
	s_barrier
	ds_read_b32 v22, v75
	s_waitcnt lgkmcnt(0)
	s_nop 0
	v_mov_b32_dpp v23, v22 quad_perm:[1,0,3,2] row_mask:0xf bank_mask:0xf
	v_cmp_gt_f32_e64 s[4:5], v22, v23
	v_cndmask_b32_e64 v22, v23, v22, s[4:5]
	s_nop 1
	v_mov_b32_dpp v23, v22 quad_perm:[2,3,0,1] row_mask:0xf bank_mask:0xf
	v_cmp_gt_f32_e64 s[4:5], v22, v23
	v_cndmask_b32_e64 v22, v23, v22, s[4:5]
	s_mul_hi_u32 s5, s28, s39
	s_mul_i32 s22, s5, s35
	s_sub_i32 s22, s28, s22
	s_xor_b32 s4, s29, s38
	s_add_i32 s23, s5, 1
	s_sub_i32 s28, s22, s35
	s_cmp_ge_u32 s22, s35
	s_cselect_b32 s5, s23, s5
	s_cselect_b32 s22, s28, s22
	s_add_i32 s23, s5, 1
	s_cmp_ge_u32 s22, s35
	s_cselect_b32 s5, s23, s5
	s_xor_b32 s5, s5, s4
	s_sub_i32 s4, s5, s4
	s_mul_i32 s5, s4, s9
	s_sub_i32 s5, s8, s5
	s_mul_i32 s5, s5, s14
	s_mul_i32 s4, s4, s13
	v_mul_f32_e32 v22, 0x3b124925, v22
	s_add_i32 s22, s5, s4
	s_and_saveexec_b64 s[4:5], s[0:1]
	s_cbranch_execz .LBB79_16
; %bb.15:                               ;   in Loop: Header=BB79_10 Depth=1
	s_ashr_i32 s23, s22, 31
	s_lshl_b64 s[28:29], s[22:23], 2
	s_add_u32 s28, s18, s28
	s_addc_u32 s29, s19, s29
	global_store_dword v77, v22, s[28:29]
.LBB79_16:                              ;   in Loop: Header=BB79_10 Depth=1
	s_or_b64 exec, exec, s[4:5]
	s_and_saveexec_b64 s[4:5], s[2:3]
	s_cbranch_execz .LBB79_9
; %bb.17:                               ;   in Loop: Header=BB79_10 Depth=1
	v_rcp_f32_e32 v22, v22
	s_mul_hi_i32 s23, s22, s33
	s_mul_i32 s22, s22, s33
	s_add_u32 s28, s16, s22
	v_mov_b32_e32 v23, v22
	;;#ASMSTART
	v_pk_mul_f32 v[20:21], v[20:21], v[22:23]
	;;#ASMEND
	;;#ASMSTART
	v_med3_f32 v20, v20, v78, v79
v_med3_f32 v21, v21, v78, v79
v_cvt_pk_fp8_f32 v24, v20, v21
	;;#ASMEND
	;;#ASMSTART
	v_pk_mul_f32 v[18:19], v[18:19], v[22:23]
	;;#ASMEND
	;;#ASMSTART
	v_med3_f32 v18, v18, v78, v79
v_med3_f32 v19, v19, v78, v79
v_cvt_pk_fp8_f32 v20, v18, v19
	;;#ASMEND
	;; [unrolled: 8-line block ×6, first 2 shown]
	;;#ASMSTART
	v_pk_mul_f32 v[4:5], v[4:5], v[22:23]
	;;#ASMEND
	s_addc_u32 s22, s17, s23
	v_perm_b32 v18, v20, v24, s41
	;;#ASMSTART
	v_med3_f32 v4, v4, v78, v79
v_med3_f32 v5, v5, v78, v79
v_cvt_pk_fp8_f32 v6, v4, v5
	;;#ASMEND
	;;#ASMSTART
	v_pk_mul_f32 v[0:1], v[0:1], v[22:23]
	;;#ASMEND
	s_and_b32 s29, s22, 0xffff
	s_mov_b32 s31, s7
	v_perm_b32 v18, v18, v20, s42
	v_perm_b32 v19, v19, v14, s43
	;; [unrolled: 1-line block ×3, first 2 shown]
	;;#ASMSTART
	v_med3_f32 v0, v0, v78, v79
v_med3_f32 v1, v1, v78, v79
v_cvt_pk_fp8_f32 v4, v0, v1
	;;#ASMEND
	v_perm_b32 v21, v6, v4, s43
	buffer_store_dwordx4 v[18:21], v76, s[28:31], 0 offen
	;;#ASMSTART
	s_nop 0
	;;#ASMEND
	s_branch .LBB79_9
.LBB79_18:
	s_endpgm
.LBB79_19:
                                        ; implicit-def: $sgpr2
	s_branch .LBB79_2
	.section	.rodata,"a",@progbits
	.p2align	6, 0x0
	.amdhsa_kernel _ZN5aiter36smooth_per_token_scaled_quant_kernelItDB8_Li256ELi16ELb1ELb0ELb0ELi1024EEEvPT0_PfPT_S4_PiS7_iiPKiiiiiiiii
		.amdhsa_group_segment_fixed_size 16
		.amdhsa_private_segment_fixed_size 0
		.amdhsa_kernarg_size 96
		.amdhsa_user_sgpr_count 6
		.amdhsa_user_sgpr_private_segment_buffer 1
		.amdhsa_user_sgpr_dispatch_ptr 0
		.amdhsa_user_sgpr_queue_ptr 0
		.amdhsa_user_sgpr_kernarg_segment_ptr 1
		.amdhsa_user_sgpr_dispatch_id 0
		.amdhsa_user_sgpr_flat_scratch_init 0
		.amdhsa_user_sgpr_kernarg_preload_length 0
		.amdhsa_user_sgpr_kernarg_preload_offset 0
		.amdhsa_user_sgpr_private_segment_size 0
		.amdhsa_uses_dynamic_stack 0
		.amdhsa_system_sgpr_private_segment_wavefront_offset 0
		.amdhsa_system_sgpr_workgroup_id_x 1
		.amdhsa_system_sgpr_workgroup_id_y 0
		.amdhsa_system_sgpr_workgroup_id_z 0
		.amdhsa_system_sgpr_workgroup_info 0
		.amdhsa_system_vgpr_workitem_id 0
		.amdhsa_next_free_vgpr 80
		.amdhsa_next_free_sgpr 45
		.amdhsa_accum_offset 80
		.amdhsa_reserve_vcc 1
		.amdhsa_reserve_flat_scratch 0
		.amdhsa_float_round_mode_32 0
		.amdhsa_float_round_mode_16_64 0
		.amdhsa_float_denorm_mode_32 3
		.amdhsa_float_denorm_mode_16_64 3
		.amdhsa_dx10_clamp 1
		.amdhsa_ieee_mode 1
		.amdhsa_fp16_overflow 0
		.amdhsa_tg_split 0
		.amdhsa_exception_fp_ieee_invalid_op 0
		.amdhsa_exception_fp_denorm_src 0
		.amdhsa_exception_fp_ieee_div_zero 0
		.amdhsa_exception_fp_ieee_overflow 0
		.amdhsa_exception_fp_ieee_underflow 0
		.amdhsa_exception_fp_ieee_inexact 0
		.amdhsa_exception_int_div_zero 0
	.end_amdhsa_kernel
	.section	.text._ZN5aiter36smooth_per_token_scaled_quant_kernelItDB8_Li256ELi16ELb1ELb0ELb0ELi1024EEEvPT0_PfPT_S4_PiS7_iiPKiiiiiiiii,"axG",@progbits,_ZN5aiter36smooth_per_token_scaled_quant_kernelItDB8_Li256ELi16ELb1ELb0ELb0ELi1024EEEvPT0_PfPT_S4_PiS7_iiPKiiiiiiiii,comdat
.Lfunc_end79:
	.size	_ZN5aiter36smooth_per_token_scaled_quant_kernelItDB8_Li256ELi16ELb1ELb0ELb0ELi1024EEEvPT0_PfPT_S4_PiS7_iiPKiiiiiiiii, .Lfunc_end79-_ZN5aiter36smooth_per_token_scaled_quant_kernelItDB8_Li256ELi16ELb1ELb0ELb0ELi1024EEEvPT0_PfPT_S4_PiS7_iiPKiiiiiiiii
                                        ; -- End function
	.section	.AMDGPU.csdata,"",@progbits
; Kernel info:
; codeLenInByte = 1784
; NumSgprs: 49
; NumVgprs: 80
; NumAgprs: 0
; TotalNumVgprs: 80
; ScratchSize: 0
; MemoryBound: 0
; FloatMode: 240
; IeeeMode: 1
; LDSByteSize: 16 bytes/workgroup (compile time only)
; SGPRBlocks: 6
; VGPRBlocks: 9
; NumSGPRsForWavesPerEU: 49
; NumVGPRsForWavesPerEU: 80
; AccumOffset: 80
; Occupancy: 6
; WaveLimiterHint : 0
; COMPUTE_PGM_RSRC2:SCRATCH_EN: 0
; COMPUTE_PGM_RSRC2:USER_SGPR: 6
; COMPUTE_PGM_RSRC2:TRAP_HANDLER: 0
; COMPUTE_PGM_RSRC2:TGID_X_EN: 1
; COMPUTE_PGM_RSRC2:TGID_Y_EN: 0
; COMPUTE_PGM_RSRC2:TGID_Z_EN: 0
; COMPUTE_PGM_RSRC2:TIDIG_COMP_CNT: 0
; COMPUTE_PGM_RSRC3_GFX90A:ACCUM_OFFSET: 19
; COMPUTE_PGM_RSRC3_GFX90A:TG_SPLIT: 0
	.section	.text._ZN5aiter36smooth_per_token_scaled_quant_kernelIDF16_DB8_Li256ELi16ELb0ELb1ELb1ELi1024EEEvPT0_PfPT_S4_PiS7_iiPKiiiiiiiii,"axG",@progbits,_ZN5aiter36smooth_per_token_scaled_quant_kernelIDF16_DB8_Li256ELi16ELb0ELb1ELb1ELi1024EEEvPT0_PfPT_S4_PiS7_iiPKiiiiiiiii,comdat
	.protected	_ZN5aiter36smooth_per_token_scaled_quant_kernelIDF16_DB8_Li256ELi16ELb0ELb1ELb1ELi1024EEEvPT0_PfPT_S4_PiS7_iiPKiiiiiiiii ; -- Begin function _ZN5aiter36smooth_per_token_scaled_quant_kernelIDF16_DB8_Li256ELi16ELb0ELb1ELb1ELi1024EEEvPT0_PfPT_S4_PiS7_iiPKiiiiiiiii
	.globl	_ZN5aiter36smooth_per_token_scaled_quant_kernelIDF16_DB8_Li256ELi16ELb0ELb1ELb1ELi1024EEEvPT0_PfPT_S4_PiS7_iiPKiiiiiiiii
	.p2align	8
	.type	_ZN5aiter36smooth_per_token_scaled_quant_kernelIDF16_DB8_Li256ELi16ELb0ELb1ELb1ELi1024EEEvPT0_PfPT_S4_PiS7_iiPKiiiiiiiii,@function
_ZN5aiter36smooth_per_token_scaled_quant_kernelIDF16_DB8_Li256ELi16ELb0ELb1ELb1ELi1024EEEvPT0_PfPT_S4_PiS7_iiPKiiiiiiiii: ; @_ZN5aiter36smooth_per_token_scaled_quant_kernelIDF16_DB8_Li256ELi16ELb0ELb1ELb1ELi1024EEEvPT0_PfPT_S4_PiS7_iiPKiiiiiiiii
; %bb.0:
	s_load_dwordx2 s[16:17], s[4:5], 0x38
	s_load_dwordx2 s[0:1], s[4:5], 0x28
	s_load_dwordx8 s[8:15], s[4:5], 0x40
	s_mov_b64 s[2:3], 0
	s_waitcnt lgkmcnt(0)
	s_cmp_lg_u64 s[16:17], 0
	s_cbranch_scc0 .LBB80_11
; %bb.1:
	s_load_dword s7, s[16:17], 0x0
	s_waitcnt lgkmcnt(0)
	s_mul_i32 s7, s7, s8
	s_andn2_b64 vcc, exec, s[2:3]
	s_cbranch_vccnz .LBB80_3
.LBB80_2:
	s_mul_i32 s7, s10, s9
.LBB80_3:
	s_load_dwordx2 s[8:9], s[4:5], 0x30
	v_and_b32_e32 v1, 0x3c0, v0
	v_lshlrev_b32_e32 v1, 2, v1
	s_lshl_b32 s2, s15, 2
	v_lshlrev_b32_e32 v2, 2, v0
	v_readfirstlane_b32 s15, v1
	v_add_u32_e32 v3, 0x400, v1
	s_and_b32 s1, s1, 0xffff
	s_mov_b32 s3, 0x20000
	;;#ASMSTART
	s_mov_b32 m0 s15
	buffer_load_dword v2, s[0:3], 0 offen offset:0 lds
	
	;;#ASMEND
	v_readfirstlane_b32 s15, v3
	v_add_u32_e32 v3, 0x400, v2
	;;#ASMSTART
	s_mov_b32 m0 s15
	buffer_load_dword v3, s[0:3], 0 offen offset:0 lds
	
	;;#ASMEND
	v_add_u32_e32 v3, 0x800, v1
	s_waitcnt lgkmcnt(0)
	s_abs_i32 s16, s8
	v_readfirstlane_b32 s15, v3
	v_cvt_f32_u32_e32 v3, s16
	v_add_u32_e32 v1, 0xc00, v1
	v_add_u32_e32 v4, 0x800, v2
	v_readfirstlane_b32 s18, v1
	v_rcp_iflag_f32_e32 v3, v3
	v_add_u32_e32 v1, 0xc00, v2
	s_sub_i32 s19, 0, s16
	s_abs_i32 s17, s7
	v_mul_f32_e32 v2, 0x4f7ffffe, v3
	v_cvt_u32_f32_e32 v2, v2
	;;#ASMSTART
	s_mov_b32 m0 s15
	buffer_load_dword v4, s[0:3], 0 offen offset:0 lds
	
	;;#ASMEND
	s_xor_b32 s15, s7, s8
	s_ashr_i32 s15, s15, 31
	v_readfirstlane_b32 s20, v2
	s_mul_i32 s19, s19, s20
	s_mul_hi_u32 s19, s20, s19
	s_add_i32 s20, s20, s19
	s_mul_hi_u32 s19, s17, s20
	s_mul_i32 s20, s19, s16
	s_sub_i32 s17, s17, s20
	s_add_i32 s20, s19, 1
	s_sub_i32 s21, s17, s16
	s_cmp_ge_u32 s17, s16
	s_cselect_b32 s19, s20, s19
	s_cselect_b32 s17, s21, s17
	s_add_i32 s20, s19, 1
	s_cmp_ge_u32 s17, s16
	s_cselect_b32 s16, s20, s19
	s_xor_b32 s16, s16, s15
	s_sub_i32 s15, s16, s15
	s_mul_i32 s8, s15, s8
	s_sub_i32 s8, s7, s8
	s_cmp_lt_u32 s6, s8
	;;#ASMSTART
	s_mov_b32 m0 s18
	buffer_load_dword v1, s[0:3], 0 offen offset:0 lds
	
	;;#ASMEND
	s_cselect_b64 s[16:17], -1, 0
	s_add_i32 s7, s15, 1
	s_cmp_ge_u32 s6, s8
	s_cbranch_scc0 .LBB80_5
; %bb.4:
	s_sub_i32 s1, s6, s8
	s_mul_i32 s0, s8, s7
	s_mul_i32 s1, s1, s15
	s_add_i32 s34, s1, s0
	s_cbranch_execz .LBB80_6
	s_branch .LBB80_7
.LBB80_5:
                                        ; implicit-def: $sgpr34
.LBB80_6:
	s_mul_i32 s34, s7, s6
.LBB80_7:
	v_cndmask_b32_e64 v1, 0, 1, s[16:17]
	v_readfirstlane_b32 s0, v1
	s_add_i32 s8, s15, s0
	s_cmp_lt_i32 s8, 1
	s_cbranch_scc1 .LBB80_35
; %bb.8:
	s_load_dwordx2 s[0:1], s[4:5], 0x20
	s_ashr_i32 s35, s34, 31
	s_lshl_b64 s[2:3], s[34:35], 2
	v_and_b32_e32 v1, 63, v0
	s_mov_b32 s27, 0x20000
	s_waitcnt lgkmcnt(0)
	s_add_u32 s24, s0, s2
	s_addc_u32 s0, s1, s3
	s_lshl_b32 s26, s8, 2
	s_and_b32 s25, s0, 0xffff
	v_lshlrev_b32_e32 v38, 2, v1
	buffer_load_dword v2, v38, s[24:27], 0 offen
	s_abs_i32 s40, s10
	v_cmp_eq_u32_e64 s[0:1], 63, v1
	v_cvt_f32_u32_e32 v1, s40
	s_add_i32 s2, s9, 15
	s_load_dwordx8 s[16:23], s[4:5], 0x0
	s_ashr_i32 s4, s2, 31
	v_rcp_iflag_f32_e32 v1, v1
	s_waitcnt vmcnt(0) lgkmcnt(0)
	s_barrier
	v_mul_f32_e32 v1, 0x4f7ffffe, v1
	v_cvt_u32_f32_e32 v1, v1
	s_add_i32 s3, s9, 3
	s_lshr_b32 s4, s4, 28
	s_ashr_i32 s5, s3, 31
	s_add_i32 s2, s2, s4
	s_sub_i32 s4, 0, s40
	v_readfirstlane_b32 s41, v1
	s_lshr_b32 s5, s5, 30
	s_mul_i32 s4, s4, s41
	s_add_i32 s3, s3, s5
	s_mul_hi_u32 s4, s41, s4
	v_lshrrev_b32_e32 v3, 4, v0
	v_mov_b32_e32 v4, 0x1000
	v_and_b32_e32 v5, 3, v0
	s_lshl_b32 s6, s9, 1
	s_lshl_b32 s30, s9, 2
	s_ashr_i32 s33, s10, 31
	s_ashr_i32 s2, s2, 4
	s_and_b32 s38, s3, -4
	s_add_i32 s41, s41, s4
	s_mov_b32 s15, s9
	v_lshlrev_b32_e32 v32, 5, v0
	v_lshlrev_b32_e32 v33, 6, v0
	v_cmp_eq_u32_e32 vcc, 0, v0
	v_and_or_b32 v34, v3, 60, v4
	v_lshl_or_b32 v35, v5, 2, v4
	v_cmp_gt_u32_e64 s[2:3], s2, v0
	v_lshlrev_b32_e32 v36, 4, v0
	v_lshlrev_b32_e32 v2, 2, v2
	ds_read_b32 v37, v2
	s_waitcnt lgkmcnt(0)
	v_readlane_b32 s28, v37, 0
	s_cmp_lt_i32 s28, 0
	s_cbranch_scc1 .LBB80_12
; %bb.9:
	s_abs_i32 s4, s34
	s_mul_hi_u32 s5, s4, s41
	s_mul_i32 s27, s5, s40
	s_sub_i32 s4, s4, s27
	s_xor_b32 s7, s35, s33
	s_add_i32 s27, s5, 1
	s_sub_i32 s29, s4, s40
	s_cmp_ge_u32 s4, s40
	s_cselect_b32 s5, s27, s5
	s_cselect_b32 s4, s29, s4
	s_add_i32 s27, s5, 1
	s_cmp_ge_u32 s4, s40
	s_cselect_b32 s4, s27, s5
	s_xor_b32 s4, s4, s7
	s_sub_i32 s27, s4, s7
	s_mul_i32 s4, s27, s10
	s_sub_i32 s36, s34, s4
	s_mul_i32 s4, s36, s12
	s_mul_i32 s5, s27, s11
	s_add_i32 s35, s4, s5
	s_cmp_eq_u32 s35, -1
	s_cbranch_scc1 .LBB80_13
; %bb.10:
	s_mul_hi_i32 s5, s35, s15
	s_mul_i32 s4, s35, s15
	s_lshl_b64 s[4:5], s[4:5], 1
	s_add_u32 s4, s20, s4
	s_addc_u32 s5, s21, s5
	s_and_b32 s5, s5, 0xffff
	s_mov_b32 s7, 0x20000
	buffer_load_dwordx4 v[4:7], v32, s[4:7], 0 offen
	buffer_load_dwordx4 v[12:15], v32, s[4:7], 16 offen
	s_waitcnt vmcnt(1)
	v_cvt_f32_f16_e32 v0, v4
	v_cvt_f32_f16_sdwa v1, v4 dst_sel:DWORD dst_unused:UNUSED_PAD src0_sel:WORD_1
	v_cvt_f32_f16_e32 v2, v5
	v_cvt_f32_f16_sdwa v3, v5 dst_sel:DWORD dst_unused:UNUSED_PAD src0_sel:WORD_1
	;; [unrolled: 2-line block ×4, first 2 shown]
	s_waitcnt vmcnt(0)
	v_cvt_f32_f16_e32 v8, v12
	v_cvt_f32_f16_sdwa v9, v12 dst_sel:DWORD dst_unused:UNUSED_PAD src0_sel:WORD_1
	v_cvt_f32_f16_e32 v10, v13
	v_cvt_f32_f16_sdwa v11, v13 dst_sel:DWORD dst_unused:UNUSED_PAD src0_sel:WORD_1
	;; [unrolled: 2-line block ×4, first 2 shown]
	s_branch .LBB80_14
.LBB80_11:
                                        ; implicit-def: $sgpr7
	s_branch .LBB80_2
.LBB80_12:
	s_mov_b32 s35, -1
                                        ; implicit-def: $vgpr0_vgpr1_vgpr2_vgpr3_vgpr4_vgpr5_vgpr6_vgpr7_vgpr8_vgpr9_vgpr10_vgpr11_vgpr12_vgpr13_vgpr14_vgpr15
	s_cmp_eq_u32 s8, 1
	s_mov_b32 s42, 1
	s_cbranch_scc0 .LBB80_21
	s_branch .LBB80_35
.LBB80_13:
                                        ; implicit-def: $vgpr0_vgpr1_vgpr2_vgpr3_vgpr4_vgpr5_vgpr6_vgpr7_vgpr8_vgpr9_vgpr10_vgpr11_vgpr12_vgpr13_vgpr14_vgpr15
.LBB80_14:
	s_mul_i32 s4, s28, s9
	s_ashr_i32 s5, s4, 31
	s_lshl_b64 s[4:5], s[4:5], 2
	s_add_u32 s28, s22, s4
	s_addc_u32 s4, s23, s5
	s_and_b32 s29, s4, 0xffff
	s_mov_b32 s31, 0x20000
	buffer_load_dwordx4 v[16:19], v33, s[28:31], 0 offen
	buffer_load_dwordx4 v[20:23], v33, s[28:31], 16 offen
	;; [unrolled: 1-line block ×4, first 2 shown]
	s_mov_b32 s4, 0x2edbe6ff
	s_waitcnt vmcnt(3)
	v_pk_mul_f32 v[30:31], v[0:1], v[16:17]
	v_pk_mul_f32 v[28:29], v[2:3], v[18:19]
	v_max3_f32 v39, |v30|, s4, |v31|
	s_waitcnt vmcnt(2)
	v_pk_mul_f32 v[26:27], v[4:5], v[20:21]
	v_max3_f32 v39, v39, |v28|, |v29|
	v_pk_mul_f32 v[24:25], v[6:7], v[22:23]
	v_max3_f32 v39, v39, |v26|, |v27|
	s_waitcnt vmcnt(1)
	v_pk_mul_f32 v[22:23], v[8:9], v[40:41]
	v_max3_f32 v39, v39, |v24|, |v25|
	v_pk_mul_f32 v[20:21], v[10:11], v[42:43]
	v_max3_f32 v39, v39, |v22|, |v23|
	;; [unrolled: 5-line block ×3, first 2 shown]
	v_max3_f32 v39, v39, |v16|, |v17|
	s_nop 1
	v_mov_b32_dpp v40, v39 quad_perm:[1,0,3,2] row_mask:0xf bank_mask:0xf
	v_cmp_gt_f32_e64 s[4:5], v39, v40
	v_cndmask_b32_e64 v39, v40, v39, s[4:5]
	s_nop 1
	v_mov_b32_dpp v40, v39 quad_perm:[2,3,0,1] row_mask:0xf bank_mask:0xf
	v_cmp_gt_f32_e64 s[4:5], v39, v40
	v_cndmask_b32_e64 v39, v40, v39, s[4:5]
	s_nop 1
	v_mov_b32_dpp v40, v39 row_half_mirror row_mask:0xf bank_mask:0xf
	v_cmp_gt_f32_e64 s[4:5], v39, v40
	v_cndmask_b32_e64 v39, v40, v39, s[4:5]
	s_nop 1
	v_mov_b32_dpp v40, v39 row_mirror row_mask:0xf bank_mask:0xf
	v_cmp_gt_f32_e64 s[4:5], v39, v40
	v_cndmask_b32_e64 v39, v40, v39, s[4:5]
	s_nop 1
	v_mov_b32_dpp v40, v39 row_bcast:15 row_mask:0xf bank_mask:0xf
	v_cmp_gt_f32_e64 s[4:5], v39, v40
	v_cndmask_b32_e64 v39, v40, v39, s[4:5]
	s_nop 1
	v_mov_b32_dpp v40, v39 row_bcast:31 row_mask:0xf bank_mask:0xf
	s_and_saveexec_b64 s[28:29], s[0:1]
	s_cbranch_execz .LBB80_16
; %bb.15:
	v_cmp_gt_f32_e64 s[4:5], v39, v40
	v_cndmask_b32_e64 v39, v40, v39, s[4:5]
	ds_write_b32 v34, v39
.LBB80_16:
	s_or_b64 exec, exec, s[28:29]
	s_waitcnt lgkmcnt(0)
	s_barrier
	ds_read_b32 v39, v35
	s_mul_i32 s27, s27, s13
	s_waitcnt lgkmcnt(0)
	v_mov_b32_dpp v40, v39 quad_perm:[1,0,3,2] row_mask:0xf bank_mask:0xf
	v_cmp_gt_f32_e64 s[4:5], v39, v40
	v_cndmask_b32_e64 v39, v40, v39, s[4:5]
	s_nop 1
	v_mov_b32_dpp v40, v39 quad_perm:[2,3,0,1] row_mask:0xf bank_mask:0xf
	v_cmp_gt_f32_e64 s[4:5], v39, v40
	v_cndmask_b32_e64 v39, v40, v39, s[4:5]
	s_mul_i32 s4, s36, s14
	v_mul_f32_e32 v39, 0x3b124925, v39
	s_add_i32 s28, s4, s27
	s_and_saveexec_b64 s[4:5], vcc
	s_cbranch_execz .LBB80_18
; %bb.17:
	s_ashr_i32 s29, s28, 31
	s_lshl_b64 s[36:37], s[28:29], 2
	s_add_u32 s36, s18, s36
	s_addc_u32 s37, s19, s37
	v_mov_b32_e32 v40, 0
	global_store_dword v40, v39, s[36:37]
.LBB80_18:
	s_or_b64 exec, exec, s[4:5]
	s_and_saveexec_b64 s[4:5], s[2:3]
	s_cbranch_execz .LBB80_20
; %bb.19:
	v_rcp_f32_e32 v40, v39
	v_mov_b32_e32 v39, 0xc3e00000
	v_mov_b32_e32 v42, 0x43e00000
	s_mul_i32 s27, s28, s15
	v_mov_b32_e32 v41, v40
	;;#ASMSTART
	v_pk_mul_f32 v[30:31], v[30:31], v[40:41]
	;;#ASMEND
	;;#ASMSTART
	v_med3_f32 v30, v30, v39, v42
v_med3_f32 v31, v31, v39, v42
v_cvt_pk_fp8_f32 v43, v30, v31
	;;#ASMEND
	;;#ASMSTART
	v_pk_mul_f32 v[28:29], v[28:29], v[40:41]
	;;#ASMEND
	;;#ASMSTART
	v_med3_f32 v28, v28, v39, v42
v_med3_f32 v29, v29, v39, v42
v_cvt_pk_fp8_f32 v30, v28, v29
	;;#ASMEND
	;;#ASMSTART
	v_pk_mul_f32 v[26:27], v[26:27], v[40:41]
	;;#ASMEND
	s_mul_hi_i32 s7, s28, s15
	s_add_u32 s36, s16, s27
	;;#ASMSTART
	v_med3_f32 v26, v26, v39, v42
v_med3_f32 v27, v27, v39, v42
v_cvt_pk_fp8_f32 v29, v26, v27
	;;#ASMEND
	;;#ASMSTART
	v_pk_mul_f32 v[24:25], v[24:25], v[40:41]
	;;#ASMEND
	s_addc_u32 s7, s17, s7
	;;#ASMSTART
	v_med3_f32 v24, v24, v39, v42
v_med3_f32 v25, v25, v39, v42
v_cvt_pk_fp8_f32 v26, v24, v25
	;;#ASMEND
	;;#ASMSTART
	v_pk_mul_f32 v[22:23], v[22:23], v[40:41]
	;;#ASMEND
	s_and_b32 s37, s7, 0xffff
	s_mov_b32 s7, 0x5040100
	;;#ASMSTART
	v_med3_f32 v22, v22, v39, v42
v_med3_f32 v23, v23, v39, v42
v_cvt_pk_fp8_f32 v24, v22, v23
	;;#ASMEND
	;;#ASMSTART
	v_pk_mul_f32 v[20:21], v[20:21], v[40:41]
	;;#ASMEND
	v_perm_b32 v28, v30, v43, s7
	s_mov_b32 s7, 0x1060504
	;;#ASMSTART
	v_med3_f32 v20, v20, v39, v42
v_med3_f32 v21, v21, v39, v42
v_cvt_pk_fp8_f32 v22, v20, v21
	;;#ASMEND
	;;#ASMSTART
	v_pk_mul_f32 v[18:19], v[18:19], v[40:41]
	;;#ASMEND
	v_perm_b32 v28, v28, v30, s7
	s_mov_b32 s7, 0x1000504
	;;#ASMSTART
	v_med3_f32 v18, v18, v39, v42
v_med3_f32 v19, v19, v39, v42
v_cvt_pk_fp8_f32 v20, v18, v19
	;;#ASMEND
	;;#ASMSTART
	v_pk_mul_f32 v[16:17], v[16:17], v[40:41]
	;;#ASMEND
	s_mov_b32 s39, 0x20000
	v_perm_b32 v29, v29, v26, s7
	v_perm_b32 v30, v24, v22, s7
	;;#ASMSTART
	v_med3_f32 v16, v16, v39, v42
v_med3_f32 v17, v17, v39, v42
v_cvt_pk_fp8_f32 v18, v16, v17
	;;#ASMEND
	v_perm_b32 v31, v20, v18, s7
	buffer_store_dwordx4 v[28:31], v36, s[36:39], 0 offen
	;;#ASMSTART
	s_nop 0
	;;#ASMEND
.LBB80_20:
	s_or_b64 exec, exec, s[4:5]
	s_cmp_eq_u32 s8, 1
	s_mov_b32 s42, 1
	s_cbranch_scc1 .LBB80_35
.LBB80_21:
	v_add_u32_e32 v38, 4, v38
	s_mov_b32 s31, 0x20000
	s_mov_b32 s43, 0x2edbe6ff
	v_mov_b32_e32 v39, 0
	v_mov_b32_e32 v40, 0xc3e00000
	;; [unrolled: 1-line block ×3, first 2 shown]
	s_mov_b32 s44, 0x5040100
	s_mov_b32 s45, 0x1060504
	;; [unrolled: 1-line block ×3, first 2 shown]
	s_branch .LBB80_24
.LBB80_22:                              ;   in Loop: Header=BB80_24 Depth=1
	s_or_b64 exec, exec, s[4:5]
.LBB80_23:                              ;   in Loop: Header=BB80_24 Depth=1
	s_add_i32 s42, s42, 1
	s_cmp_eq_u32 s8, s42
	v_add_u32_e32 v38, 4, v38
	s_cbranch_scc1 .LBB80_35
.LBB80_24:                              ; =>This Inner Loop Header: Depth=1
	s_and_b32 s4, s42, 63
	s_cmp_lg_u32 s4, 0
	s_cbranch_scc1 .LBB80_26
; %bb.25:                               ;   in Loop: Header=BB80_24 Depth=1
	s_mov_b32 s27, s31
	buffer_load_dword v16, v38, s[24:27], 0 offen
	s_waitcnt vmcnt(0)
	v_lshlrev_b32_e32 v16, 2, v16
	ds_read_b32 v37, v16
.LBB80_26:                              ;   in Loop: Header=BB80_24 Depth=1
	s_waitcnt lgkmcnt(0)
	v_readlane_b32 s28, v37, s4
	s_cmp_lt_i32 s28, 0
	s_cbranch_scc1 .LBB80_23
; %bb.27:                               ;   in Loop: Header=BB80_24 Depth=1
	s_add_i32 s4, s34, s42
	s_abs_i32 s7, s4
	s_mul_hi_u32 s27, s7, s41
	s_mul_i32 s29, s27, s40
	s_ashr_i32 s5, s4, 31
	s_sub_i32 s7, s7, s29
	s_xor_b32 s5, s5, s33
	s_add_i32 s29, s27, 1
	s_sub_i32 s36, s7, s40
	s_cmp_ge_u32 s7, s40
	s_cselect_b32 s27, s29, s27
	s_cselect_b32 s7, s36, s7
	s_add_i32 s29, s27, 1
	s_cmp_ge_u32 s7, s40
	s_cselect_b32 s7, s29, s27
	s_xor_b32 s7, s7, s5
	s_sub_i32 s27, s7, s5
	s_mul_i32 s5, s27, s10
	s_sub_i32 s36, s4, s5
	s_mul_i32 s29, s36, s12
	s_mul_i32 s4, s27, s11
	s_add_i32 s29, s29, s4
	s_cmp_eq_u32 s29, s35
	s_cbranch_scc1 .LBB80_29
; %bb.28:                               ;   in Loop: Header=BB80_24 Depth=1
	s_mul_hi_i32 s5, s29, s15
	s_mul_i32 s4, s29, s15
	s_lshl_b64 s[4:5], s[4:5], 1
	s_add_u32 s4, s20, s4
	s_addc_u32 s5, s21, s5
	s_and_b32 s5, s5, 0xffff
	s_mov_b32 s7, s31
	buffer_load_dwordx4 v[4:7], v32, s[4:7], 0 offen
	buffer_load_dwordx4 v[12:15], v32, s[4:7], 16 offen
	s_mov_b32 s35, s29
	s_waitcnt vmcnt(1)
	v_cvt_f32_f16_e32 v0, v4
	v_cvt_f32_f16_sdwa v1, v4 dst_sel:DWORD dst_unused:UNUSED_PAD src0_sel:WORD_1
	v_cvt_f32_f16_e32 v2, v5
	v_cvt_f32_f16_sdwa v3, v5 dst_sel:DWORD dst_unused:UNUSED_PAD src0_sel:WORD_1
	;; [unrolled: 2-line block ×4, first 2 shown]
	s_waitcnt vmcnt(0)
	v_cvt_f32_f16_e32 v8, v12
	v_cvt_f32_f16_sdwa v9, v12 dst_sel:DWORD dst_unused:UNUSED_PAD src0_sel:WORD_1
	v_cvt_f32_f16_e32 v10, v13
	v_cvt_f32_f16_sdwa v11, v13 dst_sel:DWORD dst_unused:UNUSED_PAD src0_sel:WORD_1
	;; [unrolled: 2-line block ×4, first 2 shown]
.LBB80_29:                              ;   in Loop: Header=BB80_24 Depth=1
	s_mul_i32 s4, s28, s9
	s_ashr_i32 s5, s4, 31
	s_lshl_b64 s[4:5], s[4:5], 2
	s_add_u32 s28, s22, s4
	s_addc_u32 s4, s23, s5
	s_and_b32 s29, s4, 0xffff
	buffer_load_dwordx4 v[16:19], v33, s[28:31], 0 offen
	buffer_load_dwordx4 v[20:23], v33, s[28:31], 16 offen
	;; [unrolled: 1-line block ×4, first 2 shown]
	s_waitcnt vmcnt(3)
	v_pk_mul_f32 v[30:31], v[0:1], v[16:17]
	v_pk_mul_f32 v[28:29], v[2:3], v[18:19]
	s_waitcnt vmcnt(2)
	v_pk_mul_f32 v[24:25], v[6:7], v[22:23]
	s_waitcnt vmcnt(1)
	v_pk_mul_f32 v[22:23], v[8:9], v[42:43]
	v_max3_f32 v42, |v30|, s43, |v31|
	v_pk_mul_f32 v[26:27], v[4:5], v[20:21]
	v_max3_f32 v42, v42, |v28|, |v29|
	v_max3_f32 v42, v42, |v26|, |v27|
	;; [unrolled: 1-line block ×3, first 2 shown]
	v_pk_mul_f32 v[20:21], v[10:11], v[44:45]
	v_max3_f32 v42, v42, |v22|, |v23|
	s_waitcnt vmcnt(0)
	v_pk_mul_f32 v[18:19], v[12:13], v[46:47]
	v_max3_f32 v42, v42, |v20|, |v21|
	v_pk_mul_f32 v[16:17], v[14:15], v[48:49]
	v_max3_f32 v42, v42, |v18|, |v19|
	v_max3_f32 v42, v42, |v16|, |v17|
	s_nop 1
	v_mov_b32_dpp v43, v42 quad_perm:[1,0,3,2] row_mask:0xf bank_mask:0xf
	v_cmp_gt_f32_e64 s[4:5], v42, v43
	v_cndmask_b32_e64 v42, v43, v42, s[4:5]
	s_nop 1
	v_mov_b32_dpp v43, v42 quad_perm:[2,3,0,1] row_mask:0xf bank_mask:0xf
	v_cmp_gt_f32_e64 s[4:5], v42, v43
	v_cndmask_b32_e64 v42, v43, v42, s[4:5]
	s_nop 1
	v_mov_b32_dpp v43, v42 row_half_mirror row_mask:0xf bank_mask:0xf
	v_cmp_gt_f32_e64 s[4:5], v42, v43
	v_cndmask_b32_e64 v42, v43, v42, s[4:5]
	s_nop 1
	v_mov_b32_dpp v43, v42 row_mirror row_mask:0xf bank_mask:0xf
	v_cmp_gt_f32_e64 s[4:5], v42, v43
	v_cndmask_b32_e64 v42, v43, v42, s[4:5]
	s_nop 1
	v_mov_b32_dpp v43, v42 row_bcast:15 row_mask:0xf bank_mask:0xf
	v_cmp_gt_f32_e64 s[4:5], v42, v43
	v_cndmask_b32_e64 v42, v43, v42, s[4:5]
	s_nop 1
	v_mov_b32_dpp v43, v42 row_bcast:31 row_mask:0xf bank_mask:0xf
	s_and_saveexec_b64 s[28:29], s[0:1]
	s_cbranch_execz .LBB80_31
; %bb.30:                               ;   in Loop: Header=BB80_24 Depth=1
	v_cmp_gt_f32_e64 s[4:5], v42, v43
	v_cndmask_b32_e64 v42, v43, v42, s[4:5]
	ds_write_b32 v34, v42
.LBB80_31:                              ;   in Loop: Header=BB80_24 Depth=1
	s_or_b64 exec, exec, s[28:29]
	s_waitcnt lgkmcnt(0)
	s_barrier
	ds_read_b32 v42, v35
	s_mul_i32 s27, s27, s13
	s_waitcnt lgkmcnt(0)
	v_mov_b32_dpp v43, v42 quad_perm:[1,0,3,2] row_mask:0xf bank_mask:0xf
	v_cmp_gt_f32_e64 s[4:5], v42, v43
	v_cndmask_b32_e64 v42, v43, v42, s[4:5]
	s_nop 1
	v_mov_b32_dpp v43, v42 quad_perm:[2,3,0,1] row_mask:0xf bank_mask:0xf
	v_cmp_gt_f32_e64 s[4:5], v42, v43
	v_cndmask_b32_e64 v42, v43, v42, s[4:5]
	s_mul_i32 s4, s36, s14
	v_mul_f32_e32 v42, 0x3b124925, v42
	s_add_i32 s28, s4, s27
	s_and_saveexec_b64 s[4:5], vcc
	s_cbranch_execz .LBB80_33
; %bb.32:                               ;   in Loop: Header=BB80_24 Depth=1
	s_ashr_i32 s29, s28, 31
	s_lshl_b64 s[36:37], s[28:29], 2
	s_add_u32 s36, s18, s36
	s_addc_u32 s37, s19, s37
	global_store_dword v39, v42, s[36:37]
.LBB80_33:                              ;   in Loop: Header=BB80_24 Depth=1
	s_or_b64 exec, exec, s[4:5]
	s_and_saveexec_b64 s[4:5], s[2:3]
	s_cbranch_execz .LBB80_22
; %bb.34:                               ;   in Loop: Header=BB80_24 Depth=1
	v_rcp_f32_e32 v42, v42
	s_mul_i32 s27, s28, s15
	s_mul_hi_i32 s7, s28, s15
	s_add_u32 s36, s16, s27
	v_mov_b32_e32 v43, v42
	;;#ASMSTART
	v_pk_mul_f32 v[30:31], v[30:31], v[42:43]
	;;#ASMEND
	;;#ASMSTART
	v_med3_f32 v30, v30, v40, v41
v_med3_f32 v31, v31, v40, v41
v_cvt_pk_fp8_f32 v44, v30, v31
	;;#ASMEND
	;;#ASMSTART
	v_pk_mul_f32 v[28:29], v[28:29], v[42:43]
	;;#ASMEND
	;;#ASMSTART
	v_med3_f32 v28, v28, v40, v41
v_med3_f32 v29, v29, v40, v41
v_cvt_pk_fp8_f32 v30, v28, v29
	;;#ASMEND
	;; [unrolled: 8-line block ×6, first 2 shown]
	;;#ASMSTART
	v_pk_mul_f32 v[18:19], v[18:19], v[42:43]
	;;#ASMEND
	s_addc_u32 s7, s17, s7
	v_perm_b32 v28, v30, v44, s44
	;;#ASMSTART
	v_med3_f32 v18, v18, v40, v41
v_med3_f32 v19, v19, v40, v41
v_cvt_pk_fp8_f32 v20, v18, v19
	;;#ASMEND
	;;#ASMSTART
	v_pk_mul_f32 v[16:17], v[16:17], v[42:43]
	;;#ASMEND
	s_and_b32 s37, s7, 0xffff
	s_mov_b32 s39, s31
	v_perm_b32 v28, v28, v30, s45
	v_perm_b32 v29, v29, v26, s46
	v_perm_b32 v30, v24, v22, s46
	;;#ASMSTART
	v_med3_f32 v16, v16, v40, v41
v_med3_f32 v17, v17, v40, v41
v_cvt_pk_fp8_f32 v18, v16, v17
	;;#ASMEND
	v_perm_b32 v31, v20, v18, s46
	buffer_store_dwordx4 v[28:31], v36, s[36:39], 0 offen
	;;#ASMSTART
	s_nop 0
	;;#ASMEND
	s_branch .LBB80_22
.LBB80_35:
	s_endpgm
	.section	.rodata,"a",@progbits
	.p2align	6, 0x0
	.amdhsa_kernel _ZN5aiter36smooth_per_token_scaled_quant_kernelIDF16_DB8_Li256ELi16ELb0ELb1ELb1ELi1024EEEvPT0_PfPT_S4_PiS7_iiPKiiiiiiiii
		.amdhsa_group_segment_fixed_size 4112
		.amdhsa_private_segment_fixed_size 0
		.amdhsa_kernarg_size 96
		.amdhsa_user_sgpr_count 6
		.amdhsa_user_sgpr_private_segment_buffer 1
		.amdhsa_user_sgpr_dispatch_ptr 0
		.amdhsa_user_sgpr_queue_ptr 0
		.amdhsa_user_sgpr_kernarg_segment_ptr 1
		.amdhsa_user_sgpr_dispatch_id 0
		.amdhsa_user_sgpr_flat_scratch_init 0
		.amdhsa_user_sgpr_kernarg_preload_length 0
		.amdhsa_user_sgpr_kernarg_preload_offset 0
		.amdhsa_user_sgpr_private_segment_size 0
		.amdhsa_uses_dynamic_stack 0
		.amdhsa_system_sgpr_private_segment_wavefront_offset 0
		.amdhsa_system_sgpr_workgroup_id_x 1
		.amdhsa_system_sgpr_workgroup_id_y 0
		.amdhsa_system_sgpr_workgroup_id_z 0
		.amdhsa_system_sgpr_workgroup_info 0
		.amdhsa_system_vgpr_workitem_id 0
		.amdhsa_next_free_vgpr 50
		.amdhsa_next_free_sgpr 47
		.amdhsa_accum_offset 52
		.amdhsa_reserve_vcc 1
		.amdhsa_reserve_flat_scratch 0
		.amdhsa_float_round_mode_32 0
		.amdhsa_float_round_mode_16_64 0
		.amdhsa_float_denorm_mode_32 3
		.amdhsa_float_denorm_mode_16_64 3
		.amdhsa_dx10_clamp 1
		.amdhsa_ieee_mode 1
		.amdhsa_fp16_overflow 0
		.amdhsa_tg_split 0
		.amdhsa_exception_fp_ieee_invalid_op 0
		.amdhsa_exception_fp_denorm_src 0
		.amdhsa_exception_fp_ieee_div_zero 0
		.amdhsa_exception_fp_ieee_overflow 0
		.amdhsa_exception_fp_ieee_underflow 0
		.amdhsa_exception_fp_ieee_inexact 0
		.amdhsa_exception_int_div_zero 0
	.end_amdhsa_kernel
	.section	.text._ZN5aiter36smooth_per_token_scaled_quant_kernelIDF16_DB8_Li256ELi16ELb0ELb1ELb1ELi1024EEEvPT0_PfPT_S4_PiS7_iiPKiiiiiiiii,"axG",@progbits,_ZN5aiter36smooth_per_token_scaled_quant_kernelIDF16_DB8_Li256ELi16ELb0ELb1ELb1ELi1024EEEvPT0_PfPT_S4_PiS7_iiPKiiiiiiiii,comdat
.Lfunc_end80:
	.size	_ZN5aiter36smooth_per_token_scaled_quant_kernelIDF16_DB8_Li256ELi16ELb0ELb1ELb1ELi1024EEEvPT0_PfPT_S4_PiS7_iiPKiiiiiiiii, .Lfunc_end80-_ZN5aiter36smooth_per_token_scaled_quant_kernelIDF16_DB8_Li256ELi16ELb0ELb1ELb1ELi1024EEEvPT0_PfPT_S4_PiS7_iiPKiiiiiiiii
                                        ; -- End function
	.section	.AMDGPU.csdata,"",@progbits
; Kernel info:
; codeLenInByte = 3220
; NumSgprs: 51
; NumVgprs: 50
; NumAgprs: 0
; TotalNumVgprs: 50
; ScratchSize: 0
; MemoryBound: 0
; FloatMode: 240
; IeeeMode: 1
; LDSByteSize: 4112 bytes/workgroup (compile time only)
; SGPRBlocks: 6
; VGPRBlocks: 6
; NumSGPRsForWavesPerEU: 51
; NumVGPRsForWavesPerEU: 50
; AccumOffset: 52
; Occupancy: 8
; WaveLimiterHint : 0
; COMPUTE_PGM_RSRC2:SCRATCH_EN: 0
; COMPUTE_PGM_RSRC2:USER_SGPR: 6
; COMPUTE_PGM_RSRC2:TRAP_HANDLER: 0
; COMPUTE_PGM_RSRC2:TGID_X_EN: 1
; COMPUTE_PGM_RSRC2:TGID_Y_EN: 0
; COMPUTE_PGM_RSRC2:TGID_Z_EN: 0
; COMPUTE_PGM_RSRC2:TIDIG_COMP_CNT: 0
; COMPUTE_PGM_RSRC3_GFX90A:ACCUM_OFFSET: 12
; COMPUTE_PGM_RSRC3_GFX90A:TG_SPLIT: 0
	.section	.text._ZN5aiter36smooth_per_token_scaled_quant_kernelItDB8_Li256ELi16ELb0ELb1ELb1ELi1024EEEvPT0_PfPT_S4_PiS7_iiPKiiiiiiiii,"axG",@progbits,_ZN5aiter36smooth_per_token_scaled_quant_kernelItDB8_Li256ELi16ELb0ELb1ELb1ELi1024EEEvPT0_PfPT_S4_PiS7_iiPKiiiiiiiii,comdat
	.protected	_ZN5aiter36smooth_per_token_scaled_quant_kernelItDB8_Li256ELi16ELb0ELb1ELb1ELi1024EEEvPT0_PfPT_S4_PiS7_iiPKiiiiiiiii ; -- Begin function _ZN5aiter36smooth_per_token_scaled_quant_kernelItDB8_Li256ELi16ELb0ELb1ELb1ELi1024EEEvPT0_PfPT_S4_PiS7_iiPKiiiiiiiii
	.globl	_ZN5aiter36smooth_per_token_scaled_quant_kernelItDB8_Li256ELi16ELb0ELb1ELb1ELi1024EEEvPT0_PfPT_S4_PiS7_iiPKiiiiiiiii
	.p2align	8
	.type	_ZN5aiter36smooth_per_token_scaled_quant_kernelItDB8_Li256ELi16ELb0ELb1ELb1ELi1024EEEvPT0_PfPT_S4_PiS7_iiPKiiiiiiiii,@function
_ZN5aiter36smooth_per_token_scaled_quant_kernelItDB8_Li256ELi16ELb0ELb1ELb1ELi1024EEEvPT0_PfPT_S4_PiS7_iiPKiiiiiiiii: ; @_ZN5aiter36smooth_per_token_scaled_quant_kernelItDB8_Li256ELi16ELb0ELb1ELb1ELi1024EEEvPT0_PfPT_S4_PiS7_iiPKiiiiiiiii
; %bb.0:
	s_load_dwordx2 s[16:17], s[4:5], 0x38
	s_load_dwordx2 s[0:1], s[4:5], 0x28
	s_load_dwordx8 s[8:15], s[4:5], 0x40
	s_mov_b64 s[2:3], 0
	s_waitcnt lgkmcnt(0)
	s_cmp_lg_u64 s[16:17], 0
	s_cbranch_scc0 .LBB81_11
; %bb.1:
	s_load_dword s7, s[16:17], 0x0
	s_waitcnt lgkmcnt(0)
	s_mul_i32 s7, s7, s8
	s_andn2_b64 vcc, exec, s[2:3]
	s_cbranch_vccnz .LBB81_3
.LBB81_2:
	s_mul_i32 s7, s10, s9
.LBB81_3:
	s_load_dwordx2 s[8:9], s[4:5], 0x30
	v_and_b32_e32 v1, 0x3c0, v0
	v_lshlrev_b32_e32 v1, 2, v1
	s_lshl_b32 s2, s15, 2
	v_lshlrev_b32_e32 v2, 2, v0
	v_readfirstlane_b32 s15, v1
	v_add_u32_e32 v3, 0x400, v1
	s_and_b32 s1, s1, 0xffff
	s_mov_b32 s3, 0x20000
	;;#ASMSTART
	s_mov_b32 m0 s15
	buffer_load_dword v2, s[0:3], 0 offen offset:0 lds
	
	;;#ASMEND
	v_readfirstlane_b32 s15, v3
	v_add_u32_e32 v3, 0x400, v2
	;;#ASMSTART
	s_mov_b32 m0 s15
	buffer_load_dword v3, s[0:3], 0 offen offset:0 lds
	
	;;#ASMEND
	v_add_u32_e32 v3, 0x800, v1
	s_waitcnt lgkmcnt(0)
	s_abs_i32 s16, s8
	v_readfirstlane_b32 s15, v3
	v_cvt_f32_u32_e32 v3, s16
	v_add_u32_e32 v1, 0xc00, v1
	v_add_u32_e32 v4, 0x800, v2
	v_readfirstlane_b32 s18, v1
	v_rcp_iflag_f32_e32 v3, v3
	v_add_u32_e32 v1, 0xc00, v2
	s_sub_i32 s19, 0, s16
	s_abs_i32 s17, s7
	v_mul_f32_e32 v2, 0x4f7ffffe, v3
	v_cvt_u32_f32_e32 v2, v2
	;;#ASMSTART
	s_mov_b32 m0 s15
	buffer_load_dword v4, s[0:3], 0 offen offset:0 lds
	
	;;#ASMEND
	s_xor_b32 s15, s7, s8
	s_ashr_i32 s15, s15, 31
	v_readfirstlane_b32 s20, v2
	s_mul_i32 s19, s19, s20
	s_mul_hi_u32 s19, s20, s19
	s_add_i32 s20, s20, s19
	s_mul_hi_u32 s19, s17, s20
	s_mul_i32 s20, s19, s16
	s_sub_i32 s17, s17, s20
	s_add_i32 s20, s19, 1
	s_sub_i32 s21, s17, s16
	s_cmp_ge_u32 s17, s16
	s_cselect_b32 s19, s20, s19
	s_cselect_b32 s17, s21, s17
	s_add_i32 s20, s19, 1
	s_cmp_ge_u32 s17, s16
	s_cselect_b32 s16, s20, s19
	s_xor_b32 s16, s16, s15
	s_sub_i32 s15, s16, s15
	s_mul_i32 s8, s15, s8
	s_sub_i32 s8, s7, s8
	s_cmp_lt_u32 s6, s8
	;;#ASMSTART
	s_mov_b32 m0 s18
	buffer_load_dword v1, s[0:3], 0 offen offset:0 lds
	
	;;#ASMEND
	s_cselect_b64 s[16:17], -1, 0
	s_add_i32 s7, s15, 1
	s_cmp_ge_u32 s6, s8
	s_cbranch_scc0 .LBB81_5
; %bb.4:
	s_sub_i32 s1, s6, s8
	s_mul_i32 s0, s8, s7
	s_mul_i32 s1, s1, s15
	s_add_i32 s34, s1, s0
	s_cbranch_execz .LBB81_6
	s_branch .LBB81_7
.LBB81_5:
                                        ; implicit-def: $sgpr34
.LBB81_6:
	s_mul_i32 s34, s7, s6
.LBB81_7:
	v_cndmask_b32_e64 v1, 0, 1, s[16:17]
	v_readfirstlane_b32 s0, v1
	s_add_i32 s8, s15, s0
	s_cmp_lt_i32 s8, 1
	s_cbranch_scc1 .LBB81_35
; %bb.8:
	s_load_dwordx2 s[0:1], s[4:5], 0x20
	s_ashr_i32 s35, s34, 31
	s_lshl_b64 s[2:3], s[34:35], 2
	v_and_b32_e32 v1, 63, v0
	s_mov_b32 s27, 0x20000
	s_waitcnt lgkmcnt(0)
	s_add_u32 s24, s0, s2
	s_addc_u32 s0, s1, s3
	s_lshl_b32 s26, s8, 2
	s_and_b32 s25, s0, 0xffff
	v_lshlrev_b32_e32 v38, 2, v1
	buffer_load_dword v2, v38, s[24:27], 0 offen
	s_abs_i32 s40, s10
	v_cmp_eq_u32_e64 s[0:1], 63, v1
	v_cvt_f32_u32_e32 v1, s40
	s_add_i32 s2, s9, 15
	s_load_dwordx8 s[16:23], s[4:5], 0x0
	s_ashr_i32 s4, s2, 31
	v_rcp_iflag_f32_e32 v1, v1
	s_waitcnt vmcnt(0) lgkmcnt(0)
	s_barrier
	v_mul_f32_e32 v1, 0x4f7ffffe, v1
	v_cvt_u32_f32_e32 v1, v1
	s_add_i32 s3, s9, 3
	s_lshr_b32 s4, s4, 28
	s_ashr_i32 s5, s3, 31
	s_add_i32 s2, s2, s4
	s_sub_i32 s4, 0, s40
	v_readfirstlane_b32 s41, v1
	s_lshr_b32 s5, s5, 30
	s_mul_i32 s4, s4, s41
	s_add_i32 s3, s3, s5
	s_mul_hi_u32 s4, s41, s4
	v_lshrrev_b32_e32 v3, 4, v0
	v_mov_b32_e32 v4, 0x1000
	v_and_b32_e32 v5, 3, v0
	s_lshl_b32 s6, s9, 1
	s_lshl_b32 s30, s9, 2
	s_ashr_i32 s33, s10, 31
	s_ashr_i32 s2, s2, 4
	s_and_b32 s38, s3, -4
	s_add_i32 s41, s41, s4
	s_mov_b32 s15, s9
	v_lshlrev_b32_e32 v32, 5, v0
	v_lshlrev_b32_e32 v33, 6, v0
	v_cmp_eq_u32_e32 vcc, 0, v0
	v_and_or_b32 v34, v3, 60, v4
	v_lshl_or_b32 v35, v5, 2, v4
	v_cmp_gt_u32_e64 s[2:3], s2, v0
	v_lshlrev_b32_e32 v36, 4, v0
	v_lshlrev_b32_e32 v2, 2, v2
	ds_read_b32 v37, v2
	s_waitcnt lgkmcnt(0)
	v_readlane_b32 s28, v37, 0
	s_cmp_lt_i32 s28, 0
	s_cbranch_scc1 .LBB81_12
; %bb.9:
	s_abs_i32 s4, s34
	s_mul_hi_u32 s5, s4, s41
	s_mul_i32 s27, s5, s40
	s_sub_i32 s4, s4, s27
	s_xor_b32 s7, s35, s33
	s_add_i32 s27, s5, 1
	s_sub_i32 s29, s4, s40
	s_cmp_ge_u32 s4, s40
	s_cselect_b32 s5, s27, s5
	s_cselect_b32 s4, s29, s4
	s_add_i32 s27, s5, 1
	s_cmp_ge_u32 s4, s40
	s_cselect_b32 s4, s27, s5
	s_xor_b32 s4, s4, s7
	s_sub_i32 s27, s4, s7
	s_mul_i32 s4, s27, s10
	s_sub_i32 s36, s34, s4
	s_mul_i32 s4, s36, s12
	s_mul_i32 s5, s27, s11
	s_add_i32 s35, s4, s5
	s_cmp_eq_u32 s35, -1
	s_cbranch_scc1 .LBB81_13
; %bb.10:
	s_mul_hi_i32 s5, s35, s15
	s_mul_i32 s4, s35, s15
	s_lshl_b64 s[4:5], s[4:5], 1
	s_add_u32 s4, s20, s4
	s_addc_u32 s5, s21, s5
	s_and_b32 s5, s5, 0xffff
	s_mov_b32 s7, 0x20000
	buffer_load_dwordx4 v[6:9], v32, s[4:7], 0 offen
	buffer_load_dwordx4 v[14:17], v32, s[4:7], 16 offen
	s_waitcnt vmcnt(1)
	v_cvt_f32_u32_sdwa v1, v6 dst_sel:DWORD dst_unused:UNUSED_PAD src0_sel:WORD_1
	v_cvt_f32_u32_sdwa v0, v6 dst_sel:DWORD dst_unused:UNUSED_PAD src0_sel:WORD_0
	v_cvt_f32_u32_sdwa v3, v7 dst_sel:DWORD dst_unused:UNUSED_PAD src0_sel:WORD_1
	v_cvt_f32_u32_sdwa v2, v7 dst_sel:DWORD dst_unused:UNUSED_PAD src0_sel:WORD_0
	;; [unrolled: 2-line block ×4, first 2 shown]
	s_waitcnt vmcnt(0)
	v_cvt_f32_u32_sdwa v9, v14 dst_sel:DWORD dst_unused:UNUSED_PAD src0_sel:WORD_1
	v_cvt_f32_u32_sdwa v8, v14 dst_sel:DWORD dst_unused:UNUSED_PAD src0_sel:WORD_0
	v_cvt_f32_u32_sdwa v11, v15 dst_sel:DWORD dst_unused:UNUSED_PAD src0_sel:WORD_1
	v_cvt_f32_u32_sdwa v10, v15 dst_sel:DWORD dst_unused:UNUSED_PAD src0_sel:WORD_0
	;; [unrolled: 2-line block ×4, first 2 shown]
	s_branch .LBB81_14
.LBB81_11:
                                        ; implicit-def: $sgpr7
	s_branch .LBB81_2
.LBB81_12:
	s_mov_b32 s35, -1
                                        ; implicit-def: $vgpr0_vgpr1_vgpr2_vgpr3_vgpr4_vgpr5_vgpr6_vgpr7_vgpr8_vgpr9_vgpr10_vgpr11_vgpr12_vgpr13_vgpr14_vgpr15
	s_cmp_eq_u32 s8, 1
	s_mov_b32 s42, 1
	s_cbranch_scc0 .LBB81_21
	s_branch .LBB81_35
.LBB81_13:
                                        ; implicit-def: $vgpr0_vgpr1_vgpr2_vgpr3_vgpr4_vgpr5_vgpr6_vgpr7_vgpr8_vgpr9_vgpr10_vgpr11_vgpr12_vgpr13_vgpr14_vgpr15
.LBB81_14:
	s_mul_i32 s4, s28, s9
	s_ashr_i32 s5, s4, 31
	s_lshl_b64 s[4:5], s[4:5], 2
	s_add_u32 s28, s22, s4
	s_addc_u32 s4, s23, s5
	s_and_b32 s29, s4, 0xffff
	s_mov_b32 s31, 0x20000
	buffer_load_dwordx4 v[16:19], v33, s[28:31], 0 offen
	buffer_load_dwordx4 v[20:23], v33, s[28:31], 16 offen
	;; [unrolled: 1-line block ×4, first 2 shown]
	s_mov_b32 s4, 0x2edbe6ff
	s_waitcnt vmcnt(3)
	v_pk_mul_f32 v[30:31], v[0:1], v[16:17]
	v_pk_mul_f32 v[28:29], v[2:3], v[18:19]
	v_max3_f32 v39, |v30|, s4, |v31|
	s_waitcnt vmcnt(2)
	v_pk_mul_f32 v[26:27], v[4:5], v[20:21]
	v_max3_f32 v39, v39, |v28|, |v29|
	v_pk_mul_f32 v[24:25], v[6:7], v[22:23]
	v_max3_f32 v39, v39, |v26|, |v27|
	s_waitcnt vmcnt(1)
	v_pk_mul_f32 v[22:23], v[8:9], v[40:41]
	v_max3_f32 v39, v39, |v24|, |v25|
	v_pk_mul_f32 v[20:21], v[10:11], v[42:43]
	v_max3_f32 v39, v39, |v22|, |v23|
	;; [unrolled: 5-line block ×3, first 2 shown]
	v_max3_f32 v39, v39, |v16|, |v17|
	s_nop 1
	v_mov_b32_dpp v40, v39 quad_perm:[1,0,3,2] row_mask:0xf bank_mask:0xf
	v_cmp_gt_f32_e64 s[4:5], v39, v40
	v_cndmask_b32_e64 v39, v40, v39, s[4:5]
	s_nop 1
	v_mov_b32_dpp v40, v39 quad_perm:[2,3,0,1] row_mask:0xf bank_mask:0xf
	v_cmp_gt_f32_e64 s[4:5], v39, v40
	v_cndmask_b32_e64 v39, v40, v39, s[4:5]
	s_nop 1
	v_mov_b32_dpp v40, v39 row_half_mirror row_mask:0xf bank_mask:0xf
	v_cmp_gt_f32_e64 s[4:5], v39, v40
	v_cndmask_b32_e64 v39, v40, v39, s[4:5]
	s_nop 1
	v_mov_b32_dpp v40, v39 row_mirror row_mask:0xf bank_mask:0xf
	v_cmp_gt_f32_e64 s[4:5], v39, v40
	v_cndmask_b32_e64 v39, v40, v39, s[4:5]
	s_nop 1
	v_mov_b32_dpp v40, v39 row_bcast:15 row_mask:0xf bank_mask:0xf
	v_cmp_gt_f32_e64 s[4:5], v39, v40
	v_cndmask_b32_e64 v39, v40, v39, s[4:5]
	s_nop 1
	v_mov_b32_dpp v40, v39 row_bcast:31 row_mask:0xf bank_mask:0xf
	s_and_saveexec_b64 s[28:29], s[0:1]
	s_cbranch_execz .LBB81_16
; %bb.15:
	v_cmp_gt_f32_e64 s[4:5], v39, v40
	v_cndmask_b32_e64 v39, v40, v39, s[4:5]
	ds_write_b32 v34, v39
.LBB81_16:
	s_or_b64 exec, exec, s[28:29]
	s_waitcnt lgkmcnt(0)
	s_barrier
	ds_read_b32 v39, v35
	s_mul_i32 s27, s27, s13
	s_waitcnt lgkmcnt(0)
	v_mov_b32_dpp v40, v39 quad_perm:[1,0,3,2] row_mask:0xf bank_mask:0xf
	v_cmp_gt_f32_e64 s[4:5], v39, v40
	v_cndmask_b32_e64 v39, v40, v39, s[4:5]
	s_nop 1
	v_mov_b32_dpp v40, v39 quad_perm:[2,3,0,1] row_mask:0xf bank_mask:0xf
	v_cmp_gt_f32_e64 s[4:5], v39, v40
	v_cndmask_b32_e64 v39, v40, v39, s[4:5]
	s_mul_i32 s4, s36, s14
	v_mul_f32_e32 v39, 0x3b124925, v39
	s_add_i32 s28, s4, s27
	s_and_saveexec_b64 s[4:5], vcc
	s_cbranch_execz .LBB81_18
; %bb.17:
	s_ashr_i32 s29, s28, 31
	s_lshl_b64 s[36:37], s[28:29], 2
	s_add_u32 s36, s18, s36
	s_addc_u32 s37, s19, s37
	v_mov_b32_e32 v40, 0
	global_store_dword v40, v39, s[36:37]
.LBB81_18:
	s_or_b64 exec, exec, s[4:5]
	s_and_saveexec_b64 s[4:5], s[2:3]
	s_cbranch_execz .LBB81_20
; %bb.19:
	v_rcp_f32_e32 v40, v39
	v_mov_b32_e32 v39, 0xc3e00000
	v_mov_b32_e32 v42, 0x43e00000
	s_mul_i32 s27, s28, s15
	v_mov_b32_e32 v41, v40
	;;#ASMSTART
	v_pk_mul_f32 v[30:31], v[30:31], v[40:41]
	;;#ASMEND
	;;#ASMSTART
	v_med3_f32 v30, v30, v39, v42
v_med3_f32 v31, v31, v39, v42
v_cvt_pk_fp8_f32 v43, v30, v31
	;;#ASMEND
	;;#ASMSTART
	v_pk_mul_f32 v[28:29], v[28:29], v[40:41]
	;;#ASMEND
	;;#ASMSTART
	v_med3_f32 v28, v28, v39, v42
v_med3_f32 v29, v29, v39, v42
v_cvt_pk_fp8_f32 v30, v28, v29
	;;#ASMEND
	;;#ASMSTART
	v_pk_mul_f32 v[26:27], v[26:27], v[40:41]
	;;#ASMEND
	s_mul_hi_i32 s7, s28, s15
	s_add_u32 s36, s16, s27
	;;#ASMSTART
	v_med3_f32 v26, v26, v39, v42
v_med3_f32 v27, v27, v39, v42
v_cvt_pk_fp8_f32 v29, v26, v27
	;;#ASMEND
	;;#ASMSTART
	v_pk_mul_f32 v[24:25], v[24:25], v[40:41]
	;;#ASMEND
	s_addc_u32 s7, s17, s7
	;;#ASMSTART
	v_med3_f32 v24, v24, v39, v42
v_med3_f32 v25, v25, v39, v42
v_cvt_pk_fp8_f32 v26, v24, v25
	;;#ASMEND
	;;#ASMSTART
	v_pk_mul_f32 v[22:23], v[22:23], v[40:41]
	;;#ASMEND
	s_and_b32 s37, s7, 0xffff
	s_mov_b32 s7, 0x5040100
	;;#ASMSTART
	v_med3_f32 v22, v22, v39, v42
v_med3_f32 v23, v23, v39, v42
v_cvt_pk_fp8_f32 v24, v22, v23
	;;#ASMEND
	;;#ASMSTART
	v_pk_mul_f32 v[20:21], v[20:21], v[40:41]
	;;#ASMEND
	v_perm_b32 v28, v30, v43, s7
	s_mov_b32 s7, 0x1060504
	;;#ASMSTART
	v_med3_f32 v20, v20, v39, v42
v_med3_f32 v21, v21, v39, v42
v_cvt_pk_fp8_f32 v22, v20, v21
	;;#ASMEND
	;;#ASMSTART
	v_pk_mul_f32 v[18:19], v[18:19], v[40:41]
	;;#ASMEND
	v_perm_b32 v28, v28, v30, s7
	s_mov_b32 s7, 0x1000504
	;;#ASMSTART
	v_med3_f32 v18, v18, v39, v42
v_med3_f32 v19, v19, v39, v42
v_cvt_pk_fp8_f32 v20, v18, v19
	;;#ASMEND
	;;#ASMSTART
	v_pk_mul_f32 v[16:17], v[16:17], v[40:41]
	;;#ASMEND
	s_mov_b32 s39, 0x20000
	v_perm_b32 v29, v29, v26, s7
	v_perm_b32 v30, v24, v22, s7
	;;#ASMSTART
	v_med3_f32 v16, v16, v39, v42
v_med3_f32 v17, v17, v39, v42
v_cvt_pk_fp8_f32 v18, v16, v17
	;;#ASMEND
	v_perm_b32 v31, v20, v18, s7
	buffer_store_dwordx4 v[28:31], v36, s[36:39], 0 offen
	;;#ASMSTART
	s_nop 0
	;;#ASMEND
.LBB81_20:
	s_or_b64 exec, exec, s[4:5]
	s_cmp_eq_u32 s8, 1
	s_mov_b32 s42, 1
	s_cbranch_scc1 .LBB81_35
.LBB81_21:
	v_add_u32_e32 v38, 4, v38
	s_mov_b32 s31, 0x20000
	s_mov_b32 s43, 0x2edbe6ff
	v_mov_b32_e32 v39, 0
	v_mov_b32_e32 v40, 0xc3e00000
	;; [unrolled: 1-line block ×3, first 2 shown]
	s_mov_b32 s44, 0x5040100
	s_mov_b32 s45, 0x1060504
	;; [unrolled: 1-line block ×3, first 2 shown]
	s_branch .LBB81_24
.LBB81_22:                              ;   in Loop: Header=BB81_24 Depth=1
	s_or_b64 exec, exec, s[4:5]
.LBB81_23:                              ;   in Loop: Header=BB81_24 Depth=1
	s_add_i32 s42, s42, 1
	s_cmp_eq_u32 s8, s42
	v_add_u32_e32 v38, 4, v38
	s_cbranch_scc1 .LBB81_35
.LBB81_24:                              ; =>This Inner Loop Header: Depth=1
	s_and_b32 s4, s42, 63
	s_cmp_lg_u32 s4, 0
	s_cbranch_scc1 .LBB81_26
; %bb.25:                               ;   in Loop: Header=BB81_24 Depth=1
	s_mov_b32 s27, s31
	buffer_load_dword v16, v38, s[24:27], 0 offen
	s_waitcnt vmcnt(0)
	v_lshlrev_b32_e32 v16, 2, v16
	ds_read_b32 v37, v16
.LBB81_26:                              ;   in Loop: Header=BB81_24 Depth=1
	s_waitcnt lgkmcnt(0)
	v_readlane_b32 s28, v37, s4
	s_cmp_lt_i32 s28, 0
	s_cbranch_scc1 .LBB81_23
; %bb.27:                               ;   in Loop: Header=BB81_24 Depth=1
	s_add_i32 s4, s34, s42
	s_abs_i32 s7, s4
	s_mul_hi_u32 s27, s7, s41
	s_mul_i32 s29, s27, s40
	s_ashr_i32 s5, s4, 31
	s_sub_i32 s7, s7, s29
	s_xor_b32 s5, s5, s33
	s_add_i32 s29, s27, 1
	s_sub_i32 s36, s7, s40
	s_cmp_ge_u32 s7, s40
	s_cselect_b32 s27, s29, s27
	s_cselect_b32 s7, s36, s7
	s_add_i32 s29, s27, 1
	s_cmp_ge_u32 s7, s40
	s_cselect_b32 s7, s29, s27
	s_xor_b32 s7, s7, s5
	s_sub_i32 s27, s7, s5
	s_mul_i32 s5, s27, s10
	s_sub_i32 s36, s4, s5
	s_mul_i32 s29, s36, s12
	s_mul_i32 s4, s27, s11
	s_add_i32 s29, s29, s4
	s_cmp_eq_u32 s29, s35
	s_cbranch_scc1 .LBB81_29
; %bb.28:                               ;   in Loop: Header=BB81_24 Depth=1
	s_mul_hi_i32 s5, s29, s15
	s_mul_i32 s4, s29, s15
	s_lshl_b64 s[4:5], s[4:5], 1
	s_add_u32 s4, s20, s4
	s_addc_u32 s5, s21, s5
	s_and_b32 s5, s5, 0xffff
	s_mov_b32 s7, s31
	buffer_load_dwordx4 v[6:9], v32, s[4:7], 0 offen
	buffer_load_dwordx4 v[14:17], v32, s[4:7], 16 offen
	s_mov_b32 s35, s29
	s_waitcnt vmcnt(1)
	v_cvt_f32_u32_sdwa v1, v6 dst_sel:DWORD dst_unused:UNUSED_PAD src0_sel:WORD_1
	v_cvt_f32_u32_sdwa v0, v6 dst_sel:DWORD dst_unused:UNUSED_PAD src0_sel:WORD_0
	v_cvt_f32_u32_sdwa v3, v7 dst_sel:DWORD dst_unused:UNUSED_PAD src0_sel:WORD_1
	v_cvt_f32_u32_sdwa v2, v7 dst_sel:DWORD dst_unused:UNUSED_PAD src0_sel:WORD_0
	;; [unrolled: 2-line block ×4, first 2 shown]
	s_waitcnt vmcnt(0)
	v_cvt_f32_u32_sdwa v9, v14 dst_sel:DWORD dst_unused:UNUSED_PAD src0_sel:WORD_1
	v_cvt_f32_u32_sdwa v8, v14 dst_sel:DWORD dst_unused:UNUSED_PAD src0_sel:WORD_0
	v_cvt_f32_u32_sdwa v11, v15 dst_sel:DWORD dst_unused:UNUSED_PAD src0_sel:WORD_1
	v_cvt_f32_u32_sdwa v10, v15 dst_sel:DWORD dst_unused:UNUSED_PAD src0_sel:WORD_0
	v_cvt_f32_u32_sdwa v13, v16 dst_sel:DWORD dst_unused:UNUSED_PAD src0_sel:WORD_1
	v_cvt_f32_u32_sdwa v12, v16 dst_sel:DWORD dst_unused:UNUSED_PAD src0_sel:WORD_0
	v_cvt_f32_u32_sdwa v15, v17 dst_sel:DWORD dst_unused:UNUSED_PAD src0_sel:WORD_1
	v_cvt_f32_u32_sdwa v14, v17 dst_sel:DWORD dst_unused:UNUSED_PAD src0_sel:WORD_0
.LBB81_29:                              ;   in Loop: Header=BB81_24 Depth=1
	s_mul_i32 s4, s28, s9
	s_ashr_i32 s5, s4, 31
	s_lshl_b64 s[4:5], s[4:5], 2
	s_add_u32 s28, s22, s4
	s_addc_u32 s4, s23, s5
	s_and_b32 s29, s4, 0xffff
	buffer_load_dwordx4 v[16:19], v33, s[28:31], 0 offen
	buffer_load_dwordx4 v[20:23], v33, s[28:31], 16 offen
	;; [unrolled: 1-line block ×4, first 2 shown]
	s_waitcnt vmcnt(3)
	v_pk_mul_f32 v[30:31], v[0:1], v[16:17]
	v_pk_mul_f32 v[28:29], v[2:3], v[18:19]
	s_waitcnt vmcnt(2)
	v_pk_mul_f32 v[24:25], v[6:7], v[22:23]
	s_waitcnt vmcnt(1)
	v_pk_mul_f32 v[22:23], v[8:9], v[42:43]
	v_max3_f32 v42, |v30|, s43, |v31|
	v_pk_mul_f32 v[26:27], v[4:5], v[20:21]
	v_max3_f32 v42, v42, |v28|, |v29|
	v_max3_f32 v42, v42, |v26|, |v27|
	;; [unrolled: 1-line block ×3, first 2 shown]
	v_pk_mul_f32 v[20:21], v[10:11], v[44:45]
	v_max3_f32 v42, v42, |v22|, |v23|
	s_waitcnt vmcnt(0)
	v_pk_mul_f32 v[18:19], v[12:13], v[46:47]
	v_max3_f32 v42, v42, |v20|, |v21|
	v_pk_mul_f32 v[16:17], v[14:15], v[48:49]
	v_max3_f32 v42, v42, |v18|, |v19|
	v_max3_f32 v42, v42, |v16|, |v17|
	s_nop 1
	v_mov_b32_dpp v43, v42 quad_perm:[1,0,3,2] row_mask:0xf bank_mask:0xf
	v_cmp_gt_f32_e64 s[4:5], v42, v43
	v_cndmask_b32_e64 v42, v43, v42, s[4:5]
	s_nop 1
	v_mov_b32_dpp v43, v42 quad_perm:[2,3,0,1] row_mask:0xf bank_mask:0xf
	v_cmp_gt_f32_e64 s[4:5], v42, v43
	v_cndmask_b32_e64 v42, v43, v42, s[4:5]
	s_nop 1
	v_mov_b32_dpp v43, v42 row_half_mirror row_mask:0xf bank_mask:0xf
	v_cmp_gt_f32_e64 s[4:5], v42, v43
	v_cndmask_b32_e64 v42, v43, v42, s[4:5]
	s_nop 1
	v_mov_b32_dpp v43, v42 row_mirror row_mask:0xf bank_mask:0xf
	v_cmp_gt_f32_e64 s[4:5], v42, v43
	v_cndmask_b32_e64 v42, v43, v42, s[4:5]
	s_nop 1
	v_mov_b32_dpp v43, v42 row_bcast:15 row_mask:0xf bank_mask:0xf
	v_cmp_gt_f32_e64 s[4:5], v42, v43
	v_cndmask_b32_e64 v42, v43, v42, s[4:5]
	s_nop 1
	v_mov_b32_dpp v43, v42 row_bcast:31 row_mask:0xf bank_mask:0xf
	s_and_saveexec_b64 s[28:29], s[0:1]
	s_cbranch_execz .LBB81_31
; %bb.30:                               ;   in Loop: Header=BB81_24 Depth=1
	v_cmp_gt_f32_e64 s[4:5], v42, v43
	v_cndmask_b32_e64 v42, v43, v42, s[4:5]
	ds_write_b32 v34, v42
.LBB81_31:                              ;   in Loop: Header=BB81_24 Depth=1
	s_or_b64 exec, exec, s[28:29]
	s_waitcnt lgkmcnt(0)
	s_barrier
	ds_read_b32 v42, v35
	s_mul_i32 s27, s27, s13
	s_waitcnt lgkmcnt(0)
	v_mov_b32_dpp v43, v42 quad_perm:[1,0,3,2] row_mask:0xf bank_mask:0xf
	v_cmp_gt_f32_e64 s[4:5], v42, v43
	v_cndmask_b32_e64 v42, v43, v42, s[4:5]
	s_nop 1
	v_mov_b32_dpp v43, v42 quad_perm:[2,3,0,1] row_mask:0xf bank_mask:0xf
	v_cmp_gt_f32_e64 s[4:5], v42, v43
	v_cndmask_b32_e64 v42, v43, v42, s[4:5]
	s_mul_i32 s4, s36, s14
	v_mul_f32_e32 v42, 0x3b124925, v42
	s_add_i32 s28, s4, s27
	s_and_saveexec_b64 s[4:5], vcc
	s_cbranch_execz .LBB81_33
; %bb.32:                               ;   in Loop: Header=BB81_24 Depth=1
	s_ashr_i32 s29, s28, 31
	s_lshl_b64 s[36:37], s[28:29], 2
	s_add_u32 s36, s18, s36
	s_addc_u32 s37, s19, s37
	global_store_dword v39, v42, s[36:37]
.LBB81_33:                              ;   in Loop: Header=BB81_24 Depth=1
	s_or_b64 exec, exec, s[4:5]
	s_and_saveexec_b64 s[4:5], s[2:3]
	s_cbranch_execz .LBB81_22
; %bb.34:                               ;   in Loop: Header=BB81_24 Depth=1
	v_rcp_f32_e32 v42, v42
	s_mul_i32 s27, s28, s15
	s_mul_hi_i32 s7, s28, s15
	s_add_u32 s36, s16, s27
	v_mov_b32_e32 v43, v42
	;;#ASMSTART
	v_pk_mul_f32 v[30:31], v[30:31], v[42:43]
	;;#ASMEND
	;;#ASMSTART
	v_med3_f32 v30, v30, v40, v41
v_med3_f32 v31, v31, v40, v41
v_cvt_pk_fp8_f32 v44, v30, v31
	;;#ASMEND
	;;#ASMSTART
	v_pk_mul_f32 v[28:29], v[28:29], v[42:43]
	;;#ASMEND
	;;#ASMSTART
	v_med3_f32 v28, v28, v40, v41
v_med3_f32 v29, v29, v40, v41
v_cvt_pk_fp8_f32 v30, v28, v29
	;;#ASMEND
	;; [unrolled: 8-line block ×6, first 2 shown]
	;;#ASMSTART
	v_pk_mul_f32 v[18:19], v[18:19], v[42:43]
	;;#ASMEND
	s_addc_u32 s7, s17, s7
	v_perm_b32 v28, v30, v44, s44
	;;#ASMSTART
	v_med3_f32 v18, v18, v40, v41
v_med3_f32 v19, v19, v40, v41
v_cvt_pk_fp8_f32 v20, v18, v19
	;;#ASMEND
	;;#ASMSTART
	v_pk_mul_f32 v[16:17], v[16:17], v[42:43]
	;;#ASMEND
	s_and_b32 s37, s7, 0xffff
	s_mov_b32 s39, s31
	v_perm_b32 v28, v28, v30, s45
	v_perm_b32 v29, v29, v26, s46
	;; [unrolled: 1-line block ×3, first 2 shown]
	;;#ASMSTART
	v_med3_f32 v16, v16, v40, v41
v_med3_f32 v17, v17, v40, v41
v_cvt_pk_fp8_f32 v18, v16, v17
	;;#ASMEND
	v_perm_b32 v31, v20, v18, s46
	buffer_store_dwordx4 v[28:31], v36, s[36:39], 0 offen
	;;#ASMSTART
	s_nop 0
	;;#ASMEND
	s_branch .LBB81_22
.LBB81_35:
	s_endpgm
	.section	.rodata,"a",@progbits
	.p2align	6, 0x0
	.amdhsa_kernel _ZN5aiter36smooth_per_token_scaled_quant_kernelItDB8_Li256ELi16ELb0ELb1ELb1ELi1024EEEvPT0_PfPT_S4_PiS7_iiPKiiiiiiiii
		.amdhsa_group_segment_fixed_size 4112
		.amdhsa_private_segment_fixed_size 0
		.amdhsa_kernarg_size 96
		.amdhsa_user_sgpr_count 6
		.amdhsa_user_sgpr_private_segment_buffer 1
		.amdhsa_user_sgpr_dispatch_ptr 0
		.amdhsa_user_sgpr_queue_ptr 0
		.amdhsa_user_sgpr_kernarg_segment_ptr 1
		.amdhsa_user_sgpr_dispatch_id 0
		.amdhsa_user_sgpr_flat_scratch_init 0
		.amdhsa_user_sgpr_kernarg_preload_length 0
		.amdhsa_user_sgpr_kernarg_preload_offset 0
		.amdhsa_user_sgpr_private_segment_size 0
		.amdhsa_uses_dynamic_stack 0
		.amdhsa_system_sgpr_private_segment_wavefront_offset 0
		.amdhsa_system_sgpr_workgroup_id_x 1
		.amdhsa_system_sgpr_workgroup_id_y 0
		.amdhsa_system_sgpr_workgroup_id_z 0
		.amdhsa_system_sgpr_workgroup_info 0
		.amdhsa_system_vgpr_workitem_id 0
		.amdhsa_next_free_vgpr 50
		.amdhsa_next_free_sgpr 47
		.amdhsa_accum_offset 52
		.amdhsa_reserve_vcc 1
		.amdhsa_reserve_flat_scratch 0
		.amdhsa_float_round_mode_32 0
		.amdhsa_float_round_mode_16_64 0
		.amdhsa_float_denorm_mode_32 3
		.amdhsa_float_denorm_mode_16_64 3
		.amdhsa_dx10_clamp 1
		.amdhsa_ieee_mode 1
		.amdhsa_fp16_overflow 0
		.amdhsa_tg_split 0
		.amdhsa_exception_fp_ieee_invalid_op 0
		.amdhsa_exception_fp_denorm_src 0
		.amdhsa_exception_fp_ieee_div_zero 0
		.amdhsa_exception_fp_ieee_overflow 0
		.amdhsa_exception_fp_ieee_underflow 0
		.amdhsa_exception_fp_ieee_inexact 0
		.amdhsa_exception_int_div_zero 0
	.end_amdhsa_kernel
	.section	.text._ZN5aiter36smooth_per_token_scaled_quant_kernelItDB8_Li256ELi16ELb0ELb1ELb1ELi1024EEEvPT0_PfPT_S4_PiS7_iiPKiiiiiiiii,"axG",@progbits,_ZN5aiter36smooth_per_token_scaled_quant_kernelItDB8_Li256ELi16ELb0ELb1ELb1ELi1024EEEvPT0_PfPT_S4_PiS7_iiPKiiiiiiiii,comdat
.Lfunc_end81:
	.size	_ZN5aiter36smooth_per_token_scaled_quant_kernelItDB8_Li256ELi16ELb0ELb1ELb1ELi1024EEEvPT0_PfPT_S4_PiS7_iiPKiiiiiiiii, .Lfunc_end81-_ZN5aiter36smooth_per_token_scaled_quant_kernelItDB8_Li256ELi16ELb0ELb1ELb1ELi1024EEEvPT0_PfPT_S4_PiS7_iiPKiiiiiiiii
                                        ; -- End function
	.section	.AMDGPU.csdata,"",@progbits
; Kernel info:
; codeLenInByte = 3284
; NumSgprs: 51
; NumVgprs: 50
; NumAgprs: 0
; TotalNumVgprs: 50
; ScratchSize: 0
; MemoryBound: 0
; FloatMode: 240
; IeeeMode: 1
; LDSByteSize: 4112 bytes/workgroup (compile time only)
; SGPRBlocks: 6
; VGPRBlocks: 6
; NumSGPRsForWavesPerEU: 51
; NumVGPRsForWavesPerEU: 50
; AccumOffset: 52
; Occupancy: 8
; WaveLimiterHint : 0
; COMPUTE_PGM_RSRC2:SCRATCH_EN: 0
; COMPUTE_PGM_RSRC2:USER_SGPR: 6
; COMPUTE_PGM_RSRC2:TRAP_HANDLER: 0
; COMPUTE_PGM_RSRC2:TGID_X_EN: 1
; COMPUTE_PGM_RSRC2:TGID_Y_EN: 0
; COMPUTE_PGM_RSRC2:TGID_Z_EN: 0
; COMPUTE_PGM_RSRC2:TIDIG_COMP_CNT: 0
; COMPUTE_PGM_RSRC3_GFX90A:ACCUM_OFFSET: 12
; COMPUTE_PGM_RSRC3_GFX90A:TG_SPLIT: 0
	.section	.text._ZN5aiter36smooth_per_token_scaled_quant_kernelIDF16_DB8_Li256ELi16ELb0ELb1ELb0ELi1024EEEvPT0_PfPT_S4_PiS7_iiPKiiiiiiiii,"axG",@progbits,_ZN5aiter36smooth_per_token_scaled_quant_kernelIDF16_DB8_Li256ELi16ELb0ELb1ELb0ELi1024EEEvPT0_PfPT_S4_PiS7_iiPKiiiiiiiii,comdat
	.protected	_ZN5aiter36smooth_per_token_scaled_quant_kernelIDF16_DB8_Li256ELi16ELb0ELb1ELb0ELi1024EEEvPT0_PfPT_S4_PiS7_iiPKiiiiiiiii ; -- Begin function _ZN5aiter36smooth_per_token_scaled_quant_kernelIDF16_DB8_Li256ELi16ELb0ELb1ELb0ELi1024EEEvPT0_PfPT_S4_PiS7_iiPKiiiiiiiii
	.globl	_ZN5aiter36smooth_per_token_scaled_quant_kernelIDF16_DB8_Li256ELi16ELb0ELb1ELb0ELi1024EEEvPT0_PfPT_S4_PiS7_iiPKiiiiiiiii
	.p2align	8
	.type	_ZN5aiter36smooth_per_token_scaled_quant_kernelIDF16_DB8_Li256ELi16ELb0ELb1ELb0ELi1024EEEvPT0_PfPT_S4_PiS7_iiPKiiiiiiiii,@function
_ZN5aiter36smooth_per_token_scaled_quant_kernelIDF16_DB8_Li256ELi16ELb0ELb1ELb0ELi1024EEEvPT0_PfPT_S4_PiS7_iiPKiiiiiiiii: ; @_ZN5aiter36smooth_per_token_scaled_quant_kernelIDF16_DB8_Li256ELi16ELb0ELb1ELb0ELi1024EEEvPT0_PfPT_S4_PiS7_iiPKiiiiiiiii
; %bb.0:
	s_load_dwordx2 s[2:3], s[4:5], 0x38
	s_load_dwordx8 s[8:15], s[4:5], 0x40
	s_mov_b64 s[0:1], 0
	s_waitcnt lgkmcnt(0)
	s_cmp_lg_u64 s[2:3], 0
	s_cbranch_scc0 .LBB82_24
; %bb.1:
	s_load_dword s2, s[2:3], 0x0
	s_waitcnt lgkmcnt(0)
	s_mul_i32 s2, s2, s8
	s_andn2_b64 vcc, exec, s[0:1]
	s_cbranch_vccnz .LBB82_3
.LBB82_2:
	s_mul_i32 s2, s10, s9
.LBB82_3:
	s_load_dwordx2 s[8:9], s[4:5], 0x30
	s_abs_i32 s1, s2
	s_waitcnt lgkmcnt(0)
	s_abs_i32 s0, s8
	v_cvt_f32_u32_e32 v1, s0
	s_sub_i32 s7, 0, s0
	s_xor_b32 s3, s2, s8
	s_ashr_i32 s3, s3, 31
	v_rcp_iflag_f32_e32 v1, v1
	v_mul_f32_e32 v1, 0x4f7ffffe, v1
	v_cvt_u32_f32_e32 v1, v1
	v_readfirstlane_b32 s15, v1
	s_mul_i32 s7, s7, s15
	s_mul_hi_u32 s7, s15, s7
	s_add_i32 s15, s15, s7
	s_mul_hi_u32 s7, s1, s15
	s_mul_i32 s15, s7, s0
	s_sub_i32 s1, s1, s15
	s_add_i32 s16, s7, 1
	s_sub_i32 s15, s1, s0
	s_cmp_ge_u32 s1, s0
	s_cselect_b32 s7, s16, s7
	s_cselect_b32 s1, s15, s1
	s_add_i32 s15, s7, 1
	s_cmp_ge_u32 s1, s0
	s_cselect_b32 s0, s15, s7
	s_xor_b32 s0, s0, s3
	s_sub_i32 s7, s0, s3
	s_mul_i32 s0, s7, s8
	s_sub_i32 s2, s2, s0
	s_cmp_lt_u32 s6, s2
	s_cselect_b64 s[0:1], -1, 0
	s_add_i32 s8, s7, 1
	s_cmp_ge_u32 s6, s2
	s_cbranch_scc0 .LBB82_5
; %bb.4:
	s_mul_i32 s3, s2, s8
	s_sub_i32 s2, s6, s2
	s_mul_i32 s2, s2, s7
	s_add_i32 s34, s2, s3
	s_cbranch_execz .LBB82_6
	s_branch .LBB82_7
.LBB82_5:
                                        ; implicit-def: $sgpr34
.LBB82_6:
	s_mul_i32 s34, s8, s6
.LBB82_7:
	v_cndmask_b32_e64 v1, 0, 1, s[0:1]
	v_readfirstlane_b32 s0, v1
	s_add_i32 s8, s7, s0
	s_cmp_lt_i32 s8, 1
	s_cbranch_scc1 .LBB82_23
; %bb.8:
	s_load_dwordx2 s[0:1], s[4:5], 0x20
	s_load_dwordx8 s[16:23], s[4:5], 0x0
	s_ashr_i32 s35, s34, 31
	s_lshl_b64 s[2:3], s[34:35], 2
	v_lshrrev_b32_e32 v2, 4, v0
	s_waitcnt lgkmcnt(0)
	s_add_u32 s24, s0, s2
	s_addc_u32 s0, s1, s3
	v_and_b32_e32 v74, 60, v2
	v_and_b32_e32 v2, 3, v0
	s_abs_i32 s35, s10
	v_lshlrev_b32_e32 v75, 2, v2
	v_cvt_f32_u32_e32 v2, s35
	s_add_i32 s2, s9, 15
	s_ashr_i32 s3, s2, 31
	s_lshr_b32 s3, s3, 28
	v_rcp_iflag_f32_e32 v2, v2
	s_add_i32 s4, s9, 3
	s_add_i32 s2, s2, s3
	s_ashr_i32 s5, s4, 31
	v_mul_f32_e32 v2, 0x4f7ffffe, v2
	v_cvt_u32_f32_e32 v2, v2
	v_and_b32_e32 v1, 63, v0
	s_ashr_i32 s2, s2, 4
	s_lshr_b32 s5, s5, 30
	s_and_b32 s25, s0, 0xffff
	v_lshlrev_b32_e32 v72, 5, v0
	v_lshlrev_b32_e32 v73, 6, v0
	v_cmp_eq_u32_e32 vcc, 63, v1
	v_cmp_eq_u32_e64 s[0:1], 0, v0
	v_cmp_gt_u32_e64 s[2:3], s2, v0
	s_add_i32 s4, s4, s5
	v_lshlrev_b32_e32 v76, 4, v0
	v_readfirstlane_b32 s5, v2
	v_lshlrev_b32_e32 v77, 2, v1
                                        ; implicit-def: $vgpr0_vgpr1_vgpr2_vgpr3_vgpr4_vgpr5_vgpr6_vgpr7_vgpr8_vgpr9_vgpr10_vgpr11_vgpr12_vgpr13_vgpr14_vgpr15
                                        ; implicit-def: $vgpr4_vgpr5_vgpr6_vgpr7_vgpr8_vgpr9_vgpr10_vgpr11_vgpr12_vgpr13_vgpr14_vgpr15_vgpr16_vgpr17_vgpr18_vgpr19
	s_and_b32 s38, s4, -4
	s_sub_i32 s4, 0, s35
                                        ; implicit-def: $vgpr10_vgpr11_vgpr12_vgpr13_vgpr14_vgpr15_vgpr16_vgpr17_vgpr18_vgpr19_vgpr20_vgpr21_vgpr22_vgpr23_vgpr24_vgpr25
	s_mul_i32 s4, s4, s5
                                        ; implicit-def: $vgpr18_vgpr19_vgpr20_vgpr21_vgpr22_vgpr23_vgpr24_vgpr25_vgpr26_vgpr27_vgpr28_vgpr29_vgpr30_vgpr31_vgpr32_vgpr33
	s_lshl_b32 s6, s8, 2
	s_mov_b32 s7, 0x20000
	s_mul_hi_u32 s4, s5, s4
                                        ; implicit-def: $vgpr28_vgpr29_vgpr30_vgpr31_vgpr32_vgpr33_vgpr34_vgpr35_vgpr36_vgpr37_vgpr38_vgpr39_vgpr40_vgpr41_vgpr42_vgpr43
	s_mov_b64 s[26:27], s[6:7]
	s_mov_b32 s15, s9
	s_lshl_b32 s30, s9, 1
	s_lshl_b32 s6, s9, 2
	s_mov_b32 s33, 0
	s_ashr_i32 s40, s10, 31
	s_add_i32 s41, s5, s4
	s_mov_b32 s31, -1
	v_mov_b32_e32 v81, 0
	s_mov_b32 s42, 0x2edbe6ff
	v_mov_b32_e32 v78, 0
	v_mov_b32_e32 v79, 0xc3e00000
	;; [unrolled: 1-line block ×3, first 2 shown]
	s_mov_b32 s43, 0x5040100
	s_mov_b32 s44, 0x1060504
	;; [unrolled: 1-line block ×3, first 2 shown]
                                        ; implicit-def: $vgpr40_vgpr41_vgpr42_vgpr43_vgpr44_vgpr45_vgpr46_vgpr47_vgpr48_vgpr49_vgpr50_vgpr51_vgpr52_vgpr53_vgpr54_vgpr55
                                        ; implicit-def: $vgpr70
                                        ; implicit-def: $vgpr54_vgpr55_vgpr56_vgpr57_vgpr58_vgpr59_vgpr60_vgpr61_vgpr62_vgpr63_vgpr64_vgpr65_vgpr66_vgpr67_vgpr68_vgpr69
	s_branch .LBB82_11
.LBB82_9:                               ;   in Loop: Header=BB82_11 Depth=1
	s_or_b64 exec, exec, s[4:5]
.LBB82_10:                              ;   in Loop: Header=BB82_11 Depth=1
	s_add_i32 s33, s33, 1
	s_cmp_eq_u32 s8, s33
	v_add_u32_e32 v77, 4, v77
	s_cbranch_scc1 .LBB82_23
.LBB82_11:                              ; =>This Inner Loop Header: Depth=1
	s_and_b32 s4, s33, 63
	s_cmp_lg_u32 s4, 0
	s_cbranch_scc1 .LBB82_14
; %bb.12:                               ;   in Loop: Header=BB82_11 Depth=1
	buffer_load_dword v81, v77, s[24:27], 0 offen
	s_cmp_lg_u32 s33, 0
	s_waitcnt vmcnt(0)
	s_cbranch_scc1 .LBB82_14
; %bb.13:                               ;   in Loop: Header=BB82_11 Depth=1
	s_barrier
.LBB82_14:                              ;   in Loop: Header=BB82_11 Depth=1
	v_readlane_b32 s4, v81, s4
	s_cmp_lt_i32 s4, 0
	s_cbranch_scc1 .LBB82_10
; %bb.15:                               ;   in Loop: Header=BB82_11 Depth=1
	s_add_i32 s5, s34, s33
	s_abs_i32 s29, s5
	s_mul_hi_u32 s36, s29, s41
	s_mul_i32 s37, s36, s35
	s_ashr_i32 s28, s5, 31
	s_sub_i32 s29, s29, s37
	s_xor_b32 s28, s28, s40
	s_add_i32 s37, s36, 1
	s_sub_i32 s39, s29, s35
	s_cmp_ge_u32 s29, s35
	s_cselect_b32 s36, s37, s36
	s_cselect_b32 s29, s39, s29
	s_add_i32 s37, s36, 1
	s_cmp_ge_u32 s29, s35
	s_cselect_b32 s29, s37, s36
	s_xor_b32 s29, s29, s28
	s_sub_i32 s36, s29, s28
	s_mul_i32 s28, s36, s10
	s_sub_i32 s37, s5, s28
	s_mul_i32 s5, s37, s12
	s_mul_i32 s28, s36, s11
	s_add_i32 s5, s5, s28
	s_cmp_eq_u32 s5, s31
	s_cbranch_scc1 .LBB82_17
; %bb.16:                               ;   in Loop: Header=BB82_11 Depth=1
	s_mul_hi_i32 s29, s5, s15
	s_mul_i32 s28, s5, s15
	s_lshl_b64 s[28:29], s[28:29], 1
	s_add_u32 s28, s20, s28
	s_addc_u32 s29, s21, s29
	s_and_b32 s29, s29, 0xffff
	s_mov_b32 s31, s7
	buffer_load_dwordx4 v[2:5], v72, s[28:31], 0 offen
	buffer_load_dwordx4 v[10:13], v72, s[28:31], 16 offen
	s_mov_b32 s31, s5
	s_waitcnt vmcnt(1)
	v_cvt_f32_f16_e32 v70, v2
	v_cvt_f32_f16_sdwa v71, v2 dst_sel:DWORD dst_unused:UNUSED_PAD src0_sel:WORD_1
	v_cvt_f32_f16_e32 v2, v3
	v_cvt_f32_f16_sdwa v3, v3 dst_sel:DWORD dst_unused:UNUSED_PAD src0_sel:WORD_1
	;; [unrolled: 2-line block ×4, first 2 shown]
	s_waitcnt vmcnt(0)
	v_cvt_f32_f16_e32 v26, v10
	v_cvt_f32_f16_sdwa v27, v10 dst_sel:DWORD dst_unused:UNUSED_PAD src0_sel:WORD_1
	v_cvt_f32_f16_e32 v38, v11
	v_cvt_f32_f16_sdwa v39, v11 dst_sel:DWORD dst_unused:UNUSED_PAD src0_sel:WORD_1
	;; [unrolled: 2-line block ×4, first 2 shown]
.LBB82_17:                              ;   in Loop: Header=BB82_11 Depth=1
	s_mul_i32 s4, s4, s9
	s_ashr_i32 s5, s4, 31
	s_lshl_b64 s[4:5], s[4:5], 2
	s_add_u32 s4, s22, s4
	s_addc_u32 s5, s23, s5
	s_and_b32 s5, s5, 0xffff
	buffer_load_dwordx4 v[4:7], v73, s[4:7], 0 offen
	buffer_load_dwordx4 v[10:13], v73, s[4:7], 16 offen
	s_waitcnt vmcnt(1)
	v_pk_mul_f32 v[20:21], v[70:71], v[4:5]
	v_pk_mul_f32 v[18:19], v[2:3], v[6:7]
	buffer_load_dwordx4 v[4:7], v73, s[4:7], 32 offen
	buffer_load_dwordx4 v[22:25], v73, s[4:7], 48 offen
	s_waitcnt vmcnt(2)
	v_pk_mul_f32 v[14:15], v[8:9], v[10:11]
	v_pk_mul_f32 v[12:13], v[16:17], v[12:13]
	s_waitcnt vmcnt(1)
	v_pk_mul_f32 v[10:11], v[26:27], v[4:5]
	s_waitcnt vmcnt(0)
	v_pk_mul_f32 v[4:5], v[52:53], v[22:23]
	v_max3_f32 v22, |v20|, s42, |v21|
	v_max3_f32 v22, v22, |v18|, |v19|
	v_max3_f32 v22, v22, |v14|, |v15|
	;; [unrolled: 1-line block ×3, first 2 shown]
	v_pk_mul_f32 v[6:7], v[38:39], v[6:7]
	v_max3_f32 v22, v22, |v10|, |v11|
	v_max3_f32 v22, v22, |v6|, |v7|
	v_pk_mul_f32 v[0:1], v[68:69], v[24:25]
	v_max3_f32 v22, v22, |v4|, |v5|
	v_max3_f32 v22, v22, |v0|, |v1|
	s_nop 1
	v_mov_b32_dpp v23, v22 quad_perm:[1,0,3,2] row_mask:0xf bank_mask:0xf
	v_cmp_gt_f32_e64 s[4:5], v22, v23
	v_cndmask_b32_e64 v22, v23, v22, s[4:5]
	s_nop 1
	v_mov_b32_dpp v23, v22 quad_perm:[2,3,0,1] row_mask:0xf bank_mask:0xf
	v_cmp_gt_f32_e64 s[4:5], v22, v23
	v_cndmask_b32_e64 v22, v23, v22, s[4:5]
	s_nop 1
	v_mov_b32_dpp v23, v22 row_half_mirror row_mask:0xf bank_mask:0xf
	v_cmp_gt_f32_e64 s[4:5], v22, v23
	v_cndmask_b32_e64 v22, v23, v22, s[4:5]
	s_nop 1
	v_mov_b32_dpp v23, v22 row_mirror row_mask:0xf bank_mask:0xf
	v_cmp_gt_f32_e64 s[4:5], v22, v23
	v_cndmask_b32_e64 v22, v23, v22, s[4:5]
	s_nop 1
	v_mov_b32_dpp v23, v22 row_bcast:15 row_mask:0xf bank_mask:0xf
	v_cmp_gt_f32_e64 s[4:5], v22, v23
	v_cndmask_b32_e64 v22, v23, v22, s[4:5]
	s_nop 1
	v_mov_b32_dpp v23, v22 row_bcast:31 row_mask:0xf bank_mask:0xf
	s_and_saveexec_b64 s[28:29], vcc
	s_cbranch_execz .LBB82_19
; %bb.18:                               ;   in Loop: Header=BB82_11 Depth=1
	v_cmp_gt_f32_e64 s[4:5], v22, v23
	v_cndmask_b32_e64 v22, v23, v22, s[4:5]
	ds_write_b32 v74, v22
.LBB82_19:                              ;   in Loop: Header=BB82_11 Depth=1
	s_or_b64 exec, exec, s[28:29]
	s_waitcnt lgkmcnt(0)
	s_barrier
	ds_read_b32 v22, v75
	s_mul_i32 s36, s36, s13
	s_waitcnt lgkmcnt(0)
	v_mov_b32_dpp v23, v22 quad_perm:[1,0,3,2] row_mask:0xf bank_mask:0xf
	v_cmp_gt_f32_e64 s[4:5], v22, v23
	v_cndmask_b32_e64 v22, v23, v22, s[4:5]
	s_nop 1
	v_mov_b32_dpp v23, v22 quad_perm:[2,3,0,1] row_mask:0xf bank_mask:0xf
	v_cmp_gt_f32_e64 s[4:5], v22, v23
	v_cndmask_b32_e64 v22, v23, v22, s[4:5]
	s_mul_i32 s4, s37, s14
	v_mul_f32_e32 v22, 0x3b124925, v22
	s_add_i32 s28, s4, s36
	s_and_saveexec_b64 s[4:5], s[0:1]
	s_cbranch_execz .LBB82_21
; %bb.20:                               ;   in Loop: Header=BB82_11 Depth=1
	s_ashr_i32 s29, s28, 31
	s_lshl_b64 s[36:37], s[28:29], 2
	s_add_u32 s36, s18, s36
	s_addc_u32 s37, s19, s37
	global_store_dword v78, v22, s[36:37]
.LBB82_21:                              ;   in Loop: Header=BB82_11 Depth=1
	s_or_b64 exec, exec, s[4:5]
	s_and_saveexec_b64 s[4:5], s[2:3]
	s_cbranch_execz .LBB82_9
; %bb.22:                               ;   in Loop: Header=BB82_11 Depth=1
	v_rcp_f32_e32 v22, v22
	s_mul_hi_i32 s29, s28, s15
	s_mul_i32 s28, s28, s15
	s_add_u32 s36, s16, s28
	v_mov_b32_e32 v23, v22
	;;#ASMSTART
	v_pk_mul_f32 v[20:21], v[20:21], v[22:23]
	;;#ASMEND
	;;#ASMSTART
	v_med3_f32 v20, v20, v79, v80
v_med3_f32 v21, v21, v79, v80
v_cvt_pk_fp8_f32 v24, v20, v21
	;;#ASMEND
	;;#ASMSTART
	v_pk_mul_f32 v[18:19], v[18:19], v[22:23]
	;;#ASMEND
	;;#ASMSTART
	v_med3_f32 v18, v18, v79, v80
v_med3_f32 v19, v19, v79, v80
v_cvt_pk_fp8_f32 v20, v18, v19
	;;#ASMEND
	;; [unrolled: 8-line block ×6, first 2 shown]
	;;#ASMSTART
	v_pk_mul_f32 v[4:5], v[4:5], v[22:23]
	;;#ASMEND
	s_addc_u32 s28, s17, s29
	v_perm_b32 v18, v20, v24, s43
	;;#ASMSTART
	v_med3_f32 v4, v4, v79, v80
v_med3_f32 v5, v5, v79, v80
v_cvt_pk_fp8_f32 v6, v4, v5
	;;#ASMEND
	;;#ASMSTART
	v_pk_mul_f32 v[0:1], v[0:1], v[22:23]
	;;#ASMEND
	s_and_b32 s37, s28, 0xffff
	s_mov_b32 s39, s7
	v_perm_b32 v18, v18, v20, s44
	v_perm_b32 v19, v19, v14, s45
	;; [unrolled: 1-line block ×3, first 2 shown]
	;;#ASMSTART
	v_med3_f32 v0, v0, v79, v80
v_med3_f32 v1, v1, v79, v80
v_cvt_pk_fp8_f32 v4, v0, v1
	;;#ASMEND
	v_perm_b32 v21, v6, v4, s45
	buffer_store_dwordx4 v[18:21], v76, s[36:39], 0 offen
	;;#ASMSTART
	s_nop 0
	;;#ASMEND
	s_branch .LBB82_9
.LBB82_23:
	s_endpgm
.LBB82_24:
                                        ; implicit-def: $sgpr2
	s_branch .LBB82_2
	.section	.rodata,"a",@progbits
	.p2align	6, 0x0
	.amdhsa_kernel _ZN5aiter36smooth_per_token_scaled_quant_kernelIDF16_DB8_Li256ELi16ELb0ELb1ELb0ELi1024EEEvPT0_PfPT_S4_PiS7_iiPKiiiiiiiii
		.amdhsa_group_segment_fixed_size 16
		.amdhsa_private_segment_fixed_size 0
		.amdhsa_kernarg_size 96
		.amdhsa_user_sgpr_count 6
		.amdhsa_user_sgpr_private_segment_buffer 1
		.amdhsa_user_sgpr_dispatch_ptr 0
		.amdhsa_user_sgpr_queue_ptr 0
		.amdhsa_user_sgpr_kernarg_segment_ptr 1
		.amdhsa_user_sgpr_dispatch_id 0
		.amdhsa_user_sgpr_flat_scratch_init 0
		.amdhsa_user_sgpr_kernarg_preload_length 0
		.amdhsa_user_sgpr_kernarg_preload_offset 0
		.amdhsa_user_sgpr_private_segment_size 0
		.amdhsa_uses_dynamic_stack 0
		.amdhsa_system_sgpr_private_segment_wavefront_offset 0
		.amdhsa_system_sgpr_workgroup_id_x 1
		.amdhsa_system_sgpr_workgroup_id_y 0
		.amdhsa_system_sgpr_workgroup_id_z 0
		.amdhsa_system_sgpr_workgroup_info 0
		.amdhsa_system_vgpr_workitem_id 0
		.amdhsa_next_free_vgpr 82
		.amdhsa_next_free_sgpr 46
		.amdhsa_accum_offset 84
		.amdhsa_reserve_vcc 1
		.amdhsa_reserve_flat_scratch 0
		.amdhsa_float_round_mode_32 0
		.amdhsa_float_round_mode_16_64 0
		.amdhsa_float_denorm_mode_32 3
		.amdhsa_float_denorm_mode_16_64 3
		.amdhsa_dx10_clamp 1
		.amdhsa_ieee_mode 1
		.amdhsa_fp16_overflow 0
		.amdhsa_tg_split 0
		.amdhsa_exception_fp_ieee_invalid_op 0
		.amdhsa_exception_fp_denorm_src 0
		.amdhsa_exception_fp_ieee_div_zero 0
		.amdhsa_exception_fp_ieee_overflow 0
		.amdhsa_exception_fp_ieee_underflow 0
		.amdhsa_exception_fp_ieee_inexact 0
		.amdhsa_exception_int_div_zero 0
	.end_amdhsa_kernel
	.section	.text._ZN5aiter36smooth_per_token_scaled_quant_kernelIDF16_DB8_Li256ELi16ELb0ELb1ELb0ELi1024EEEvPT0_PfPT_S4_PiS7_iiPKiiiiiiiii,"axG",@progbits,_ZN5aiter36smooth_per_token_scaled_quant_kernelIDF16_DB8_Li256ELi16ELb0ELb1ELb0ELi1024EEEvPT0_PfPT_S4_PiS7_iiPKiiiiiiiii,comdat
.Lfunc_end82:
	.size	_ZN5aiter36smooth_per_token_scaled_quant_kernelIDF16_DB8_Li256ELi16ELb0ELb1ELb0ELi1024EEEvPT0_PfPT_S4_PiS7_iiPKiiiiiiiii, .Lfunc_end82-_ZN5aiter36smooth_per_token_scaled_quant_kernelIDF16_DB8_Li256ELi16ELb0ELb1ELb0ELi1024EEEvPT0_PfPT_S4_PiS7_iiPKiiiiiiiii
                                        ; -- End function
	.section	.AMDGPU.csdata,"",@progbits
; Kernel info:
; codeLenInByte = 1756
; NumSgprs: 50
; NumVgprs: 82
; NumAgprs: 0
; TotalNumVgprs: 82
; ScratchSize: 0
; MemoryBound: 0
; FloatMode: 240
; IeeeMode: 1
; LDSByteSize: 16 bytes/workgroup (compile time only)
; SGPRBlocks: 6
; VGPRBlocks: 10
; NumSGPRsForWavesPerEU: 50
; NumVGPRsForWavesPerEU: 82
; AccumOffset: 84
; Occupancy: 5
; WaveLimiterHint : 0
; COMPUTE_PGM_RSRC2:SCRATCH_EN: 0
; COMPUTE_PGM_RSRC2:USER_SGPR: 6
; COMPUTE_PGM_RSRC2:TRAP_HANDLER: 0
; COMPUTE_PGM_RSRC2:TGID_X_EN: 1
; COMPUTE_PGM_RSRC2:TGID_Y_EN: 0
; COMPUTE_PGM_RSRC2:TGID_Z_EN: 0
; COMPUTE_PGM_RSRC2:TIDIG_COMP_CNT: 0
; COMPUTE_PGM_RSRC3_GFX90A:ACCUM_OFFSET: 20
; COMPUTE_PGM_RSRC3_GFX90A:TG_SPLIT: 0
	.section	.text._ZN5aiter36smooth_per_token_scaled_quant_kernelItDB8_Li256ELi16ELb0ELb1ELb0ELi1024EEEvPT0_PfPT_S4_PiS7_iiPKiiiiiiiii,"axG",@progbits,_ZN5aiter36smooth_per_token_scaled_quant_kernelItDB8_Li256ELi16ELb0ELb1ELb0ELi1024EEEvPT0_PfPT_S4_PiS7_iiPKiiiiiiiii,comdat
	.protected	_ZN5aiter36smooth_per_token_scaled_quant_kernelItDB8_Li256ELi16ELb0ELb1ELb0ELi1024EEEvPT0_PfPT_S4_PiS7_iiPKiiiiiiiii ; -- Begin function _ZN5aiter36smooth_per_token_scaled_quant_kernelItDB8_Li256ELi16ELb0ELb1ELb0ELi1024EEEvPT0_PfPT_S4_PiS7_iiPKiiiiiiiii
	.globl	_ZN5aiter36smooth_per_token_scaled_quant_kernelItDB8_Li256ELi16ELb0ELb1ELb0ELi1024EEEvPT0_PfPT_S4_PiS7_iiPKiiiiiiiii
	.p2align	8
	.type	_ZN5aiter36smooth_per_token_scaled_quant_kernelItDB8_Li256ELi16ELb0ELb1ELb0ELi1024EEEvPT0_PfPT_S4_PiS7_iiPKiiiiiiiii,@function
_ZN5aiter36smooth_per_token_scaled_quant_kernelItDB8_Li256ELi16ELb0ELb1ELb0ELi1024EEEvPT0_PfPT_S4_PiS7_iiPKiiiiiiiii: ; @_ZN5aiter36smooth_per_token_scaled_quant_kernelItDB8_Li256ELi16ELb0ELb1ELb0ELi1024EEEvPT0_PfPT_S4_PiS7_iiPKiiiiiiiii
; %bb.0:
	s_load_dwordx2 s[2:3], s[4:5], 0x38
	s_load_dwordx8 s[8:15], s[4:5], 0x40
	s_mov_b64 s[0:1], 0
	s_waitcnt lgkmcnt(0)
	s_cmp_lg_u64 s[2:3], 0
	s_cbranch_scc0 .LBB83_11
; %bb.1:
	s_load_dword s2, s[2:3], 0x0
	s_waitcnt lgkmcnt(0)
	s_mul_i32 s2, s2, s8
	s_andn2_b64 vcc, exec, s[0:1]
	s_cbranch_vccnz .LBB83_3
.LBB83_2:
	s_mul_i32 s2, s10, s9
.LBB83_3:
	s_load_dwordx2 s[8:9], s[4:5], 0x30
	s_abs_i32 s1, s2
	s_waitcnt lgkmcnt(0)
	s_abs_i32 s0, s8
	v_cvt_f32_u32_e32 v1, s0
	s_sub_i32 s7, 0, s0
	s_xor_b32 s3, s2, s8
	s_ashr_i32 s3, s3, 31
	v_rcp_iflag_f32_e32 v1, v1
	v_mul_f32_e32 v1, 0x4f7ffffe, v1
	v_cvt_u32_f32_e32 v1, v1
	v_readfirstlane_b32 s15, v1
	s_mul_i32 s7, s7, s15
	s_mul_hi_u32 s7, s15, s7
	s_add_i32 s15, s15, s7
	s_mul_hi_u32 s7, s1, s15
	s_mul_i32 s15, s7, s0
	s_sub_i32 s1, s1, s15
	s_add_i32 s16, s7, 1
	s_sub_i32 s15, s1, s0
	s_cmp_ge_u32 s1, s0
	s_cselect_b32 s7, s16, s7
	s_cselect_b32 s1, s15, s1
	s_add_i32 s15, s7, 1
	s_cmp_ge_u32 s1, s0
	s_cselect_b32 s0, s15, s7
	s_xor_b32 s0, s0, s3
	s_sub_i32 s7, s0, s3
	s_mul_i32 s0, s7, s8
	s_sub_i32 s2, s2, s0
	s_cmp_lt_u32 s6, s2
	s_cselect_b64 s[0:1], -1, 0
	s_add_i32 s8, s7, 1
	s_cmp_ge_u32 s6, s2
	s_cbranch_scc0 .LBB83_5
; %bb.4:
	s_mul_i32 s3, s2, s8
	s_sub_i32 s2, s6, s2
	s_mul_i32 s2, s2, s7
	s_add_i32 s34, s2, s3
	s_cbranch_execz .LBB83_6
	s_branch .LBB83_7
.LBB83_5:
                                        ; implicit-def: $sgpr34
.LBB83_6:
	s_mul_i32 s34, s8, s6
.LBB83_7:
	v_cndmask_b32_e64 v1, 0, 1, s[0:1]
	v_readfirstlane_b32 s0, v1
	s_add_i32 s8, s7, s0
	s_cmp_lt_i32 s8, 1
	s_cbranch_scc1 .LBB83_35
; %bb.8:
	s_load_dwordx2 s[0:1], s[4:5], 0x20
	s_ashr_i32 s35, s34, 31
	s_lshl_b64 s[2:3], s[34:35], 2
	v_and_b32_e32 v1, 63, v0
	s_mov_b32 s27, 0x20000
	s_waitcnt lgkmcnt(0)
	s_add_u32 s24, s0, s2
	s_addc_u32 s0, s1, s3
	s_lshl_b32 s26, s8, 2
	s_and_b32 s25, s0, 0xffff
	v_lshlrev_b32_e32 v38, 2, v1
	buffer_load_dword v33, v38, s[24:27], 0 offen
	v_cmp_eq_u32_e32 vcc, 63, v1
	v_lshrrev_b32_e32 v1, 4, v0
	v_and_b32_e32 v35, 60, v1
	v_and_b32_e32 v1, 3, v0
	s_abs_i32 s33, s10
	v_lshlrev_b32_e32 v36, 2, v1
	v_cvt_f32_u32_e32 v1, s33
	s_add_i32 s2, s9, 15
	s_ashr_i32 s3, s2, 31
	s_lshr_b32 s3, s3, 28
	v_rcp_iflag_f32_e32 v1, v1
	s_add_i32 s2, s2, s3
	s_ashr_i32 s2, s2, 4
	v_lshlrev_b32_e32 v32, 5, v0
	v_lshlrev_b32_e32 v34, 6, v0
	v_cmp_eq_u32_e64 s[0:1], 0, v0
	v_cmp_gt_u32_e64 s[2:3], s2, v0
	v_lshlrev_b32_e32 v37, 4, v0
	v_mul_f32_e32 v0, 0x4f7ffffe, v1
	s_load_dwordx8 s[16:23], s[4:5], 0x0
	s_add_i32 s4, s9, 3
	v_cvt_u32_f32_e32 v0, v0
	s_ashr_i32 s5, s4, 31
	s_lshr_b32 s5, s5, 30
	s_add_i32 s4, s4, s5
	s_and_b32 s38, s4, -4
	s_sub_i32 s4, 0, s33
	v_readfirstlane_b32 s41, v0
	s_mul_i32 s4, s4, s41
	s_mul_hi_u32 s4, s41, s4
	s_lshl_b32 s6, s9, 1
	s_lshl_b32 s30, s9, 2
	s_ashr_i32 s40, s10, 31
	s_add_i32 s41, s41, s4
	s_mov_b32 s15, s9
	s_waitcnt vmcnt(0) lgkmcnt(0)
	s_barrier
	v_readlane_b32 s28, v33, 0
	s_cmp_lt_i32 s28, 0
	s_cbranch_scc1 .LBB83_12
; %bb.9:
	s_abs_i32 s4, s34
	s_mul_hi_u32 s5, s4, s41
	s_mul_i32 s27, s5, s33
	s_sub_i32 s4, s4, s27
	s_xor_b32 s7, s35, s40
	s_add_i32 s27, s5, 1
	s_sub_i32 s29, s4, s33
	s_cmp_ge_u32 s4, s33
	s_cselect_b32 s5, s27, s5
	s_cselect_b32 s4, s29, s4
	s_add_i32 s27, s5, 1
	s_cmp_ge_u32 s4, s33
	s_cselect_b32 s4, s27, s5
	s_xor_b32 s4, s4, s7
	s_sub_i32 s27, s4, s7
	s_mul_i32 s4, s27, s10
	s_sub_i32 s35, s34, s4
	s_mul_i32 s29, s35, s12
	s_mul_i32 s4, s27, s11
	s_add_i32 s29, s29, s4
	s_cmp_eq_u32 s29, -1
	s_mov_b32 s7, -1
	s_cbranch_scc1 .LBB83_13
; %bb.10:
	s_mul_hi_i32 s5, s29, s15
	s_mul_i32 s4, s29, s15
	s_lshl_b64 s[4:5], s[4:5], 1
	s_add_u32 s4, s20, s4
	s_addc_u32 s5, s21, s5
	s_and_b32 s5, s5, 0xffff
	s_mov_b32 s7, 0x20000
	buffer_load_dwordx4 v[6:9], v32, s[4:7], 0 offen
	buffer_load_dwordx4 v[14:17], v32, s[4:7], 16 offen
	s_mov_b32 s7, s29
	s_waitcnt vmcnt(1)
	v_cvt_f32_u32_sdwa v1, v6 dst_sel:DWORD dst_unused:UNUSED_PAD src0_sel:WORD_1
	v_cvt_f32_u32_sdwa v0, v6 dst_sel:DWORD dst_unused:UNUSED_PAD src0_sel:WORD_0
	v_cvt_f32_u32_sdwa v3, v7 dst_sel:DWORD dst_unused:UNUSED_PAD src0_sel:WORD_1
	v_cvt_f32_u32_sdwa v2, v7 dst_sel:DWORD dst_unused:UNUSED_PAD src0_sel:WORD_0
	;; [unrolled: 2-line block ×4, first 2 shown]
	s_waitcnt vmcnt(0)
	v_cvt_f32_u32_sdwa v9, v14 dst_sel:DWORD dst_unused:UNUSED_PAD src0_sel:WORD_1
	v_cvt_f32_u32_sdwa v8, v14 dst_sel:DWORD dst_unused:UNUSED_PAD src0_sel:WORD_0
	v_cvt_f32_u32_sdwa v11, v15 dst_sel:DWORD dst_unused:UNUSED_PAD src0_sel:WORD_1
	v_cvt_f32_u32_sdwa v10, v15 dst_sel:DWORD dst_unused:UNUSED_PAD src0_sel:WORD_0
	v_cvt_f32_u32_sdwa v13, v16 dst_sel:DWORD dst_unused:UNUSED_PAD src0_sel:WORD_1
	v_cvt_f32_u32_sdwa v12, v16 dst_sel:DWORD dst_unused:UNUSED_PAD src0_sel:WORD_0
	v_cvt_f32_u32_sdwa v15, v17 dst_sel:DWORD dst_unused:UNUSED_PAD src0_sel:WORD_1
	v_cvt_f32_u32_sdwa v14, v17 dst_sel:DWORD dst_unused:UNUSED_PAD src0_sel:WORD_0
	s_branch .LBB83_14
.LBB83_11:
                                        ; implicit-def: $sgpr2
	s_branch .LBB83_2
.LBB83_12:
	s_mov_b32 s7, -1
                                        ; implicit-def: $vgpr0_vgpr1_vgpr2_vgpr3_vgpr4_vgpr5_vgpr6_vgpr7_vgpr8_vgpr9_vgpr10_vgpr11_vgpr12_vgpr13_vgpr14_vgpr15
	s_cmp_eq_u32 s8, 1
	s_mov_b32 s35, 1
	s_cbranch_scc0 .LBB83_21
	s_branch .LBB83_35
.LBB83_13:
                                        ; implicit-def: $vgpr0_vgpr1_vgpr2_vgpr3_vgpr4_vgpr5_vgpr6_vgpr7_vgpr8_vgpr9_vgpr10_vgpr11_vgpr12_vgpr13_vgpr14_vgpr15
.LBB83_14:
	s_mul_i32 s4, s28, s9
	s_ashr_i32 s5, s4, 31
	s_lshl_b64 s[4:5], s[4:5], 2
	s_add_u32 s28, s22, s4
	s_addc_u32 s4, s23, s5
	s_and_b32 s29, s4, 0xffff
	s_mov_b32 s31, 0x20000
	buffer_load_dwordx4 v[16:19], v34, s[28:31], 0 offen
	buffer_load_dwordx4 v[20:23], v34, s[28:31], 16 offen
	;; [unrolled: 1-line block ×4, first 2 shown]
	s_mov_b32 s4, 0x2edbe6ff
	s_waitcnt vmcnt(3)
	v_pk_mul_f32 v[30:31], v[0:1], v[16:17]
	v_pk_mul_f32 v[28:29], v[2:3], v[18:19]
	v_max3_f32 v39, |v30|, s4, |v31|
	s_waitcnt vmcnt(2)
	v_pk_mul_f32 v[26:27], v[4:5], v[20:21]
	v_max3_f32 v39, v39, |v28|, |v29|
	v_pk_mul_f32 v[24:25], v[6:7], v[22:23]
	v_max3_f32 v39, v39, |v26|, |v27|
	s_waitcnt vmcnt(1)
	v_pk_mul_f32 v[22:23], v[8:9], v[40:41]
	v_max3_f32 v39, v39, |v24|, |v25|
	v_pk_mul_f32 v[20:21], v[10:11], v[42:43]
	v_max3_f32 v39, v39, |v22|, |v23|
	;; [unrolled: 5-line block ×3, first 2 shown]
	v_max3_f32 v39, v39, |v16|, |v17|
	s_nop 1
	v_mov_b32_dpp v40, v39 quad_perm:[1,0,3,2] row_mask:0xf bank_mask:0xf
	v_cmp_gt_f32_e64 s[4:5], v39, v40
	v_cndmask_b32_e64 v39, v40, v39, s[4:5]
	s_nop 1
	v_mov_b32_dpp v40, v39 quad_perm:[2,3,0,1] row_mask:0xf bank_mask:0xf
	v_cmp_gt_f32_e64 s[4:5], v39, v40
	v_cndmask_b32_e64 v39, v40, v39, s[4:5]
	s_nop 1
	v_mov_b32_dpp v40, v39 row_half_mirror row_mask:0xf bank_mask:0xf
	v_cmp_gt_f32_e64 s[4:5], v39, v40
	v_cndmask_b32_e64 v39, v40, v39, s[4:5]
	s_nop 1
	v_mov_b32_dpp v40, v39 row_mirror row_mask:0xf bank_mask:0xf
	v_cmp_gt_f32_e64 s[4:5], v39, v40
	v_cndmask_b32_e64 v39, v40, v39, s[4:5]
	s_nop 1
	v_mov_b32_dpp v40, v39 row_bcast:15 row_mask:0xf bank_mask:0xf
	v_cmp_gt_f32_e64 s[4:5], v39, v40
	v_cndmask_b32_e64 v39, v40, v39, s[4:5]
	s_nop 1
	v_mov_b32_dpp v40, v39 row_bcast:31 row_mask:0xf bank_mask:0xf
	s_and_saveexec_b64 s[28:29], vcc
	s_cbranch_execz .LBB83_16
; %bb.15:
	v_cmp_gt_f32_e64 s[4:5], v39, v40
	v_cndmask_b32_e64 v39, v40, v39, s[4:5]
	ds_write_b32 v35, v39
.LBB83_16:
	s_or_b64 exec, exec, s[28:29]
	s_waitcnt lgkmcnt(0)
	s_barrier
	ds_read_b32 v39, v36
	s_mul_i32 s27, s27, s13
	s_waitcnt lgkmcnt(0)
	v_mov_b32_dpp v40, v39 quad_perm:[1,0,3,2] row_mask:0xf bank_mask:0xf
	v_cmp_gt_f32_e64 s[4:5], v39, v40
	v_cndmask_b32_e64 v39, v40, v39, s[4:5]
	s_nop 1
	v_mov_b32_dpp v40, v39 quad_perm:[2,3,0,1] row_mask:0xf bank_mask:0xf
	v_cmp_gt_f32_e64 s[4:5], v39, v40
	v_cndmask_b32_e64 v39, v40, v39, s[4:5]
	s_mul_i32 s4, s35, s14
	v_mul_f32_e32 v39, 0x3b124925, v39
	s_add_i32 s28, s4, s27
	s_and_saveexec_b64 s[4:5], s[0:1]
	s_cbranch_execz .LBB83_18
; %bb.17:
	s_ashr_i32 s29, s28, 31
	s_lshl_b64 s[36:37], s[28:29], 2
	s_add_u32 s36, s18, s36
	s_addc_u32 s37, s19, s37
	v_mov_b32_e32 v40, 0
	global_store_dword v40, v39, s[36:37]
.LBB83_18:
	s_or_b64 exec, exec, s[4:5]
	s_and_saveexec_b64 s[4:5], s[2:3]
	s_cbranch_execz .LBB83_20
; %bb.19:
	v_rcp_f32_e32 v40, v39
	v_mov_b32_e32 v39, 0xc3e00000
	v_mov_b32_e32 v42, 0x43e00000
	s_mul_hi_i32 s27, s28, s15
	v_mov_b32_e32 v41, v40
	;;#ASMSTART
	v_pk_mul_f32 v[30:31], v[30:31], v[40:41]
	;;#ASMEND
	;;#ASMSTART
	v_med3_f32 v30, v30, v39, v42
v_med3_f32 v31, v31, v39, v42
v_cvt_pk_fp8_f32 v43, v30, v31
	;;#ASMEND
	;;#ASMSTART
	v_pk_mul_f32 v[28:29], v[28:29], v[40:41]
	;;#ASMEND
	s_mul_i32 s28, s28, s15
	;;#ASMSTART
	v_med3_f32 v28, v28, v39, v42
v_med3_f32 v29, v29, v39, v42
v_cvt_pk_fp8_f32 v30, v28, v29
	;;#ASMEND
	;;#ASMSTART
	v_pk_mul_f32 v[26:27], v[26:27], v[40:41]
	;;#ASMEND
	s_add_u32 s36, s16, s28
	;;#ASMSTART
	v_med3_f32 v26, v26, v39, v42
v_med3_f32 v27, v27, v39, v42
v_cvt_pk_fp8_f32 v29, v26, v27
	;;#ASMEND
	;;#ASMSTART
	v_pk_mul_f32 v[24:25], v[24:25], v[40:41]
	;;#ASMEND
	s_addc_u32 s27, s17, s27
	;;#ASMSTART
	v_med3_f32 v24, v24, v39, v42
v_med3_f32 v25, v25, v39, v42
v_cvt_pk_fp8_f32 v26, v24, v25
	;;#ASMEND
	;;#ASMSTART
	v_pk_mul_f32 v[22:23], v[22:23], v[40:41]
	;;#ASMEND
	s_and_b32 s37, s27, 0xffff
	s_mov_b32 s27, 0x5040100
	;;#ASMSTART
	v_med3_f32 v22, v22, v39, v42
v_med3_f32 v23, v23, v39, v42
v_cvt_pk_fp8_f32 v24, v22, v23
	;;#ASMEND
	;;#ASMSTART
	v_pk_mul_f32 v[20:21], v[20:21], v[40:41]
	;;#ASMEND
	v_perm_b32 v28, v30, v43, s27
	s_mov_b32 s27, 0x1060504
	;;#ASMSTART
	v_med3_f32 v20, v20, v39, v42
v_med3_f32 v21, v21, v39, v42
v_cvt_pk_fp8_f32 v22, v20, v21
	;;#ASMEND
	;;#ASMSTART
	v_pk_mul_f32 v[18:19], v[18:19], v[40:41]
	;;#ASMEND
	v_perm_b32 v28, v28, v30, s27
	s_mov_b32 s27, 0x1000504
	;;#ASMSTART
	v_med3_f32 v18, v18, v39, v42
v_med3_f32 v19, v19, v39, v42
v_cvt_pk_fp8_f32 v20, v18, v19
	;;#ASMEND
	;;#ASMSTART
	v_pk_mul_f32 v[16:17], v[16:17], v[40:41]
	;;#ASMEND
	s_mov_b32 s39, 0x20000
	v_perm_b32 v29, v29, v26, s27
	v_perm_b32 v30, v24, v22, s27
	;;#ASMSTART
	v_med3_f32 v16, v16, v39, v42
v_med3_f32 v17, v17, v39, v42
v_cvt_pk_fp8_f32 v18, v16, v17
	;;#ASMEND
	v_perm_b32 v31, v20, v18, s27
	buffer_store_dwordx4 v[28:31], v37, s[36:39], 0 offen
	;;#ASMSTART
	s_nop 0
	;;#ASMEND
.LBB83_20:
	s_or_b64 exec, exec, s[4:5]
	s_cmp_eq_u32 s8, 1
	s_mov_b32 s35, 1
	s_cbranch_scc1 .LBB83_35
.LBB83_21:
	v_add_u32_e32 v38, 4, v38
	s_mov_b32 s31, 0x20000
	s_mov_b32 s42, 0x2edbe6ff
	v_mov_b32_e32 v39, 0
	v_mov_b32_e32 v40, 0xc3e00000
	;; [unrolled: 1-line block ×3, first 2 shown]
	s_mov_b32 s43, 0x5040100
	s_mov_b32 s44, 0x1060504
	;; [unrolled: 1-line block ×3, first 2 shown]
	s_branch .LBB83_24
.LBB83_22:                              ;   in Loop: Header=BB83_24 Depth=1
	s_or_b64 exec, exec, s[4:5]
.LBB83_23:                              ;   in Loop: Header=BB83_24 Depth=1
	s_add_i32 s35, s35, 1
	s_cmp_eq_u32 s8, s35
	v_add_u32_e32 v38, 4, v38
	s_cbranch_scc1 .LBB83_35
.LBB83_24:                              ; =>This Inner Loop Header: Depth=1
	s_and_b32 s4, s35, 63
	s_cmp_lg_u32 s4, 0
	s_cbranch_scc1 .LBB83_26
; %bb.25:                               ;   in Loop: Header=BB83_24 Depth=1
	s_mov_b32 s27, s31
	buffer_load_dword v33, v38, s[24:27], 0 offen
	s_waitcnt vmcnt(0)
.LBB83_26:                              ;   in Loop: Header=BB83_24 Depth=1
	v_readlane_b32 s28, v33, s4
	s_cmp_lt_i32 s28, 0
	s_cbranch_scc1 .LBB83_23
; %bb.27:                               ;   in Loop: Header=BB83_24 Depth=1
	s_add_i32 s4, s34, s35
	s_abs_i32 s27, s4
	s_mul_hi_u32 s29, s27, s41
	s_mul_i32 s36, s29, s33
	s_ashr_i32 s5, s4, 31
	s_sub_i32 s27, s27, s36
	s_xor_b32 s5, s5, s40
	s_add_i32 s36, s29, 1
	s_sub_i32 s37, s27, s33
	s_cmp_ge_u32 s27, s33
	s_cselect_b32 s29, s36, s29
	s_cselect_b32 s27, s37, s27
	s_add_i32 s36, s29, 1
	s_cmp_ge_u32 s27, s33
	s_cselect_b32 s27, s36, s29
	s_xor_b32 s27, s27, s5
	s_sub_i32 s27, s27, s5
	s_mul_i32 s5, s27, s10
	s_sub_i32 s36, s4, s5
	s_mul_i32 s29, s36, s12
	s_mul_i32 s4, s27, s11
	s_add_i32 s29, s29, s4
	s_cmp_eq_u32 s29, s7
	s_cbranch_scc1 .LBB83_29
; %bb.28:                               ;   in Loop: Header=BB83_24 Depth=1
	s_mul_hi_i32 s5, s29, s15
	s_mul_i32 s4, s29, s15
	s_lshl_b64 s[4:5], s[4:5], 1
	s_add_u32 s4, s20, s4
	s_addc_u32 s5, s21, s5
	s_and_b32 s5, s5, 0xffff
	s_mov_b32 s7, s31
	buffer_load_dwordx4 v[6:9], v32, s[4:7], 0 offen
	buffer_load_dwordx4 v[14:17], v32, s[4:7], 16 offen
	s_mov_b32 s7, s29
	s_waitcnt vmcnt(1)
	v_cvt_f32_u32_sdwa v1, v6 dst_sel:DWORD dst_unused:UNUSED_PAD src0_sel:WORD_1
	v_cvt_f32_u32_sdwa v0, v6 dst_sel:DWORD dst_unused:UNUSED_PAD src0_sel:WORD_0
	v_cvt_f32_u32_sdwa v3, v7 dst_sel:DWORD dst_unused:UNUSED_PAD src0_sel:WORD_1
	v_cvt_f32_u32_sdwa v2, v7 dst_sel:DWORD dst_unused:UNUSED_PAD src0_sel:WORD_0
	;; [unrolled: 2-line block ×4, first 2 shown]
	s_waitcnt vmcnt(0)
	v_cvt_f32_u32_sdwa v9, v14 dst_sel:DWORD dst_unused:UNUSED_PAD src0_sel:WORD_1
	v_cvt_f32_u32_sdwa v8, v14 dst_sel:DWORD dst_unused:UNUSED_PAD src0_sel:WORD_0
	v_cvt_f32_u32_sdwa v11, v15 dst_sel:DWORD dst_unused:UNUSED_PAD src0_sel:WORD_1
	v_cvt_f32_u32_sdwa v10, v15 dst_sel:DWORD dst_unused:UNUSED_PAD src0_sel:WORD_0
	;; [unrolled: 2-line block ×4, first 2 shown]
.LBB83_29:                              ;   in Loop: Header=BB83_24 Depth=1
	s_mul_i32 s4, s28, s9
	s_ashr_i32 s5, s4, 31
	s_lshl_b64 s[4:5], s[4:5], 2
	s_add_u32 s28, s22, s4
	s_addc_u32 s4, s23, s5
	s_and_b32 s29, s4, 0xffff
	buffer_load_dwordx4 v[16:19], v34, s[28:31], 0 offen
	buffer_load_dwordx4 v[20:23], v34, s[28:31], 16 offen
	;; [unrolled: 1-line block ×4, first 2 shown]
	s_waitcnt vmcnt(3)
	v_pk_mul_f32 v[30:31], v[0:1], v[16:17]
	v_pk_mul_f32 v[28:29], v[2:3], v[18:19]
	s_waitcnt vmcnt(2)
	v_pk_mul_f32 v[24:25], v[6:7], v[22:23]
	s_waitcnt vmcnt(1)
	v_pk_mul_f32 v[22:23], v[8:9], v[42:43]
	v_max3_f32 v42, |v30|, s42, |v31|
	v_pk_mul_f32 v[26:27], v[4:5], v[20:21]
	v_max3_f32 v42, v42, |v28|, |v29|
	v_max3_f32 v42, v42, |v26|, |v27|
	;; [unrolled: 1-line block ×3, first 2 shown]
	v_pk_mul_f32 v[20:21], v[10:11], v[44:45]
	v_max3_f32 v42, v42, |v22|, |v23|
	s_waitcnt vmcnt(0)
	v_pk_mul_f32 v[18:19], v[12:13], v[46:47]
	v_max3_f32 v42, v42, |v20|, |v21|
	v_pk_mul_f32 v[16:17], v[14:15], v[48:49]
	v_max3_f32 v42, v42, |v18|, |v19|
	v_max3_f32 v42, v42, |v16|, |v17|
	s_nop 1
	v_mov_b32_dpp v43, v42 quad_perm:[1,0,3,2] row_mask:0xf bank_mask:0xf
	v_cmp_gt_f32_e64 s[4:5], v42, v43
	v_cndmask_b32_e64 v42, v43, v42, s[4:5]
	s_nop 1
	v_mov_b32_dpp v43, v42 quad_perm:[2,3,0,1] row_mask:0xf bank_mask:0xf
	v_cmp_gt_f32_e64 s[4:5], v42, v43
	v_cndmask_b32_e64 v42, v43, v42, s[4:5]
	s_nop 1
	v_mov_b32_dpp v43, v42 row_half_mirror row_mask:0xf bank_mask:0xf
	v_cmp_gt_f32_e64 s[4:5], v42, v43
	v_cndmask_b32_e64 v42, v43, v42, s[4:5]
	s_nop 1
	v_mov_b32_dpp v43, v42 row_mirror row_mask:0xf bank_mask:0xf
	v_cmp_gt_f32_e64 s[4:5], v42, v43
	v_cndmask_b32_e64 v42, v43, v42, s[4:5]
	s_nop 1
	v_mov_b32_dpp v43, v42 row_bcast:15 row_mask:0xf bank_mask:0xf
	v_cmp_gt_f32_e64 s[4:5], v42, v43
	v_cndmask_b32_e64 v42, v43, v42, s[4:5]
	s_nop 1
	v_mov_b32_dpp v43, v42 row_bcast:31 row_mask:0xf bank_mask:0xf
	s_and_saveexec_b64 s[28:29], vcc
	s_cbranch_execz .LBB83_31
; %bb.30:                               ;   in Loop: Header=BB83_24 Depth=1
	v_cmp_gt_f32_e64 s[4:5], v42, v43
	v_cndmask_b32_e64 v42, v43, v42, s[4:5]
	ds_write_b32 v35, v42
.LBB83_31:                              ;   in Loop: Header=BB83_24 Depth=1
	s_or_b64 exec, exec, s[28:29]
	s_waitcnt lgkmcnt(0)
	s_barrier
	ds_read_b32 v42, v36
	s_mul_i32 s27, s27, s13
	s_waitcnt lgkmcnt(0)
	v_mov_b32_dpp v43, v42 quad_perm:[1,0,3,2] row_mask:0xf bank_mask:0xf
	v_cmp_gt_f32_e64 s[4:5], v42, v43
	v_cndmask_b32_e64 v42, v43, v42, s[4:5]
	s_nop 1
	v_mov_b32_dpp v43, v42 quad_perm:[2,3,0,1] row_mask:0xf bank_mask:0xf
	v_cmp_gt_f32_e64 s[4:5], v42, v43
	v_cndmask_b32_e64 v42, v43, v42, s[4:5]
	s_mul_i32 s4, s36, s14
	v_mul_f32_e32 v42, 0x3b124925, v42
	s_add_i32 s28, s4, s27
	s_and_saveexec_b64 s[4:5], s[0:1]
	s_cbranch_execz .LBB83_33
; %bb.32:                               ;   in Loop: Header=BB83_24 Depth=1
	s_ashr_i32 s29, s28, 31
	s_lshl_b64 s[36:37], s[28:29], 2
	s_add_u32 s36, s18, s36
	s_addc_u32 s37, s19, s37
	global_store_dword v39, v42, s[36:37]
.LBB83_33:                              ;   in Loop: Header=BB83_24 Depth=1
	s_or_b64 exec, exec, s[4:5]
	s_and_saveexec_b64 s[4:5], s[2:3]
	s_cbranch_execz .LBB83_22
; %bb.34:                               ;   in Loop: Header=BB83_24 Depth=1
	v_rcp_f32_e32 v42, v42
	s_mul_hi_i32 s27, s28, s15
	s_mul_i32 s28, s28, s15
	s_add_u32 s36, s16, s28
	v_mov_b32_e32 v43, v42
	;;#ASMSTART
	v_pk_mul_f32 v[30:31], v[30:31], v[42:43]
	;;#ASMEND
	;;#ASMSTART
	v_med3_f32 v30, v30, v40, v41
v_med3_f32 v31, v31, v40, v41
v_cvt_pk_fp8_f32 v44, v30, v31
	;;#ASMEND
	;;#ASMSTART
	v_pk_mul_f32 v[28:29], v[28:29], v[42:43]
	;;#ASMEND
	;;#ASMSTART
	v_med3_f32 v28, v28, v40, v41
v_med3_f32 v29, v29, v40, v41
v_cvt_pk_fp8_f32 v30, v28, v29
	;;#ASMEND
	;; [unrolled: 8-line block ×6, first 2 shown]
	;;#ASMSTART
	v_pk_mul_f32 v[18:19], v[18:19], v[42:43]
	;;#ASMEND
	s_addc_u32 s27, s17, s27
	v_perm_b32 v28, v30, v44, s43
	;;#ASMSTART
	v_med3_f32 v18, v18, v40, v41
v_med3_f32 v19, v19, v40, v41
v_cvt_pk_fp8_f32 v20, v18, v19
	;;#ASMEND
	;;#ASMSTART
	v_pk_mul_f32 v[16:17], v[16:17], v[42:43]
	;;#ASMEND
	s_and_b32 s37, s27, 0xffff
	s_mov_b32 s39, s31
	v_perm_b32 v28, v28, v30, s44
	v_perm_b32 v29, v29, v26, s45
	;; [unrolled: 1-line block ×3, first 2 shown]
	;;#ASMSTART
	v_med3_f32 v16, v16, v40, v41
v_med3_f32 v17, v17, v40, v41
v_cvt_pk_fp8_f32 v18, v16, v17
	;;#ASMEND
	v_perm_b32 v31, v20, v18, s45
	buffer_store_dwordx4 v[28:31], v37, s[36:39], 0 offen
	;;#ASMSTART
	s_nop 0
	;;#ASMEND
	s_branch .LBB83_22
.LBB83_35:
	s_endpgm
	.section	.rodata,"a",@progbits
	.p2align	6, 0x0
	.amdhsa_kernel _ZN5aiter36smooth_per_token_scaled_quant_kernelItDB8_Li256ELi16ELb0ELb1ELb0ELi1024EEEvPT0_PfPT_S4_PiS7_iiPKiiiiiiiii
		.amdhsa_group_segment_fixed_size 16
		.amdhsa_private_segment_fixed_size 0
		.amdhsa_kernarg_size 96
		.amdhsa_user_sgpr_count 6
		.amdhsa_user_sgpr_private_segment_buffer 1
		.amdhsa_user_sgpr_dispatch_ptr 0
		.amdhsa_user_sgpr_queue_ptr 0
		.amdhsa_user_sgpr_kernarg_segment_ptr 1
		.amdhsa_user_sgpr_dispatch_id 0
		.amdhsa_user_sgpr_flat_scratch_init 0
		.amdhsa_user_sgpr_kernarg_preload_length 0
		.amdhsa_user_sgpr_kernarg_preload_offset 0
		.amdhsa_user_sgpr_private_segment_size 0
		.amdhsa_uses_dynamic_stack 0
		.amdhsa_system_sgpr_private_segment_wavefront_offset 0
		.amdhsa_system_sgpr_workgroup_id_x 1
		.amdhsa_system_sgpr_workgroup_id_y 0
		.amdhsa_system_sgpr_workgroup_id_z 0
		.amdhsa_system_sgpr_workgroup_info 0
		.amdhsa_system_vgpr_workitem_id 0
		.amdhsa_next_free_vgpr 50
		.amdhsa_next_free_sgpr 46
		.amdhsa_accum_offset 52
		.amdhsa_reserve_vcc 1
		.amdhsa_reserve_flat_scratch 0
		.amdhsa_float_round_mode_32 0
		.amdhsa_float_round_mode_16_64 0
		.amdhsa_float_denorm_mode_32 3
		.amdhsa_float_denorm_mode_16_64 3
		.amdhsa_dx10_clamp 1
		.amdhsa_ieee_mode 1
		.amdhsa_fp16_overflow 0
		.amdhsa_tg_split 0
		.amdhsa_exception_fp_ieee_invalid_op 0
		.amdhsa_exception_fp_denorm_src 0
		.amdhsa_exception_fp_ieee_div_zero 0
		.amdhsa_exception_fp_ieee_overflow 0
		.amdhsa_exception_fp_ieee_underflow 0
		.amdhsa_exception_fp_ieee_inexact 0
		.amdhsa_exception_int_div_zero 0
	.end_amdhsa_kernel
	.section	.text._ZN5aiter36smooth_per_token_scaled_quant_kernelItDB8_Li256ELi16ELb0ELb1ELb0ELi1024EEEvPT0_PfPT_S4_PiS7_iiPKiiiiiiiii,"axG",@progbits,_ZN5aiter36smooth_per_token_scaled_quant_kernelItDB8_Li256ELi16ELb0ELb1ELb0ELi1024EEEvPT0_PfPT_S4_PiS7_iiPKiiiiiiiii,comdat
.Lfunc_end83:
	.size	_ZN5aiter36smooth_per_token_scaled_quant_kernelItDB8_Li256ELi16ELb0ELb1ELb0ELi1024EEEvPT0_PfPT_S4_PiS7_iiPKiiiiiiiii, .Lfunc_end83-_ZN5aiter36smooth_per_token_scaled_quant_kernelItDB8_Li256ELi16ELb0ELb1ELb0ELi1024EEEvPT0_PfPT_S4_PiS7_iiPKiiiiiiiii
                                        ; -- End function
	.section	.AMDGPU.csdata,"",@progbits
; Kernel info:
; codeLenInByte = 3072
; NumSgprs: 50
; NumVgprs: 50
; NumAgprs: 0
; TotalNumVgprs: 50
; ScratchSize: 0
; MemoryBound: 0
; FloatMode: 240
; IeeeMode: 1
; LDSByteSize: 16 bytes/workgroup (compile time only)
; SGPRBlocks: 6
; VGPRBlocks: 6
; NumSGPRsForWavesPerEU: 50
; NumVGPRsForWavesPerEU: 50
; AccumOffset: 52
; Occupancy: 8
; WaveLimiterHint : 0
; COMPUTE_PGM_RSRC2:SCRATCH_EN: 0
; COMPUTE_PGM_RSRC2:USER_SGPR: 6
; COMPUTE_PGM_RSRC2:TRAP_HANDLER: 0
; COMPUTE_PGM_RSRC2:TGID_X_EN: 1
; COMPUTE_PGM_RSRC2:TGID_Y_EN: 0
; COMPUTE_PGM_RSRC2:TGID_Z_EN: 0
; COMPUTE_PGM_RSRC2:TIDIG_COMP_CNT: 0
; COMPUTE_PGM_RSRC3_GFX90A:ACCUM_OFFSET: 12
; COMPUTE_PGM_RSRC3_GFX90A:TG_SPLIT: 0
	.section	.text._ZN5aiter36smooth_per_token_scaled_quant_kernelIDF16_DB8_Li256ELi16ELb0ELb0ELb0ELi1024EEEvPT0_PfPT_S4_PiS7_iiPKiiiiiiiii,"axG",@progbits,_ZN5aiter36smooth_per_token_scaled_quant_kernelIDF16_DB8_Li256ELi16ELb0ELb0ELb0ELi1024EEEvPT0_PfPT_S4_PiS7_iiPKiiiiiiiii,comdat
	.protected	_ZN5aiter36smooth_per_token_scaled_quant_kernelIDF16_DB8_Li256ELi16ELb0ELb0ELb0ELi1024EEEvPT0_PfPT_S4_PiS7_iiPKiiiiiiiii ; -- Begin function _ZN5aiter36smooth_per_token_scaled_quant_kernelIDF16_DB8_Li256ELi16ELb0ELb0ELb0ELi1024EEEvPT0_PfPT_S4_PiS7_iiPKiiiiiiiii
	.globl	_ZN5aiter36smooth_per_token_scaled_quant_kernelIDF16_DB8_Li256ELi16ELb0ELb0ELb0ELi1024EEEvPT0_PfPT_S4_PiS7_iiPKiiiiiiiii
	.p2align	8
	.type	_ZN5aiter36smooth_per_token_scaled_quant_kernelIDF16_DB8_Li256ELi16ELb0ELb0ELb0ELi1024EEEvPT0_PfPT_S4_PiS7_iiPKiiiiiiiii,@function
_ZN5aiter36smooth_per_token_scaled_quant_kernelIDF16_DB8_Li256ELi16ELb0ELb0ELb0ELi1024EEEvPT0_PfPT_S4_PiS7_iiPKiiiiiiiii: ; @_ZN5aiter36smooth_per_token_scaled_quant_kernelIDF16_DB8_Li256ELi16ELb0ELb0ELb0ELi1024EEEvPT0_PfPT_S4_PiS7_iiPKiiiiiiiii
; %bb.0:
	s_load_dwordx2 s[2:3], s[4:5], 0x38
	s_load_dwordx8 s[8:15], s[4:5], 0x40
	s_mov_b64 s[0:1], 0
	s_waitcnt lgkmcnt(0)
	s_cmp_lg_u64 s[2:3], 0
	s_cbranch_scc0 .LBB84_19
; %bb.1:
	s_load_dword s2, s[2:3], 0x0
	s_waitcnt lgkmcnt(0)
	s_mul_i32 s2, s2, s8
	s_andn2_b64 vcc, exec, s[0:1]
	s_cbranch_vccnz .LBB84_3
.LBB84_2:
	s_mul_i32 s2, s10, s9
.LBB84_3:
	s_load_dwordx2 s[8:9], s[4:5], 0x30
	s_abs_i32 s1, s2
	s_waitcnt lgkmcnt(0)
	s_abs_i32 s0, s8
	v_cvt_f32_u32_e32 v1, s0
	s_sub_i32 s7, 0, s0
	s_xor_b32 s3, s2, s8
	s_ashr_i32 s3, s3, 31
	v_rcp_iflag_f32_e32 v1, v1
	v_mul_f32_e32 v1, 0x4f7ffffe, v1
	v_cvt_u32_f32_e32 v1, v1
	v_readfirstlane_b32 s15, v1
	s_mul_i32 s7, s7, s15
	s_mul_hi_u32 s7, s15, s7
	s_add_i32 s15, s15, s7
	s_mul_hi_u32 s7, s1, s15
	s_mul_i32 s15, s7, s0
	s_sub_i32 s1, s1, s15
	s_add_i32 s16, s7, 1
	s_sub_i32 s15, s1, s0
	s_cmp_ge_u32 s1, s0
	s_cselect_b32 s7, s16, s7
	s_cselect_b32 s1, s15, s1
	s_add_i32 s15, s7, 1
	s_cmp_ge_u32 s1, s0
	s_cselect_b32 s0, s15, s7
	s_xor_b32 s0, s0, s3
	s_sub_i32 s7, s0, s3
	s_mul_i32 s0, s7, s8
	s_sub_i32 s2, s2, s0
	s_cmp_lt_u32 s6, s2
	s_cselect_b64 s[0:1], -1, 0
	s_add_i32 s8, s7, 1
	s_cmp_ge_u32 s6, s2
	s_cbranch_scc0 .LBB84_5
; %bb.4:
	s_mul_i32 s3, s2, s8
	s_sub_i32 s2, s6, s2
	s_mul_i32 s2, s2, s7
	s_add_i32 s15, s2, s3
	s_cbranch_execz .LBB84_6
	s_branch .LBB84_7
.LBB84_5:
                                        ; implicit-def: $sgpr15
.LBB84_6:
	s_mul_i32 s15, s8, s6
.LBB84_7:
	v_cndmask_b32_e64 v1, 0, 1, s[0:1]
	v_readfirstlane_b32 s0, v1
	s_add_i32 s33, s7, s0
	s_cmp_lt_i32 s33, 1
	s_cbranch_scc1 .LBB84_18
; %bb.8:
	v_and_b32_e32 v1, 63, v0
	v_cmp_eq_u32_e32 vcc, 63, v1
	v_lshrrev_b32_e32 v1, 4, v0
	v_and_b32_e32 v74, 60, v1
	v_and_b32_e32 v1, 3, v0
	s_abs_i32 s35, s10
	v_lshlrev_b32_e32 v75, 2, v1
	v_cvt_f32_u32_e32 v1, s35
	s_add_i32 s2, s9, 15
	s_ashr_i32 s3, s2, 31
	s_load_dwordx8 s[16:23], s[4:5], 0x0
	v_rcp_iflag_f32_e32 v1, v1
	s_lshr_b32 s3, s3, 28
	s_add_i32 s4, s9, 3
	s_add_i32 s2, s2, s3
	v_mul_f32_e32 v1, 0x4f7ffffe, v1
	v_cvt_u32_f32_e32 v1, v1
	s_ashr_i32 s5, s4, 31
	s_ashr_i32 s2, s2, 4
	s_lshr_b32 s5, s5, 30
	v_lshlrev_b32_e32 v72, 5, v0
	v_lshlrev_b32_e32 v73, 6, v0
	v_cmp_eq_u32_e64 s[0:1], 0, v0
	v_cmp_gt_u32_e64 s[2:3], s2, v0
	s_add_i32 s4, s4, s5
	v_lshlrev_b32_e32 v76, 4, v0
	v_readfirstlane_b32 s5, v1
                                        ; implicit-def: $vgpr0_vgpr1_vgpr2_vgpr3_vgpr4_vgpr5_vgpr6_vgpr7_vgpr8_vgpr9_vgpr10_vgpr11_vgpr12_vgpr13_vgpr14_vgpr15
                                        ; implicit-def: $vgpr4_vgpr5_vgpr6_vgpr7_vgpr8_vgpr9_vgpr10_vgpr11_vgpr12_vgpr13_vgpr14_vgpr15_vgpr16_vgpr17_vgpr18_vgpr19
	s_and_b32 s30, s4, -4
	s_sub_i32 s4, 0, s35
                                        ; implicit-def: $vgpr10_vgpr11_vgpr12_vgpr13_vgpr14_vgpr15_vgpr16_vgpr17_vgpr18_vgpr19_vgpr20_vgpr21_vgpr22_vgpr23_vgpr24_vgpr25
	s_mul_i32 s4, s4, s5
                                        ; implicit-def: $vgpr18_vgpr19_vgpr20_vgpr21_vgpr22_vgpr23_vgpr24_vgpr25_vgpr26_vgpr27_vgpr28_vgpr29_vgpr30_vgpr31_vgpr32_vgpr33
	s_mov_b32 s7, 0x20000
	s_waitcnt lgkmcnt(0)
	s_and_b32 s23, s23, 0xffff
	s_mul_hi_u32 s4, s5, s4
                                        ; implicit-def: $vgpr28_vgpr29_vgpr30_vgpr31_vgpr32_vgpr33_vgpr34_vgpr35_vgpr36_vgpr37_vgpr38_vgpr39_vgpr40_vgpr41_vgpr42_vgpr43
	s_mov_b32 s34, s9
	s_lshl_b32 s6, s9, 1
	s_lshl_b32 s26, s9, 2
	s_mov_b32 s27, s7
	s_ashr_i32 s36, s10, 31
	s_add_i32 s37, s5, s4
	s_mov_b32 s40, -1
	s_mov_b32 s24, s22
	s_mov_b32 s25, s23
	;; [unrolled: 1-line block ×3, first 2 shown]
	v_mov_b32_e32 v77, 0
	v_mov_b32_e32 v78, 0xc3e00000
	;; [unrolled: 1-line block ×3, first 2 shown]
	s_mov_b32 s23, 0x5040100
	s_mov_b32 s38, 0x1060504
	s_mov_b32 s39, 0x1000504
                                        ; implicit-def: $vgpr40_vgpr41_vgpr42_vgpr43_vgpr44_vgpr45_vgpr46_vgpr47_vgpr48_vgpr49_vgpr50_vgpr51_vgpr52_vgpr53_vgpr54_vgpr55
                                        ; implicit-def: $vgpr70
                                        ; implicit-def: $vgpr54_vgpr55_vgpr56_vgpr57_vgpr58_vgpr59_vgpr60_vgpr61_vgpr62_vgpr63_vgpr64_vgpr65_vgpr66_vgpr67_vgpr68_vgpr69
	s_branch .LBB84_10
.LBB84_9:                               ;   in Loop: Header=BB84_10 Depth=1
	s_or_b64 exec, exec, s[4:5]
	s_add_i32 s33, s33, -1
	s_add_i32 s15, s15, 1
	s_cmp_eq_u32 s33, 0
	s_cbranch_scc1 .LBB84_18
.LBB84_10:                              ; =>This Inner Loop Header: Depth=1
	s_abs_i32 s5, s15
	s_mul_hi_u32 s8, s5, s37
	s_mul_i32 s9, s8, s35
	s_ashr_i32 s4, s15, 31
	s_sub_i32 s5, s5, s9
	s_xor_b32 s4, s4, s36
	s_add_i32 s9, s8, 1
	s_sub_i32 s28, s5, s35
	s_cmp_ge_u32 s5, s35
	s_cselect_b32 s8, s9, s8
	s_cselect_b32 s5, s28, s5
	s_add_i32 s9, s8, 1
	s_cmp_ge_u32 s5, s35
	s_cselect_b32 s5, s9, s8
	s_xor_b32 s5, s5, s4
	s_sub_i32 s28, s5, s4
	s_mul_i32 s4, s28, s10
	s_sub_i32 s29, s15, s4
	s_mul_i32 s8, s29, s12
	s_mul_i32 s4, s28, s11
	s_add_i32 s8, s8, s4
	s_cmp_eq_u32 s8, s40
	s_cbranch_scc1 .LBB84_12
; %bb.11:                               ;   in Loop: Header=BB84_10 Depth=1
	s_mul_hi_i32 s5, s8, s34
	s_mul_i32 s4, s8, s34
	s_lshl_b64 s[4:5], s[4:5], 1
	s_add_u32 s4, s20, s4
	s_addc_u32 s5, s21, s5
	s_and_b32 s5, s5, 0xffff
	buffer_load_dwordx4 v[2:5], v72, s[4:7], 0 offen
	buffer_load_dwordx4 v[10:13], v72, s[4:7], 16 offen
	s_mov_b32 s40, s8
	s_waitcnt vmcnt(1)
	v_cvt_f32_f16_e32 v70, v2
	v_cvt_f32_f16_sdwa v71, v2 dst_sel:DWORD dst_unused:UNUSED_PAD src0_sel:WORD_1
	v_cvt_f32_f16_e32 v2, v3
	v_cvt_f32_f16_sdwa v3, v3 dst_sel:DWORD dst_unused:UNUSED_PAD src0_sel:WORD_1
	v_cvt_f32_f16_e32 v8, v4
	v_cvt_f32_f16_sdwa v9, v4 dst_sel:DWORD dst_unused:UNUSED_PAD src0_sel:WORD_1
	v_cvt_f32_f16_e32 v16, v5
	v_cvt_f32_f16_sdwa v17, v5 dst_sel:DWORD dst_unused:UNUSED_PAD src0_sel:WORD_1
	s_waitcnt vmcnt(0)
	v_cvt_f32_f16_e32 v26, v10
	v_cvt_f32_f16_sdwa v27, v10 dst_sel:DWORD dst_unused:UNUSED_PAD src0_sel:WORD_1
	v_cvt_f32_f16_e32 v38, v11
	v_cvt_f32_f16_sdwa v39, v11 dst_sel:DWORD dst_unused:UNUSED_PAD src0_sel:WORD_1
	;; [unrolled: 2-line block ×4, first 2 shown]
.LBB84_12:                              ;   in Loop: Header=BB84_10 Depth=1
	buffer_load_dwordx4 v[4:7], v73, s[24:27], 0 offen
	buffer_load_dwordx4 v[10:13], v73, s[24:27], 16 offen
	s_waitcnt vmcnt(1)
	v_pk_mul_f32 v[20:21], v[70:71], v[4:5]
	v_pk_mul_f32 v[18:19], v[2:3], v[6:7]
	buffer_load_dwordx4 v[4:7], v73, s[24:27], 32 offen
	buffer_load_dwordx4 v[22:25], v73, s[24:27], 48 offen
	s_waitcnt vmcnt(2)
	v_pk_mul_f32 v[14:15], v[8:9], v[10:11]
	v_pk_mul_f32 v[12:13], v[16:17], v[12:13]
	s_waitcnt vmcnt(1)
	v_pk_mul_f32 v[10:11], v[26:27], v[4:5]
	s_waitcnt vmcnt(0)
	v_pk_mul_f32 v[4:5], v[52:53], v[22:23]
	v_max3_f32 v22, |v20|, s22, |v21|
	v_max3_f32 v22, v22, |v18|, |v19|
	v_max3_f32 v22, v22, |v14|, |v15|
	v_max3_f32 v22, v22, |v12|, |v13|
	v_pk_mul_f32 v[6:7], v[38:39], v[6:7]
	v_max3_f32 v22, v22, |v10|, |v11|
	v_max3_f32 v22, v22, |v6|, |v7|
	v_pk_mul_f32 v[0:1], v[68:69], v[24:25]
	v_max3_f32 v22, v22, |v4|, |v5|
	v_max3_f32 v22, v22, |v0|, |v1|
	s_nop 1
	v_mov_b32_dpp v23, v22 quad_perm:[1,0,3,2] row_mask:0xf bank_mask:0xf
	v_cmp_gt_f32_e64 s[4:5], v22, v23
	v_cndmask_b32_e64 v22, v23, v22, s[4:5]
	s_nop 1
	v_mov_b32_dpp v23, v22 quad_perm:[2,3,0,1] row_mask:0xf bank_mask:0xf
	v_cmp_gt_f32_e64 s[4:5], v22, v23
	v_cndmask_b32_e64 v22, v23, v22, s[4:5]
	s_nop 1
	v_mov_b32_dpp v23, v22 row_half_mirror row_mask:0xf bank_mask:0xf
	v_cmp_gt_f32_e64 s[4:5], v22, v23
	v_cndmask_b32_e64 v22, v23, v22, s[4:5]
	s_nop 1
	v_mov_b32_dpp v23, v22 row_mirror row_mask:0xf bank_mask:0xf
	v_cmp_gt_f32_e64 s[4:5], v22, v23
	v_cndmask_b32_e64 v22, v23, v22, s[4:5]
	s_nop 1
	v_mov_b32_dpp v23, v22 row_bcast:15 row_mask:0xf bank_mask:0xf
	v_cmp_gt_f32_e64 s[4:5], v22, v23
	v_cndmask_b32_e64 v22, v23, v22, s[4:5]
	s_nop 1
	v_mov_b32_dpp v23, v22 row_bcast:31 row_mask:0xf bank_mask:0xf
	s_and_saveexec_b64 s[8:9], vcc
	s_cbranch_execz .LBB84_14
; %bb.13:                               ;   in Loop: Header=BB84_10 Depth=1
	v_cmp_gt_f32_e64 s[4:5], v22, v23
	v_cndmask_b32_e64 v22, v23, v22, s[4:5]
	ds_write_b32 v74, v22
.LBB84_14:                              ;   in Loop: Header=BB84_10 Depth=1
	s_or_b64 exec, exec, s[8:9]
	s_waitcnt lgkmcnt(0)
	s_barrier
	ds_read_b32 v22, v75
	s_mul_i32 s28, s28, s13
	s_waitcnt lgkmcnt(0)
	v_mov_b32_dpp v23, v22 quad_perm:[1,0,3,2] row_mask:0xf bank_mask:0xf
	v_cmp_gt_f32_e64 s[4:5], v22, v23
	v_cndmask_b32_e64 v22, v23, v22, s[4:5]
	s_nop 1
	v_mov_b32_dpp v23, v22 quad_perm:[2,3,0,1] row_mask:0xf bank_mask:0xf
	v_cmp_gt_f32_e64 s[4:5], v22, v23
	v_cndmask_b32_e64 v22, v23, v22, s[4:5]
	s_mul_i32 s4, s29, s14
	v_mul_f32_e32 v22, 0x3b124925, v22
	s_add_i32 s8, s4, s28
	s_and_saveexec_b64 s[4:5], s[0:1]
	s_cbranch_execz .LBB84_16
; %bb.15:                               ;   in Loop: Header=BB84_10 Depth=1
	s_ashr_i32 s9, s8, 31
	s_lshl_b64 s[28:29], s[8:9], 2
	s_add_u32 s28, s18, s28
	s_addc_u32 s29, s19, s29
	global_store_dword v77, v22, s[28:29]
.LBB84_16:                              ;   in Loop: Header=BB84_10 Depth=1
	s_or_b64 exec, exec, s[4:5]
	s_and_saveexec_b64 s[4:5], s[2:3]
	s_cbranch_execz .LBB84_9
; %bb.17:                               ;   in Loop: Header=BB84_10 Depth=1
	v_rcp_f32_e32 v22, v22
	s_mul_hi_i32 s9, s8, s34
	s_mul_i32 s8, s8, s34
	s_add_u32 s28, s16, s8
	v_mov_b32_e32 v23, v22
	;;#ASMSTART
	v_pk_mul_f32 v[20:21], v[20:21], v[22:23]
	;;#ASMEND
	;;#ASMSTART
	v_med3_f32 v20, v20, v78, v79
v_med3_f32 v21, v21, v78, v79
v_cvt_pk_fp8_f32 v24, v20, v21
	;;#ASMEND
	;;#ASMSTART
	v_pk_mul_f32 v[18:19], v[18:19], v[22:23]
	;;#ASMEND
	;;#ASMSTART
	v_med3_f32 v18, v18, v78, v79
v_med3_f32 v19, v19, v78, v79
v_cvt_pk_fp8_f32 v20, v18, v19
	;;#ASMEND
	;; [unrolled: 8-line block ×6, first 2 shown]
	;;#ASMSTART
	v_pk_mul_f32 v[4:5], v[4:5], v[22:23]
	;;#ASMEND
	s_addc_u32 s8, s17, s9
	v_perm_b32 v18, v20, v24, s23
	;;#ASMSTART
	v_med3_f32 v4, v4, v78, v79
v_med3_f32 v5, v5, v78, v79
v_cvt_pk_fp8_f32 v6, v4, v5
	;;#ASMEND
	;;#ASMSTART
	v_pk_mul_f32 v[0:1], v[0:1], v[22:23]
	;;#ASMEND
	s_and_b32 s29, s8, 0xffff
	s_mov_b32 s31, s7
	v_perm_b32 v18, v18, v20, s38
	v_perm_b32 v19, v19, v14, s39
	;; [unrolled: 1-line block ×3, first 2 shown]
	;;#ASMSTART
	v_med3_f32 v0, v0, v78, v79
v_med3_f32 v1, v1, v78, v79
v_cvt_pk_fp8_f32 v4, v0, v1
	;;#ASMEND
	v_perm_b32 v21, v6, v4, s39
	buffer_store_dwordx4 v[18:21], v76, s[28:31], 0 offen
	;;#ASMSTART
	s_nop 0
	;;#ASMEND
	s_branch .LBB84_9
.LBB84_18:
	s_endpgm
.LBB84_19:
                                        ; implicit-def: $sgpr2
	s_branch .LBB84_2
	.section	.rodata,"a",@progbits
	.p2align	6, 0x0
	.amdhsa_kernel _ZN5aiter36smooth_per_token_scaled_quant_kernelIDF16_DB8_Li256ELi16ELb0ELb0ELb0ELi1024EEEvPT0_PfPT_S4_PiS7_iiPKiiiiiiiii
		.amdhsa_group_segment_fixed_size 16
		.amdhsa_private_segment_fixed_size 0
		.amdhsa_kernarg_size 96
		.amdhsa_user_sgpr_count 6
		.amdhsa_user_sgpr_private_segment_buffer 1
		.amdhsa_user_sgpr_dispatch_ptr 0
		.amdhsa_user_sgpr_queue_ptr 0
		.amdhsa_user_sgpr_kernarg_segment_ptr 1
		.amdhsa_user_sgpr_dispatch_id 0
		.amdhsa_user_sgpr_flat_scratch_init 0
		.amdhsa_user_sgpr_kernarg_preload_length 0
		.amdhsa_user_sgpr_kernarg_preload_offset 0
		.amdhsa_user_sgpr_private_segment_size 0
		.amdhsa_uses_dynamic_stack 0
		.amdhsa_system_sgpr_private_segment_wavefront_offset 0
		.amdhsa_system_sgpr_workgroup_id_x 1
		.amdhsa_system_sgpr_workgroup_id_y 0
		.amdhsa_system_sgpr_workgroup_id_z 0
		.amdhsa_system_sgpr_workgroup_info 0
		.amdhsa_system_vgpr_workitem_id 0
		.amdhsa_next_free_vgpr 80
		.amdhsa_next_free_sgpr 41
		.amdhsa_accum_offset 80
		.amdhsa_reserve_vcc 1
		.amdhsa_reserve_flat_scratch 0
		.amdhsa_float_round_mode_32 0
		.amdhsa_float_round_mode_16_64 0
		.amdhsa_float_denorm_mode_32 3
		.amdhsa_float_denorm_mode_16_64 3
		.amdhsa_dx10_clamp 1
		.amdhsa_ieee_mode 1
		.amdhsa_fp16_overflow 0
		.amdhsa_tg_split 0
		.amdhsa_exception_fp_ieee_invalid_op 0
		.amdhsa_exception_fp_denorm_src 0
		.amdhsa_exception_fp_ieee_div_zero 0
		.amdhsa_exception_fp_ieee_overflow 0
		.amdhsa_exception_fp_ieee_underflow 0
		.amdhsa_exception_fp_ieee_inexact 0
		.amdhsa_exception_int_div_zero 0
	.end_amdhsa_kernel
	.section	.text._ZN5aiter36smooth_per_token_scaled_quant_kernelIDF16_DB8_Li256ELi16ELb0ELb0ELb0ELi1024EEEvPT0_PfPT_S4_PiS7_iiPKiiiiiiiii,"axG",@progbits,_ZN5aiter36smooth_per_token_scaled_quant_kernelIDF16_DB8_Li256ELi16ELb0ELb0ELb0ELi1024EEEvPT0_PfPT_S4_PiS7_iiPKiiiiiiiii,comdat
.Lfunc_end84:
	.size	_ZN5aiter36smooth_per_token_scaled_quant_kernelIDF16_DB8_Li256ELi16ELb0ELb0ELb0ELi1024EEEvPT0_PfPT_S4_PiS7_iiPKiiiiiiiii, .Lfunc_end84-_ZN5aiter36smooth_per_token_scaled_quant_kernelIDF16_DB8_Li256ELi16ELb0ELb0ELb0ELi1024EEEvPT0_PfPT_S4_PiS7_iiPKiiiiiiiii
                                        ; -- End function
	.section	.AMDGPU.csdata,"",@progbits
; Kernel info:
; codeLenInByte = 1636
; NumSgprs: 45
; NumVgprs: 80
; NumAgprs: 0
; TotalNumVgprs: 80
; ScratchSize: 0
; MemoryBound: 0
; FloatMode: 240
; IeeeMode: 1
; LDSByteSize: 16 bytes/workgroup (compile time only)
; SGPRBlocks: 5
; VGPRBlocks: 9
; NumSGPRsForWavesPerEU: 45
; NumVGPRsForWavesPerEU: 80
; AccumOffset: 80
; Occupancy: 6
; WaveLimiterHint : 0
; COMPUTE_PGM_RSRC2:SCRATCH_EN: 0
; COMPUTE_PGM_RSRC2:USER_SGPR: 6
; COMPUTE_PGM_RSRC2:TRAP_HANDLER: 0
; COMPUTE_PGM_RSRC2:TGID_X_EN: 1
; COMPUTE_PGM_RSRC2:TGID_Y_EN: 0
; COMPUTE_PGM_RSRC2:TGID_Z_EN: 0
; COMPUTE_PGM_RSRC2:TIDIG_COMP_CNT: 0
; COMPUTE_PGM_RSRC3_GFX90A:ACCUM_OFFSET: 19
; COMPUTE_PGM_RSRC3_GFX90A:TG_SPLIT: 0
	.section	.text._ZN5aiter36smooth_per_token_scaled_quant_kernelItDB8_Li256ELi16ELb0ELb0ELb0ELi1024EEEvPT0_PfPT_S4_PiS7_iiPKiiiiiiiii,"axG",@progbits,_ZN5aiter36smooth_per_token_scaled_quant_kernelItDB8_Li256ELi16ELb0ELb0ELb0ELi1024EEEvPT0_PfPT_S4_PiS7_iiPKiiiiiiiii,comdat
	.protected	_ZN5aiter36smooth_per_token_scaled_quant_kernelItDB8_Li256ELi16ELb0ELb0ELb0ELi1024EEEvPT0_PfPT_S4_PiS7_iiPKiiiiiiiii ; -- Begin function _ZN5aiter36smooth_per_token_scaled_quant_kernelItDB8_Li256ELi16ELb0ELb0ELb0ELi1024EEEvPT0_PfPT_S4_PiS7_iiPKiiiiiiiii
	.globl	_ZN5aiter36smooth_per_token_scaled_quant_kernelItDB8_Li256ELi16ELb0ELb0ELb0ELi1024EEEvPT0_PfPT_S4_PiS7_iiPKiiiiiiiii
	.p2align	8
	.type	_ZN5aiter36smooth_per_token_scaled_quant_kernelItDB8_Li256ELi16ELb0ELb0ELb0ELi1024EEEvPT0_PfPT_S4_PiS7_iiPKiiiiiiiii,@function
_ZN5aiter36smooth_per_token_scaled_quant_kernelItDB8_Li256ELi16ELb0ELb0ELb0ELi1024EEEvPT0_PfPT_S4_PiS7_iiPKiiiiiiiii: ; @_ZN5aiter36smooth_per_token_scaled_quant_kernelItDB8_Li256ELi16ELb0ELb0ELb0ELi1024EEEvPT0_PfPT_S4_PiS7_iiPKiiiiiiiii
; %bb.0:
	s_load_dwordx2 s[2:3], s[4:5], 0x38
	s_load_dwordx8 s[8:15], s[4:5], 0x40
	s_mov_b64 s[0:1], 0
	s_waitcnt lgkmcnt(0)
	s_cmp_lg_u64 s[2:3], 0
	s_cbranch_scc0 .LBB85_19
; %bb.1:
	s_load_dword s2, s[2:3], 0x0
	s_waitcnt lgkmcnt(0)
	s_mul_i32 s2, s2, s8
	s_andn2_b64 vcc, exec, s[0:1]
	s_cbranch_vccnz .LBB85_3
.LBB85_2:
	s_mul_i32 s2, s10, s9
.LBB85_3:
	s_load_dwordx2 s[8:9], s[4:5], 0x30
	s_abs_i32 s1, s2
	s_waitcnt lgkmcnt(0)
	s_abs_i32 s0, s8
	v_cvt_f32_u32_e32 v1, s0
	s_sub_i32 s7, 0, s0
	s_xor_b32 s3, s2, s8
	s_ashr_i32 s3, s3, 31
	v_rcp_iflag_f32_e32 v1, v1
	v_mul_f32_e32 v1, 0x4f7ffffe, v1
	v_cvt_u32_f32_e32 v1, v1
	v_readfirstlane_b32 s15, v1
	s_mul_i32 s7, s7, s15
	s_mul_hi_u32 s7, s15, s7
	s_add_i32 s15, s15, s7
	s_mul_hi_u32 s7, s1, s15
	s_mul_i32 s15, s7, s0
	s_sub_i32 s1, s1, s15
	s_add_i32 s16, s7, 1
	s_sub_i32 s15, s1, s0
	s_cmp_ge_u32 s1, s0
	s_cselect_b32 s7, s16, s7
	s_cselect_b32 s1, s15, s1
	s_add_i32 s15, s7, 1
	s_cmp_ge_u32 s1, s0
	s_cselect_b32 s0, s15, s7
	s_xor_b32 s0, s0, s3
	s_sub_i32 s7, s0, s3
	s_mul_i32 s0, s7, s8
	s_sub_i32 s2, s2, s0
	s_cmp_lt_u32 s6, s2
	s_cselect_b64 s[0:1], -1, 0
	s_add_i32 s8, s7, 1
	s_cmp_ge_u32 s6, s2
	s_cbranch_scc0 .LBB85_5
; %bb.4:
	s_mul_i32 s3, s2, s8
	s_sub_i32 s2, s6, s2
	s_mul_i32 s2, s2, s7
	s_add_i32 s15, s2, s3
	s_cbranch_execz .LBB85_6
	s_branch .LBB85_7
.LBB85_5:
                                        ; implicit-def: $sgpr15
.LBB85_6:
	s_mul_i32 s15, s8, s6
.LBB85_7:
	v_cndmask_b32_e64 v1, 0, 1, s[0:1]
	v_readfirstlane_b32 s0, v1
	s_add_i32 s33, s7, s0
	s_cmp_lt_i32 s33, 1
	s_cbranch_scc1 .LBB85_18
; %bb.8:
	v_and_b32_e32 v1, 63, v0
	v_cmp_eq_u32_e32 vcc, 63, v1
	v_lshrrev_b32_e32 v1, 4, v0
	v_and_b32_e32 v74, 60, v1
	v_and_b32_e32 v1, 3, v0
	s_abs_i32 s35, s10
	v_lshlrev_b32_e32 v75, 2, v1
	v_cvt_f32_u32_e32 v1, s35
	s_add_i32 s2, s9, 15
	s_ashr_i32 s3, s2, 31
	s_load_dwordx8 s[16:23], s[4:5], 0x0
	v_rcp_iflag_f32_e32 v1, v1
	s_lshr_b32 s3, s3, 28
	s_add_i32 s4, s9, 3
	s_add_i32 s2, s2, s3
	v_mul_f32_e32 v1, 0x4f7ffffe, v1
	v_cvt_u32_f32_e32 v1, v1
	s_ashr_i32 s5, s4, 31
	s_ashr_i32 s2, s2, 4
	s_lshr_b32 s5, s5, 30
	v_lshlrev_b32_e32 v72, 5, v0
	v_lshlrev_b32_e32 v73, 6, v0
	v_cmp_eq_u32_e64 s[0:1], 0, v0
	v_cmp_gt_u32_e64 s[2:3], s2, v0
	s_add_i32 s4, s4, s5
	v_lshlrev_b32_e32 v76, 4, v0
	v_readfirstlane_b32 s5, v1
                                        ; implicit-def: $vgpr0_vgpr1_vgpr2_vgpr3_vgpr4_vgpr5_vgpr6_vgpr7_vgpr8_vgpr9_vgpr10_vgpr11_vgpr12_vgpr13_vgpr14_vgpr15
                                        ; implicit-def: $vgpr4_vgpr5_vgpr6_vgpr7_vgpr8_vgpr9_vgpr10_vgpr11_vgpr12_vgpr13_vgpr14_vgpr15_vgpr16_vgpr17_vgpr18_vgpr19
	s_and_b32 s30, s4, -4
	s_sub_i32 s4, 0, s35
                                        ; implicit-def: $vgpr10_vgpr11_vgpr12_vgpr13_vgpr14_vgpr15_vgpr16_vgpr17_vgpr18_vgpr19_vgpr20_vgpr21_vgpr22_vgpr23_vgpr24_vgpr25
	s_mul_i32 s4, s4, s5
                                        ; implicit-def: $vgpr18_vgpr19_vgpr20_vgpr21_vgpr22_vgpr23_vgpr24_vgpr25_vgpr26_vgpr27_vgpr28_vgpr29_vgpr30_vgpr31_vgpr32_vgpr33
	s_mov_b32 s7, 0x20000
	s_waitcnt lgkmcnt(0)
	s_and_b32 s23, s23, 0xffff
	s_mul_hi_u32 s4, s5, s4
                                        ; implicit-def: $vgpr28_vgpr29_vgpr30_vgpr31_vgpr32_vgpr33_vgpr34_vgpr35_vgpr36_vgpr37_vgpr38_vgpr39_vgpr40_vgpr41_vgpr42_vgpr43
	s_mov_b32 s34, s9
	s_lshl_b32 s6, s9, 1
	s_lshl_b32 s26, s9, 2
	s_mov_b32 s27, s7
	s_ashr_i32 s36, s10, 31
	s_add_i32 s37, s5, s4
	s_mov_b32 s40, -1
	s_mov_b32 s24, s22
	s_mov_b32 s25, s23
	;; [unrolled: 1-line block ×3, first 2 shown]
	v_mov_b32_e32 v77, 0
	v_mov_b32_e32 v78, 0xc3e00000
	;; [unrolled: 1-line block ×3, first 2 shown]
	s_mov_b32 s23, 0x5040100
	s_mov_b32 s38, 0x1060504
	;; [unrolled: 1-line block ×3, first 2 shown]
                                        ; implicit-def: $vgpr40_vgpr41_vgpr42_vgpr43_vgpr44_vgpr45_vgpr46_vgpr47_vgpr48_vgpr49_vgpr50_vgpr51_vgpr52_vgpr53_vgpr54_vgpr55
                                        ; implicit-def: $vgpr70
                                        ; implicit-def: $vgpr54_vgpr55_vgpr56_vgpr57_vgpr58_vgpr59_vgpr60_vgpr61_vgpr62_vgpr63_vgpr64_vgpr65_vgpr66_vgpr67_vgpr68_vgpr69
	s_branch .LBB85_10
.LBB85_9:                               ;   in Loop: Header=BB85_10 Depth=1
	s_or_b64 exec, exec, s[4:5]
	s_add_i32 s33, s33, -1
	s_add_i32 s15, s15, 1
	s_cmp_eq_u32 s33, 0
	s_cbranch_scc1 .LBB85_18
.LBB85_10:                              ; =>This Inner Loop Header: Depth=1
	s_abs_i32 s5, s15
	s_mul_hi_u32 s8, s5, s37
	s_mul_i32 s9, s8, s35
	s_ashr_i32 s4, s15, 31
	s_sub_i32 s5, s5, s9
	s_xor_b32 s4, s4, s36
	s_add_i32 s9, s8, 1
	s_sub_i32 s28, s5, s35
	s_cmp_ge_u32 s5, s35
	s_cselect_b32 s8, s9, s8
	s_cselect_b32 s5, s28, s5
	s_add_i32 s9, s8, 1
	s_cmp_ge_u32 s5, s35
	s_cselect_b32 s5, s9, s8
	s_xor_b32 s5, s5, s4
	s_sub_i32 s28, s5, s4
	s_mul_i32 s4, s28, s10
	s_sub_i32 s29, s15, s4
	s_mul_i32 s8, s29, s12
	s_mul_i32 s4, s28, s11
	s_add_i32 s8, s8, s4
	s_cmp_eq_u32 s8, s40
	s_cbranch_scc1 .LBB85_12
; %bb.11:                               ;   in Loop: Header=BB85_10 Depth=1
	s_mul_hi_i32 s5, s8, s34
	s_mul_i32 s4, s8, s34
	s_lshl_b64 s[4:5], s[4:5], 1
	s_add_u32 s4, s20, s4
	s_addc_u32 s5, s21, s5
	s_and_b32 s5, s5, 0xffff
	buffer_load_dwordx4 v[4:7], v72, s[4:7], 0 offen
	buffer_load_dwordx4 v[10:13], v72, s[4:7], 16 offen
	s_mov_b32 s40, s8
	s_waitcnt vmcnt(1)
	v_cvt_f32_u32_sdwa v71, v4 dst_sel:DWORD dst_unused:UNUSED_PAD src0_sel:WORD_1
	v_cvt_f32_u32_sdwa v70, v4 dst_sel:DWORD dst_unused:UNUSED_PAD src0_sel:WORD_0
	v_cvt_f32_u32_sdwa v3, v5 dst_sel:DWORD dst_unused:UNUSED_PAD src0_sel:WORD_1
	v_cvt_f32_u32_sdwa v2, v5 dst_sel:DWORD dst_unused:UNUSED_PAD src0_sel:WORD_0
	;; [unrolled: 2-line block ×4, first 2 shown]
	s_waitcnt vmcnt(0)
	v_cvt_f32_u32_sdwa v27, v10 dst_sel:DWORD dst_unused:UNUSED_PAD src0_sel:WORD_1
	v_cvt_f32_u32_sdwa v26, v10 dst_sel:DWORD dst_unused:UNUSED_PAD src0_sel:WORD_0
	v_cvt_f32_u32_sdwa v39, v11 dst_sel:DWORD dst_unused:UNUSED_PAD src0_sel:WORD_1
	v_cvt_f32_u32_sdwa v38, v11 dst_sel:DWORD dst_unused:UNUSED_PAD src0_sel:WORD_0
	v_cvt_f32_u32_sdwa v53, v12 dst_sel:DWORD dst_unused:UNUSED_PAD src0_sel:WORD_1
	v_cvt_f32_u32_sdwa v52, v12 dst_sel:DWORD dst_unused:UNUSED_PAD src0_sel:WORD_0
	v_cvt_f32_u32_sdwa v69, v13 dst_sel:DWORD dst_unused:UNUSED_PAD src0_sel:WORD_1
	v_cvt_f32_u32_sdwa v68, v13 dst_sel:DWORD dst_unused:UNUSED_PAD src0_sel:WORD_0
.LBB85_12:                              ;   in Loop: Header=BB85_10 Depth=1
	buffer_load_dwordx4 v[4:7], v73, s[24:27], 0 offen
	buffer_load_dwordx4 v[10:13], v73, s[24:27], 16 offen
	s_waitcnt vmcnt(1)
	v_pk_mul_f32 v[20:21], v[70:71], v[4:5]
	v_pk_mul_f32 v[18:19], v[2:3], v[6:7]
	buffer_load_dwordx4 v[4:7], v73, s[24:27], 32 offen
	buffer_load_dwordx4 v[22:25], v73, s[24:27], 48 offen
	s_waitcnt vmcnt(2)
	v_pk_mul_f32 v[14:15], v[8:9], v[10:11]
	v_pk_mul_f32 v[12:13], v[16:17], v[12:13]
	s_waitcnt vmcnt(1)
	v_pk_mul_f32 v[10:11], v[26:27], v[4:5]
	s_waitcnt vmcnt(0)
	v_pk_mul_f32 v[4:5], v[52:53], v[22:23]
	v_max3_f32 v22, |v20|, s22, |v21|
	v_max3_f32 v22, v22, |v18|, |v19|
	v_max3_f32 v22, v22, |v14|, |v15|
	;; [unrolled: 1-line block ×3, first 2 shown]
	v_pk_mul_f32 v[6:7], v[38:39], v[6:7]
	v_max3_f32 v22, v22, |v10|, |v11|
	v_max3_f32 v22, v22, |v6|, |v7|
	v_pk_mul_f32 v[0:1], v[68:69], v[24:25]
	v_max3_f32 v22, v22, |v4|, |v5|
	v_max3_f32 v22, v22, |v0|, |v1|
	s_nop 1
	v_mov_b32_dpp v23, v22 quad_perm:[1,0,3,2] row_mask:0xf bank_mask:0xf
	v_cmp_gt_f32_e64 s[4:5], v22, v23
	v_cndmask_b32_e64 v22, v23, v22, s[4:5]
	s_nop 1
	v_mov_b32_dpp v23, v22 quad_perm:[2,3,0,1] row_mask:0xf bank_mask:0xf
	v_cmp_gt_f32_e64 s[4:5], v22, v23
	v_cndmask_b32_e64 v22, v23, v22, s[4:5]
	s_nop 1
	v_mov_b32_dpp v23, v22 row_half_mirror row_mask:0xf bank_mask:0xf
	v_cmp_gt_f32_e64 s[4:5], v22, v23
	v_cndmask_b32_e64 v22, v23, v22, s[4:5]
	s_nop 1
	v_mov_b32_dpp v23, v22 row_mirror row_mask:0xf bank_mask:0xf
	v_cmp_gt_f32_e64 s[4:5], v22, v23
	v_cndmask_b32_e64 v22, v23, v22, s[4:5]
	s_nop 1
	v_mov_b32_dpp v23, v22 row_bcast:15 row_mask:0xf bank_mask:0xf
	v_cmp_gt_f32_e64 s[4:5], v22, v23
	v_cndmask_b32_e64 v22, v23, v22, s[4:5]
	s_nop 1
	v_mov_b32_dpp v23, v22 row_bcast:31 row_mask:0xf bank_mask:0xf
	s_and_saveexec_b64 s[8:9], vcc
	s_cbranch_execz .LBB85_14
; %bb.13:                               ;   in Loop: Header=BB85_10 Depth=1
	v_cmp_gt_f32_e64 s[4:5], v22, v23
	v_cndmask_b32_e64 v22, v23, v22, s[4:5]
	ds_write_b32 v74, v22
.LBB85_14:                              ;   in Loop: Header=BB85_10 Depth=1
	s_or_b64 exec, exec, s[8:9]
	s_waitcnt lgkmcnt(0)
	s_barrier
	ds_read_b32 v22, v75
	s_mul_i32 s28, s28, s13
	s_waitcnt lgkmcnt(0)
	v_mov_b32_dpp v23, v22 quad_perm:[1,0,3,2] row_mask:0xf bank_mask:0xf
	v_cmp_gt_f32_e64 s[4:5], v22, v23
	v_cndmask_b32_e64 v22, v23, v22, s[4:5]
	s_nop 1
	v_mov_b32_dpp v23, v22 quad_perm:[2,3,0,1] row_mask:0xf bank_mask:0xf
	v_cmp_gt_f32_e64 s[4:5], v22, v23
	v_cndmask_b32_e64 v22, v23, v22, s[4:5]
	s_mul_i32 s4, s29, s14
	v_mul_f32_e32 v22, 0x3b124925, v22
	s_add_i32 s8, s4, s28
	s_and_saveexec_b64 s[4:5], s[0:1]
	s_cbranch_execz .LBB85_16
; %bb.15:                               ;   in Loop: Header=BB85_10 Depth=1
	s_ashr_i32 s9, s8, 31
	s_lshl_b64 s[28:29], s[8:9], 2
	s_add_u32 s28, s18, s28
	s_addc_u32 s29, s19, s29
	global_store_dword v77, v22, s[28:29]
.LBB85_16:                              ;   in Loop: Header=BB85_10 Depth=1
	s_or_b64 exec, exec, s[4:5]
	s_and_saveexec_b64 s[4:5], s[2:3]
	s_cbranch_execz .LBB85_9
; %bb.17:                               ;   in Loop: Header=BB85_10 Depth=1
	v_rcp_f32_e32 v22, v22
	s_mul_hi_i32 s9, s8, s34
	s_mul_i32 s8, s8, s34
	s_add_u32 s28, s16, s8
	v_mov_b32_e32 v23, v22
	;;#ASMSTART
	v_pk_mul_f32 v[20:21], v[20:21], v[22:23]
	;;#ASMEND
	;;#ASMSTART
	v_med3_f32 v20, v20, v78, v79
v_med3_f32 v21, v21, v78, v79
v_cvt_pk_fp8_f32 v24, v20, v21
	;;#ASMEND
	;;#ASMSTART
	v_pk_mul_f32 v[18:19], v[18:19], v[22:23]
	;;#ASMEND
	;;#ASMSTART
	v_med3_f32 v18, v18, v78, v79
v_med3_f32 v19, v19, v78, v79
v_cvt_pk_fp8_f32 v20, v18, v19
	;;#ASMEND
	;; [unrolled: 8-line block ×6, first 2 shown]
	;;#ASMSTART
	v_pk_mul_f32 v[4:5], v[4:5], v[22:23]
	;;#ASMEND
	s_addc_u32 s8, s17, s9
	v_perm_b32 v18, v20, v24, s23
	;;#ASMSTART
	v_med3_f32 v4, v4, v78, v79
v_med3_f32 v5, v5, v78, v79
v_cvt_pk_fp8_f32 v6, v4, v5
	;;#ASMEND
	;;#ASMSTART
	v_pk_mul_f32 v[0:1], v[0:1], v[22:23]
	;;#ASMEND
	s_and_b32 s29, s8, 0xffff
	s_mov_b32 s31, s7
	v_perm_b32 v18, v18, v20, s38
	v_perm_b32 v19, v19, v14, s39
	v_perm_b32 v20, v12, v10, s39
	;;#ASMSTART
	v_med3_f32 v0, v0, v78, v79
v_med3_f32 v1, v1, v78, v79
v_cvt_pk_fp8_f32 v4, v0, v1
	;;#ASMEND
	v_perm_b32 v21, v6, v4, s39
	buffer_store_dwordx4 v[18:21], v76, s[28:31], 0 offen
	;;#ASMSTART
	s_nop 0
	;;#ASMEND
	s_branch .LBB85_9
.LBB85_18:
	s_endpgm
.LBB85_19:
                                        ; implicit-def: $sgpr2
	s_branch .LBB85_2
	.section	.rodata,"a",@progbits
	.p2align	6, 0x0
	.amdhsa_kernel _ZN5aiter36smooth_per_token_scaled_quant_kernelItDB8_Li256ELi16ELb0ELb0ELb0ELi1024EEEvPT0_PfPT_S4_PiS7_iiPKiiiiiiiii
		.amdhsa_group_segment_fixed_size 16
		.amdhsa_private_segment_fixed_size 0
		.amdhsa_kernarg_size 96
		.amdhsa_user_sgpr_count 6
		.amdhsa_user_sgpr_private_segment_buffer 1
		.amdhsa_user_sgpr_dispatch_ptr 0
		.amdhsa_user_sgpr_queue_ptr 0
		.amdhsa_user_sgpr_kernarg_segment_ptr 1
		.amdhsa_user_sgpr_dispatch_id 0
		.amdhsa_user_sgpr_flat_scratch_init 0
		.amdhsa_user_sgpr_kernarg_preload_length 0
		.amdhsa_user_sgpr_kernarg_preload_offset 0
		.amdhsa_user_sgpr_private_segment_size 0
		.amdhsa_uses_dynamic_stack 0
		.amdhsa_system_sgpr_private_segment_wavefront_offset 0
		.amdhsa_system_sgpr_workgroup_id_x 1
		.amdhsa_system_sgpr_workgroup_id_y 0
		.amdhsa_system_sgpr_workgroup_id_z 0
		.amdhsa_system_sgpr_workgroup_info 0
		.amdhsa_system_vgpr_workitem_id 0
		.amdhsa_next_free_vgpr 80
		.amdhsa_next_free_sgpr 41
		.amdhsa_accum_offset 80
		.amdhsa_reserve_vcc 1
		.amdhsa_reserve_flat_scratch 0
		.amdhsa_float_round_mode_32 0
		.amdhsa_float_round_mode_16_64 0
		.amdhsa_float_denorm_mode_32 3
		.amdhsa_float_denorm_mode_16_64 3
		.amdhsa_dx10_clamp 1
		.amdhsa_ieee_mode 1
		.amdhsa_fp16_overflow 0
		.amdhsa_tg_split 0
		.amdhsa_exception_fp_ieee_invalid_op 0
		.amdhsa_exception_fp_denorm_src 0
		.amdhsa_exception_fp_ieee_div_zero 0
		.amdhsa_exception_fp_ieee_overflow 0
		.amdhsa_exception_fp_ieee_underflow 0
		.amdhsa_exception_fp_ieee_inexact 0
		.amdhsa_exception_int_div_zero 0
	.end_amdhsa_kernel
	.section	.text._ZN5aiter36smooth_per_token_scaled_quant_kernelItDB8_Li256ELi16ELb0ELb0ELb0ELi1024EEEvPT0_PfPT_S4_PiS7_iiPKiiiiiiiii,"axG",@progbits,_ZN5aiter36smooth_per_token_scaled_quant_kernelItDB8_Li256ELi16ELb0ELb0ELb0ELi1024EEEvPT0_PfPT_S4_PiS7_iiPKiiiiiiiii,comdat
.Lfunc_end85:
	.size	_ZN5aiter36smooth_per_token_scaled_quant_kernelItDB8_Li256ELi16ELb0ELb0ELb0ELi1024EEEvPT0_PfPT_S4_PiS7_iiPKiiiiiiiii, .Lfunc_end85-_ZN5aiter36smooth_per_token_scaled_quant_kernelItDB8_Li256ELi16ELb0ELb0ELb0ELi1024EEEvPT0_PfPT_S4_PiS7_iiPKiiiiiiiii
                                        ; -- End function
	.section	.AMDGPU.csdata,"",@progbits
; Kernel info:
; codeLenInByte = 1668
; NumSgprs: 45
; NumVgprs: 80
; NumAgprs: 0
; TotalNumVgprs: 80
; ScratchSize: 0
; MemoryBound: 0
; FloatMode: 240
; IeeeMode: 1
; LDSByteSize: 16 bytes/workgroup (compile time only)
; SGPRBlocks: 5
; VGPRBlocks: 9
; NumSGPRsForWavesPerEU: 45
; NumVGPRsForWavesPerEU: 80
; AccumOffset: 80
; Occupancy: 6
; WaveLimiterHint : 0
; COMPUTE_PGM_RSRC2:SCRATCH_EN: 0
; COMPUTE_PGM_RSRC2:USER_SGPR: 6
; COMPUTE_PGM_RSRC2:TRAP_HANDLER: 0
; COMPUTE_PGM_RSRC2:TGID_X_EN: 1
; COMPUTE_PGM_RSRC2:TGID_Y_EN: 0
; COMPUTE_PGM_RSRC2:TGID_Z_EN: 0
; COMPUTE_PGM_RSRC2:TIDIG_COMP_CNT: 0
; COMPUTE_PGM_RSRC3_GFX90A:ACCUM_OFFSET: 19
; COMPUTE_PGM_RSRC3_GFX90A:TG_SPLIT: 0
	.section	.text._ZN5aiter36smooth_per_token_scaled_quant_kernelIDF16_DB8_Li512ELi16ELb1ELb1ELb1ELi1024EEEvPT0_PfPT_S4_PiS7_iiPKiiiiiiiii,"axG",@progbits,_ZN5aiter36smooth_per_token_scaled_quant_kernelIDF16_DB8_Li512ELi16ELb1ELb1ELb1ELi1024EEEvPT0_PfPT_S4_PiS7_iiPKiiiiiiiii,comdat
	.protected	_ZN5aiter36smooth_per_token_scaled_quant_kernelIDF16_DB8_Li512ELi16ELb1ELb1ELb1ELi1024EEEvPT0_PfPT_S4_PiS7_iiPKiiiiiiiii ; -- Begin function _ZN5aiter36smooth_per_token_scaled_quant_kernelIDF16_DB8_Li512ELi16ELb1ELb1ELb1ELi1024EEEvPT0_PfPT_S4_PiS7_iiPKiiiiiiiii
	.globl	_ZN5aiter36smooth_per_token_scaled_quant_kernelIDF16_DB8_Li512ELi16ELb1ELb1ELb1ELi1024EEEvPT0_PfPT_S4_PiS7_iiPKiiiiiiiii
	.p2align	8
	.type	_ZN5aiter36smooth_per_token_scaled_quant_kernelIDF16_DB8_Li512ELi16ELb1ELb1ELb1ELi1024EEEvPT0_PfPT_S4_PiS7_iiPKiiiiiiiii,@function
_ZN5aiter36smooth_per_token_scaled_quant_kernelIDF16_DB8_Li512ELi16ELb1ELb1ELb1ELi1024EEEvPT0_PfPT_S4_PiS7_iiPKiiiiiiiii: ; @_ZN5aiter36smooth_per_token_scaled_quant_kernelIDF16_DB8_Li512ELi16ELb1ELb1ELb1ELi1024EEEvPT0_PfPT_S4_PiS7_iiPKiiiiiiiii
; %bb.0:
	s_load_dwordx2 s[16:17], s[4:5], 0x38
	s_load_dwordx2 s[0:1], s[4:5], 0x28
	s_load_dwordx8 s[8:15], s[4:5], 0x40
	s_mov_b64 s[2:3], 0
	s_waitcnt lgkmcnt(0)
	s_cmp_lg_u64 s[16:17], 0
	s_cbranch_scc0 .LBB86_11
; %bb.1:
	s_load_dword s7, s[16:17], 0x0
	s_waitcnt lgkmcnt(0)
	s_mul_i32 s7, s7, s8
	s_andn2_b64 vcc, exec, s[2:3]
	s_cbranch_vccnz .LBB86_3
.LBB86_2:
	s_mul_i32 s7, s10, s9
.LBB86_3:
	s_load_dwordx2 s[34:35], s[4:5], 0x30
	v_and_b32_e32 v1, 0x3c0, v0
	v_lshlrev_b32_e32 v1, 2, v1
	s_lshl_b32 s2, s15, 2
	v_lshlrev_b32_e32 v2, 2, v0
	s_waitcnt lgkmcnt(0)
	s_abs_i32 s8, s34
	v_cvt_f32_u32_e32 v3, s8
	v_readfirstlane_b32 s15, v1
	v_add_u32_e32 v1, 0x800, v1
	s_and_b32 s1, s1, 0xffff
	v_rcp_iflag_f32_e32 v3, v3
	s_mov_b32 s3, 0x20000
	;;#ASMSTART
	s_mov_b32 m0 s15
	buffer_load_dword v2, s[0:3], 0 offen offset:0 lds
	
	;;#ASMEND
	v_readfirstlane_b32 s18, v1
	v_add_u32_e32 v1, 0x800, v2
	v_mul_f32_e32 v2, 0x4f7ffffe, v3
	v_cvt_u32_f32_e32 v2, v2
	s_sub_i32 s17, 0, s8
	s_abs_i32 s16, s7
	s_xor_b32 s15, s7, s34
	v_readfirstlane_b32 s19, v2
	s_mul_i32 s17, s17, s19
	s_mul_hi_u32 s17, s19, s17
	s_add_i32 s19, s19, s17
	s_mul_hi_u32 s17, s16, s19
	s_mul_i32 s19, s17, s8
	s_sub_i32 s16, s16, s19
	s_ashr_i32 s15, s15, 31
	s_add_i32 s19, s17, 1
	s_sub_i32 s20, s16, s8
	s_cmp_ge_u32 s16, s8
	s_cselect_b32 s17, s19, s17
	s_cselect_b32 s16, s20, s16
	s_add_i32 s19, s17, 1
	s_cmp_ge_u32 s16, s8
	s_cselect_b32 s8, s19, s17
	s_xor_b32 s8, s8, s15
	s_sub_i32 s8, s8, s15
	s_mul_i32 s15, s8, s34
	s_sub_i32 s15, s7, s15
	s_cmp_lt_u32 s6, s15
	;;#ASMSTART
	s_mov_b32 m0 s18
	buffer_load_dword v1, s[0:3], 0 offen offset:0 lds
	
	;;#ASMEND
	s_cselect_b64 s[16:17], -1, 0
	s_add_i32 s7, s8, 1
	s_cmp_ge_u32 s6, s15
	s_cbranch_scc0 .LBB86_5
; %bb.4:
	s_sub_i32 s1, s6, s15
	s_mul_i32 s0, s15, s7
	s_mul_i32 s1, s1, s8
	s_add_i32 s40, s1, s0
	s_cbranch_execz .LBB86_6
	s_branch .LBB86_7
.LBB86_5:
                                        ; implicit-def: $sgpr40
.LBB86_6:
	s_mul_i32 s40, s7, s6
.LBB86_7:
	v_cndmask_b32_e64 v1, 0, 1, s[16:17]
	v_readfirstlane_b32 s0, v1
	s_add_i32 s8, s8, s0
	s_cmp_lt_i32 s8, 1
	s_cbranch_scc1 .LBB86_35
; %bb.8:
	s_load_dwordx2 s[0:1], s[4:5], 0x20
	s_ashr_i32 s41, s40, 31
	s_lshl_b64 s[2:3], s[40:41], 2
	v_and_b32_e32 v1, 63, v0
	s_mov_b32 s27, 0x20000
	s_waitcnt lgkmcnt(0)
	s_add_u32 s24, s0, s2
	s_addc_u32 s0, s1, s3
	s_lshl_b32 s26, s8, 2
	s_and_b32 s25, s0, 0xffff
	v_lshlrev_b32_e32 v38, 2, v1
	buffer_load_dword v2, v38, s[24:27], 0 offen
	s_abs_i32 s34, s10
	v_cmp_eq_u32_e64 s[0:1], 63, v1
	v_cvt_f32_u32_e32 v1, s34
	s_add_i32 s2, s35, 15
	s_load_dwordx8 s[16:23], s[4:5], 0x0
	s_ashr_i32 s4, s2, 31
	v_rcp_iflag_f32_e32 v1, v1
	s_waitcnt vmcnt(0) lgkmcnt(0)
	s_barrier
	v_mul_f32_e32 v1, 0x4f7ffffe, v1
	v_cvt_u32_f32_e32 v1, v1
	s_add_i32 s3, s35, 3
	s_lshr_b32 s4, s4, 28
	s_ashr_i32 s5, s3, 31
	s_add_i32 s2, s2, s4
	s_sub_i32 s4, 0, s34
	v_readfirstlane_b32 s42, v1
	s_lshr_b32 s5, s5, 30
	s_mul_i32 s4, s4, s42
	s_add_i32 s3, s3, s5
	s_mul_hi_u32 s4, s42, s4
	v_lshrrev_b32_e32 v3, 4, v0
	v_mov_b32_e32 v4, 0x1000
	v_and_b32_e32 v5, 7, v0
	s_lshl_b32 s6, s35, 1
	s_lshl_b32 s30, s35, 2
	s_ashr_i32 s33, s10, 31
	s_ashr_i32 s2, s2, 4
	s_and_b32 s38, s3, -4
	s_add_i32 s42, s42, s4
	s_mov_b32 s15, s35
	v_lshlrev_b32_e32 v32, 5, v0
	v_lshlrev_b32_e32 v33, 6, v0
	v_cmp_eq_u32_e32 vcc, 0, v0
	v_and_or_b32 v34, v3, 60, v4
	v_lshl_or_b32 v35, v5, 2, v4
	v_cmp_gt_u32_e64 s[2:3], s2, v0
	v_lshlrev_b32_e32 v36, 4, v0
	v_lshlrev_b32_e32 v2, 2, v2
	ds_read_b32 v37, v2
	s_waitcnt lgkmcnt(0)
	v_readlane_b32 s28, v37, 0
	s_cmp_lt_i32 s28, 0
	s_cbranch_scc1 .LBB86_12
; %bb.9:
	s_abs_i32 s27, s40
	s_mul_hi_u32 s4, s27, s42
	s_mul_i32 s7, s4, s34
	s_sub_i32 s7, s27, s7
	s_xor_b32 s5, s41, s33
	s_add_i32 s29, s4, 1
	s_sub_i32 s31, s7, s34
	s_cmp_ge_u32 s7, s34
	s_cselect_b32 s4, s29, s4
	s_cselect_b32 s7, s31, s7
	s_add_i32 s29, s4, 1
	s_cmp_ge_u32 s7, s34
	s_cselect_b32 s4, s29, s4
	s_xor_b32 s4, s4, s5
	s_sub_i32 s4, s4, s5
	s_mul_i32 s5, s4, s10
	s_sub_i32 s5, s40, s5
	s_mul_i32 s5, s5, s12
	s_mul_i32 s4, s4, s11
	s_add_i32 s43, s5, s4
	s_cmp_eq_u32 s43, -1
	s_cbranch_scc1 .LBB86_13
; %bb.10:
	s_mul_hi_i32 s5, s43, s15
	s_mul_i32 s4, s43, s15
	s_lshl_b64 s[4:5], s[4:5], 1
	s_add_u32 s4, s20, s4
	s_addc_u32 s5, s21, s5
	s_and_b32 s5, s5, 0xffff
	s_mov_b32 s7, 0x20000
	buffer_load_dwordx4 v[4:7], v32, s[4:7], 0 offen
	buffer_load_dwordx4 v[12:15], v32, s[4:7], 16 offen
	s_waitcnt vmcnt(1)
	v_cvt_f32_f16_e32 v0, v4
	v_cvt_f32_f16_sdwa v1, v4 dst_sel:DWORD dst_unused:UNUSED_PAD src0_sel:WORD_1
	v_cvt_f32_f16_e32 v2, v5
	v_cvt_f32_f16_sdwa v3, v5 dst_sel:DWORD dst_unused:UNUSED_PAD src0_sel:WORD_1
	;; [unrolled: 2-line block ×4, first 2 shown]
	s_waitcnt vmcnt(0)
	v_cvt_f32_f16_e32 v8, v12
	v_cvt_f32_f16_sdwa v9, v12 dst_sel:DWORD dst_unused:UNUSED_PAD src0_sel:WORD_1
	v_cvt_f32_f16_e32 v10, v13
	v_cvt_f32_f16_sdwa v11, v13 dst_sel:DWORD dst_unused:UNUSED_PAD src0_sel:WORD_1
	;; [unrolled: 2-line block ×4, first 2 shown]
	s_branch .LBB86_14
.LBB86_11:
                                        ; implicit-def: $sgpr7
	s_branch .LBB86_2
.LBB86_12:
	s_mov_b32 s43, -1
                                        ; implicit-def: $vgpr0_vgpr1_vgpr2_vgpr3_vgpr4_vgpr5_vgpr6_vgpr7_vgpr8_vgpr9_vgpr10_vgpr11_vgpr12_vgpr13_vgpr14_vgpr15
	s_cmp_eq_u32 s8, 1
	s_mov_b32 s41, 1
	s_cbranch_scc0 .LBB86_21
	s_branch .LBB86_35
.LBB86_13:
                                        ; implicit-def: $vgpr0_vgpr1_vgpr2_vgpr3_vgpr4_vgpr5_vgpr6_vgpr7_vgpr8_vgpr9_vgpr10_vgpr11_vgpr12_vgpr13_vgpr14_vgpr15
.LBB86_14:
	s_mul_i32 s4, s28, s35
	s_ashr_i32 s5, s4, 31
	s_lshl_b64 s[4:5], s[4:5], 2
	s_add_u32 s28, s22, s4
	s_addc_u32 s4, s23, s5
	s_and_b32 s29, s4, 0xffff
	s_mov_b32 s31, 0x20000
	buffer_load_dwordx4 v[16:19], v33, s[28:31], 0 offen
	buffer_load_dwordx4 v[20:23], v33, s[28:31], 16 offen
	;; [unrolled: 1-line block ×4, first 2 shown]
	s_mov_b32 s4, 0x2edbe6ff
	s_waitcnt vmcnt(3)
	v_pk_mul_f32 v[30:31], v[0:1], v[16:17]
	v_pk_mul_f32 v[28:29], v[2:3], v[18:19]
	v_max3_f32 v39, |v30|, s4, |v31|
	s_waitcnt vmcnt(2)
	v_pk_mul_f32 v[26:27], v[4:5], v[20:21]
	v_max3_f32 v39, v39, |v28|, |v29|
	v_pk_mul_f32 v[24:25], v[6:7], v[22:23]
	v_max3_f32 v39, v39, |v26|, |v27|
	s_waitcnt vmcnt(1)
	v_pk_mul_f32 v[22:23], v[8:9], v[40:41]
	v_max3_f32 v39, v39, |v24|, |v25|
	v_pk_mul_f32 v[20:21], v[10:11], v[42:43]
	v_max3_f32 v39, v39, |v22|, |v23|
	s_waitcnt vmcnt(0)
	v_pk_mul_f32 v[18:19], v[12:13], v[44:45]
	v_max3_f32 v39, v39, |v20|, |v21|
	v_pk_mul_f32 v[16:17], v[14:15], v[46:47]
	v_max3_f32 v39, v39, |v18|, |v19|
	v_max3_f32 v39, v39, |v16|, |v17|
	s_nop 1
	v_mov_b32_dpp v40, v39 quad_perm:[1,0,3,2] row_mask:0xf bank_mask:0xf
	v_cmp_gt_f32_e64 s[4:5], v39, v40
	v_cndmask_b32_e64 v39, v40, v39, s[4:5]
	s_nop 1
	v_mov_b32_dpp v40, v39 quad_perm:[2,3,0,1] row_mask:0xf bank_mask:0xf
	v_cmp_gt_f32_e64 s[4:5], v39, v40
	v_cndmask_b32_e64 v39, v40, v39, s[4:5]
	s_nop 1
	v_mov_b32_dpp v40, v39 row_half_mirror row_mask:0xf bank_mask:0xf
	v_cmp_gt_f32_e64 s[4:5], v39, v40
	v_cndmask_b32_e64 v39, v40, v39, s[4:5]
	s_nop 1
	v_mov_b32_dpp v40, v39 row_mirror row_mask:0xf bank_mask:0xf
	v_cmp_gt_f32_e64 s[4:5], v39, v40
	v_cndmask_b32_e64 v39, v40, v39, s[4:5]
	s_nop 1
	v_mov_b32_dpp v40, v39 row_bcast:15 row_mask:0xf bank_mask:0xf
	v_cmp_gt_f32_e64 s[4:5], v39, v40
	v_cndmask_b32_e64 v39, v40, v39, s[4:5]
	s_nop 1
	v_mov_b32_dpp v40, v39 row_bcast:31 row_mask:0xf bank_mask:0xf
	s_and_saveexec_b64 s[28:29], s[0:1]
	s_cbranch_execz .LBB86_16
; %bb.15:
	v_cmp_gt_f32_e64 s[4:5], v39, v40
	v_cndmask_b32_e64 v39, v40, v39, s[4:5]
	ds_write_b32 v34, v39
.LBB86_16:
	s_or_b64 exec, exec, s[28:29]
	s_waitcnt lgkmcnt(0)
	s_barrier
	ds_read_b32 v39, v35
	s_abs_i32 s7, s9
	v_cvt_f32_u32_e32 v41, s7
	s_waitcnt lgkmcnt(0)
	v_mov_b32_dpp v40, v39 quad_perm:[1,0,3,2] row_mask:0xf bank_mask:0xf
	v_cmp_gt_f32_e64 s[4:5], v39, v40
	v_cndmask_b32_e64 v39, v40, v39, s[4:5]
	v_rcp_iflag_f32_e32 v41, v41
	s_nop 0
	v_mov_b32_dpp v40, v39 quad_perm:[2,3,0,1] row_mask:0xf bank_mask:0xf
	v_cmp_gt_f32_e64 s[4:5], v39, v40
	v_cndmask_b32_e64 v39, v40, v39, s[4:5]
	s_nop 1
	v_mov_b32_dpp v40, v39 row_half_mirror row_mask:0xf bank_mask:0xf
	v_cmp_gt_f32_e64 s[4:5], v39, v40
	v_cndmask_b32_e64 v39, v40, v39, s[4:5]
	v_mul_f32_e32 v40, 0x4f7ffffe, v41
	v_cvt_u32_f32_e32 v40, v40
	s_sub_i32 s5, 0, s7
	s_ashr_i32 s4, s9, 31
	s_xor_b32 s4, s41, s4
	v_readfirstlane_b32 s28, v40
	s_mul_i32 s5, s5, s28
	s_mul_hi_u32 s5, s28, s5
	s_add_i32 s28, s28, s5
	s_mul_hi_u32 s5, s27, s28
	s_mul_i32 s28, s5, s7
	s_sub_i32 s27, s27, s28
	s_add_i32 s28, s5, 1
	s_sub_i32 s29, s27, s7
	s_cmp_ge_u32 s27, s7
	s_cselect_b32 s5, s28, s5
	s_cselect_b32 s27, s29, s27
	s_add_i32 s28, s5, 1
	s_cmp_ge_u32 s27, s7
	s_cselect_b32 s5, s28, s5
	s_xor_b32 s5, s5, s4
	s_sub_i32 s4, s5, s4
	s_mul_i32 s5, s4, s9
	s_sub_i32 s5, s40, s5
	s_mul_i32 s5, s5, s14
	s_mul_i32 s4, s4, s13
	v_mul_f32_e32 v39, 0x3b124925, v39
	s_add_i32 s28, s5, s4
	s_and_saveexec_b64 s[4:5], vcc
	s_cbranch_execz .LBB86_18
; %bb.17:
	s_ashr_i32 s29, s28, 31
	s_lshl_b64 s[36:37], s[28:29], 2
	s_add_u32 s36, s18, s36
	s_addc_u32 s37, s19, s37
	v_mov_b32_e32 v40, 0
	global_store_dword v40, v39, s[36:37]
.LBB86_18:
	s_or_b64 exec, exec, s[4:5]
	s_and_saveexec_b64 s[4:5], s[2:3]
	s_cbranch_execz .LBB86_20
; %bb.19:
	v_rcp_f32_e32 v40, v39
	v_mov_b32_e32 v39, 0xc3e00000
	v_mov_b32_e32 v42, 0x43e00000
	s_mul_i32 s27, s28, s15
	v_mov_b32_e32 v41, v40
	;;#ASMSTART
	v_pk_mul_f32 v[30:31], v[30:31], v[40:41]
	;;#ASMEND
	;;#ASMSTART
	v_med3_f32 v30, v30, v39, v42
v_med3_f32 v31, v31, v39, v42
v_cvt_pk_fp8_f32 v43, v30, v31
	;;#ASMEND
	;;#ASMSTART
	v_pk_mul_f32 v[28:29], v[28:29], v[40:41]
	;;#ASMEND
	;;#ASMSTART
	v_med3_f32 v28, v28, v39, v42
v_med3_f32 v29, v29, v39, v42
v_cvt_pk_fp8_f32 v30, v28, v29
	;;#ASMEND
	;;#ASMSTART
	v_pk_mul_f32 v[26:27], v[26:27], v[40:41]
	;;#ASMEND
	s_mul_hi_i32 s7, s28, s15
	s_add_u32 s36, s16, s27
	;;#ASMSTART
	v_med3_f32 v26, v26, v39, v42
v_med3_f32 v27, v27, v39, v42
v_cvt_pk_fp8_f32 v29, v26, v27
	;;#ASMEND
	;;#ASMSTART
	v_pk_mul_f32 v[24:25], v[24:25], v[40:41]
	;;#ASMEND
	s_addc_u32 s7, s17, s7
	;;#ASMSTART
	v_med3_f32 v24, v24, v39, v42
v_med3_f32 v25, v25, v39, v42
v_cvt_pk_fp8_f32 v26, v24, v25
	;;#ASMEND
	;;#ASMSTART
	v_pk_mul_f32 v[22:23], v[22:23], v[40:41]
	;;#ASMEND
	s_and_b32 s37, s7, 0xffff
	s_mov_b32 s7, 0x5040100
	;;#ASMSTART
	v_med3_f32 v22, v22, v39, v42
v_med3_f32 v23, v23, v39, v42
v_cvt_pk_fp8_f32 v24, v22, v23
	;;#ASMEND
	;;#ASMSTART
	v_pk_mul_f32 v[20:21], v[20:21], v[40:41]
	;;#ASMEND
	v_perm_b32 v28, v30, v43, s7
	s_mov_b32 s7, 0x1060504
	;;#ASMSTART
	v_med3_f32 v20, v20, v39, v42
v_med3_f32 v21, v21, v39, v42
v_cvt_pk_fp8_f32 v22, v20, v21
	;;#ASMEND
	;;#ASMSTART
	v_pk_mul_f32 v[18:19], v[18:19], v[40:41]
	;;#ASMEND
	v_perm_b32 v28, v28, v30, s7
	s_mov_b32 s7, 0x1000504
	;;#ASMSTART
	v_med3_f32 v18, v18, v39, v42
v_med3_f32 v19, v19, v39, v42
v_cvt_pk_fp8_f32 v20, v18, v19
	;;#ASMEND
	;;#ASMSTART
	v_pk_mul_f32 v[16:17], v[16:17], v[40:41]
	;;#ASMEND
	s_mov_b32 s39, 0x20000
	v_perm_b32 v29, v29, v26, s7
	v_perm_b32 v30, v24, v22, s7
	;;#ASMSTART
	v_med3_f32 v16, v16, v39, v42
v_med3_f32 v17, v17, v39, v42
v_cvt_pk_fp8_f32 v18, v16, v17
	;;#ASMEND
	v_perm_b32 v31, v20, v18, s7
	buffer_store_dwordx4 v[28:31], v36, s[36:39], 0 offen
	;;#ASMSTART
	s_nop 0
	;;#ASMEND
.LBB86_20:
	s_or_b64 exec, exec, s[4:5]
	s_cmp_eq_u32 s8, 1
	s_mov_b32 s41, 1
	s_cbranch_scc1 .LBB86_35
.LBB86_21:
	s_abs_i32 s44, s9
	v_cvt_f32_u32_e32 v16, s44
	s_sub_i32 s4, 0, s44
	s_ashr_i32 s45, s9, 31
	v_add_u32_e32 v38, 4, v38
	v_rcp_iflag_f32_e32 v16, v16
	s_mov_b32 s31, 0x20000
	s_mov_b32 s46, 0x2edbe6ff
	v_mov_b32_e32 v39, 0
	v_mul_f32_e32 v16, 0x4f7ffffe, v16
	v_cvt_u32_f32_e32 v16, v16
	v_mov_b32_e32 v40, 0xc3e00000
	v_mov_b32_e32 v41, 0x43e00000
	s_mov_b32 s47, 0x5040100
	v_readfirstlane_b32 s5, v16
	s_mul_i32 s4, s4, s5
	s_mul_hi_u32 s4, s5, s4
	s_add_i32 s48, s5, s4
	s_mov_b32 s49, 0x1060504
	s_mov_b32 s50, 0x1000504
	s_branch .LBB86_24
.LBB86_22:                              ;   in Loop: Header=BB86_24 Depth=1
	s_or_b64 exec, exec, s[4:5]
.LBB86_23:                              ;   in Loop: Header=BB86_24 Depth=1
	s_add_i32 s41, s41, 1
	s_cmp_eq_u32 s8, s41
	v_add_u32_e32 v38, 4, v38
	s_cbranch_scc1 .LBB86_35
.LBB86_24:                              ; =>This Inner Loop Header: Depth=1
	s_and_b32 s4, s41, 63
	s_cmp_lg_u32 s4, 0
	s_cbranch_scc1 .LBB86_26
; %bb.25:                               ;   in Loop: Header=BB86_24 Depth=1
	s_mov_b32 s27, s31
	buffer_load_dword v16, v38, s[24:27], 0 offen
	s_waitcnt vmcnt(0)
	v_lshlrev_b32_e32 v16, 2, v16
	ds_read_b32 v37, v16
.LBB86_26:                              ;   in Loop: Header=BB86_24 Depth=1
	s_waitcnt lgkmcnt(0)
	v_readlane_b32 s28, v37, s4
	s_cmp_lt_i32 s28, 0
	s_cbranch_scc1 .LBB86_23
; %bb.27:                               ;   in Loop: Header=BB86_24 Depth=1
	s_add_i32 s27, s40, s41
	s_abs_i32 s36, s27
	s_mul_hi_u32 s5, s36, s42
	s_mul_i32 s7, s5, s34
	s_ashr_i32 s37, s27, 31
	s_sub_i32 s7, s36, s7
	s_xor_b32 s4, s37, s33
	s_add_i32 s29, s5, 1
	s_sub_i32 s39, s7, s34
	s_cmp_ge_u32 s7, s34
	s_cselect_b32 s5, s29, s5
	s_cselect_b32 s7, s39, s7
	s_add_i32 s29, s5, 1
	s_cmp_ge_u32 s7, s34
	s_cselect_b32 s5, s29, s5
	s_xor_b32 s5, s5, s4
	s_sub_i32 s4, s5, s4
	s_mul_i32 s5, s4, s10
	s_sub_i32 s5, s27, s5
	s_mul_i32 s29, s5, s12
	s_mul_i32 s4, s4, s11
	s_add_i32 s29, s29, s4
	s_cmp_eq_u32 s29, s43
	s_cbranch_scc1 .LBB86_29
; %bb.28:                               ;   in Loop: Header=BB86_24 Depth=1
	s_mul_hi_i32 s5, s29, s15
	s_mul_i32 s4, s29, s15
	s_lshl_b64 s[4:5], s[4:5], 1
	s_add_u32 s4, s20, s4
	s_addc_u32 s5, s21, s5
	s_and_b32 s5, s5, 0xffff
	s_mov_b32 s7, s31
	buffer_load_dwordx4 v[4:7], v32, s[4:7], 0 offen
	buffer_load_dwordx4 v[12:15], v32, s[4:7], 16 offen
	s_mov_b32 s43, s29
	s_waitcnt vmcnt(1)
	v_cvt_f32_f16_e32 v0, v4
	v_cvt_f32_f16_sdwa v1, v4 dst_sel:DWORD dst_unused:UNUSED_PAD src0_sel:WORD_1
	v_cvt_f32_f16_e32 v2, v5
	v_cvt_f32_f16_sdwa v3, v5 dst_sel:DWORD dst_unused:UNUSED_PAD src0_sel:WORD_1
	;; [unrolled: 2-line block ×4, first 2 shown]
	s_waitcnt vmcnt(0)
	v_cvt_f32_f16_e32 v8, v12
	v_cvt_f32_f16_sdwa v9, v12 dst_sel:DWORD dst_unused:UNUSED_PAD src0_sel:WORD_1
	v_cvt_f32_f16_e32 v10, v13
	v_cvt_f32_f16_sdwa v11, v13 dst_sel:DWORD dst_unused:UNUSED_PAD src0_sel:WORD_1
	;; [unrolled: 2-line block ×4, first 2 shown]
.LBB86_29:                              ;   in Loop: Header=BB86_24 Depth=1
	s_mul_i32 s4, s28, s35
	s_ashr_i32 s5, s4, 31
	s_lshl_b64 s[4:5], s[4:5], 2
	s_add_u32 s28, s22, s4
	s_addc_u32 s4, s23, s5
	s_and_b32 s29, s4, 0xffff
	buffer_load_dwordx4 v[16:19], v33, s[28:31], 0 offen
	buffer_load_dwordx4 v[20:23], v33, s[28:31], 16 offen
	;; [unrolled: 1-line block ×4, first 2 shown]
	s_waitcnt vmcnt(3)
	v_pk_mul_f32 v[30:31], v[0:1], v[16:17]
	v_pk_mul_f32 v[28:29], v[2:3], v[18:19]
	s_waitcnt vmcnt(2)
	v_pk_mul_f32 v[24:25], v[6:7], v[22:23]
	s_waitcnt vmcnt(1)
	v_pk_mul_f32 v[22:23], v[8:9], v[42:43]
	v_max3_f32 v42, |v30|, s46, |v31|
	v_pk_mul_f32 v[26:27], v[4:5], v[20:21]
	v_max3_f32 v42, v42, |v28|, |v29|
	v_max3_f32 v42, v42, |v26|, |v27|
	;; [unrolled: 1-line block ×3, first 2 shown]
	v_pk_mul_f32 v[20:21], v[10:11], v[44:45]
	v_max3_f32 v42, v42, |v22|, |v23|
	s_waitcnt vmcnt(0)
	v_pk_mul_f32 v[18:19], v[12:13], v[46:47]
	v_max3_f32 v42, v42, |v20|, |v21|
	v_pk_mul_f32 v[16:17], v[14:15], v[48:49]
	v_max3_f32 v42, v42, |v18|, |v19|
	v_max3_f32 v42, v42, |v16|, |v17|
	s_nop 1
	v_mov_b32_dpp v43, v42 quad_perm:[1,0,3,2] row_mask:0xf bank_mask:0xf
	v_cmp_gt_f32_e64 s[4:5], v42, v43
	v_cndmask_b32_e64 v42, v43, v42, s[4:5]
	s_nop 1
	v_mov_b32_dpp v43, v42 quad_perm:[2,3,0,1] row_mask:0xf bank_mask:0xf
	v_cmp_gt_f32_e64 s[4:5], v42, v43
	v_cndmask_b32_e64 v42, v43, v42, s[4:5]
	s_nop 1
	v_mov_b32_dpp v43, v42 row_half_mirror row_mask:0xf bank_mask:0xf
	v_cmp_gt_f32_e64 s[4:5], v42, v43
	v_cndmask_b32_e64 v42, v43, v42, s[4:5]
	s_nop 1
	v_mov_b32_dpp v43, v42 row_mirror row_mask:0xf bank_mask:0xf
	v_cmp_gt_f32_e64 s[4:5], v42, v43
	v_cndmask_b32_e64 v42, v43, v42, s[4:5]
	s_nop 1
	v_mov_b32_dpp v43, v42 row_bcast:15 row_mask:0xf bank_mask:0xf
	v_cmp_gt_f32_e64 s[4:5], v42, v43
	v_cndmask_b32_e64 v42, v43, v42, s[4:5]
	s_nop 1
	v_mov_b32_dpp v43, v42 row_bcast:31 row_mask:0xf bank_mask:0xf
	s_and_saveexec_b64 s[28:29], s[0:1]
	s_cbranch_execz .LBB86_31
; %bb.30:                               ;   in Loop: Header=BB86_24 Depth=1
	v_cmp_gt_f32_e64 s[4:5], v42, v43
	v_cndmask_b32_e64 v42, v43, v42, s[4:5]
	ds_write_b32 v34, v42
.LBB86_31:                              ;   in Loop: Header=BB86_24 Depth=1
	s_or_b64 exec, exec, s[28:29]
	s_waitcnt lgkmcnt(0)
	s_barrier
	ds_read_b32 v42, v35
	s_waitcnt lgkmcnt(0)
	s_nop 0
	v_mov_b32_dpp v43, v42 quad_perm:[1,0,3,2] row_mask:0xf bank_mask:0xf
	v_cmp_gt_f32_e64 s[4:5], v42, v43
	v_cndmask_b32_e64 v42, v43, v42, s[4:5]
	s_nop 1
	v_mov_b32_dpp v43, v42 quad_perm:[2,3,0,1] row_mask:0xf bank_mask:0xf
	v_cmp_gt_f32_e64 s[4:5], v42, v43
	v_cndmask_b32_e64 v42, v43, v42, s[4:5]
	s_nop 1
	v_mov_b32_dpp v43, v42 row_half_mirror row_mask:0xf bank_mask:0xf
	v_cmp_gt_f32_e64 s[4:5], v42, v43
	v_cndmask_b32_e64 v42, v43, v42, s[4:5]
	s_mul_hi_u32 s5, s36, s48
	s_mul_i32 s7, s5, s44
	s_sub_i32 s7, s36, s7
	s_xor_b32 s4, s37, s45
	s_add_i32 s28, s5, 1
	s_sub_i32 s29, s7, s44
	s_cmp_ge_u32 s7, s44
	s_cselect_b32 s5, s28, s5
	s_cselect_b32 s7, s29, s7
	s_add_i32 s28, s5, 1
	s_cmp_ge_u32 s7, s44
	s_cselect_b32 s5, s28, s5
	s_xor_b32 s5, s5, s4
	s_sub_i32 s4, s5, s4
	s_mul_i32 s5, s4, s9
	s_sub_i32 s5, s27, s5
	s_mul_i32 s5, s5, s14
	s_mul_i32 s4, s4, s13
	v_mul_f32_e32 v42, 0x3b124925, v42
	s_add_i32 s28, s5, s4
	s_and_saveexec_b64 s[4:5], vcc
	s_cbranch_execz .LBB86_33
; %bb.32:                               ;   in Loop: Header=BB86_24 Depth=1
	s_ashr_i32 s29, s28, 31
	s_lshl_b64 s[36:37], s[28:29], 2
	s_add_u32 s36, s18, s36
	s_addc_u32 s37, s19, s37
	global_store_dword v39, v42, s[36:37]
.LBB86_33:                              ;   in Loop: Header=BB86_24 Depth=1
	s_or_b64 exec, exec, s[4:5]
	s_and_saveexec_b64 s[4:5], s[2:3]
	s_cbranch_execz .LBB86_22
; %bb.34:                               ;   in Loop: Header=BB86_24 Depth=1
	v_rcp_f32_e32 v42, v42
	s_mul_i32 s27, s28, s15
	s_mul_hi_i32 s7, s28, s15
	s_add_u32 s36, s16, s27
	v_mov_b32_e32 v43, v42
	;;#ASMSTART
	v_pk_mul_f32 v[30:31], v[30:31], v[42:43]
	;;#ASMEND
	;;#ASMSTART
	v_med3_f32 v30, v30, v40, v41
v_med3_f32 v31, v31, v40, v41
v_cvt_pk_fp8_f32 v44, v30, v31
	;;#ASMEND
	;;#ASMSTART
	v_pk_mul_f32 v[28:29], v[28:29], v[42:43]
	;;#ASMEND
	;;#ASMSTART
	v_med3_f32 v28, v28, v40, v41
v_med3_f32 v29, v29, v40, v41
v_cvt_pk_fp8_f32 v30, v28, v29
	;;#ASMEND
	;; [unrolled: 8-line block ×6, first 2 shown]
	;;#ASMSTART
	v_pk_mul_f32 v[18:19], v[18:19], v[42:43]
	;;#ASMEND
	s_addc_u32 s7, s17, s7
	v_perm_b32 v28, v30, v44, s47
	;;#ASMSTART
	v_med3_f32 v18, v18, v40, v41
v_med3_f32 v19, v19, v40, v41
v_cvt_pk_fp8_f32 v20, v18, v19
	;;#ASMEND
	;;#ASMSTART
	v_pk_mul_f32 v[16:17], v[16:17], v[42:43]
	;;#ASMEND
	s_and_b32 s37, s7, 0xffff
	s_mov_b32 s39, s31
	v_perm_b32 v28, v28, v30, s49
	v_perm_b32 v29, v29, v26, s50
	;; [unrolled: 1-line block ×3, first 2 shown]
	;;#ASMSTART
	v_med3_f32 v16, v16, v40, v41
v_med3_f32 v17, v17, v40, v41
v_cvt_pk_fp8_f32 v18, v16, v17
	;;#ASMEND
	v_perm_b32 v31, v20, v18, s50
	buffer_store_dwordx4 v[28:31], v36, s[36:39], 0 offen
	;;#ASMSTART
	s_nop 0
	;;#ASMEND
	s_branch .LBB86_22
.LBB86_35:
	s_endpgm
	.section	.rodata,"a",@progbits
	.p2align	6, 0x0
	.amdhsa_kernel _ZN5aiter36smooth_per_token_scaled_quant_kernelIDF16_DB8_Li512ELi16ELb1ELb1ELb1ELi1024EEEvPT0_PfPT_S4_PiS7_iiPKiiiiiiiii
		.amdhsa_group_segment_fixed_size 4128
		.amdhsa_private_segment_fixed_size 0
		.amdhsa_kernarg_size 96
		.amdhsa_user_sgpr_count 6
		.amdhsa_user_sgpr_private_segment_buffer 1
		.amdhsa_user_sgpr_dispatch_ptr 0
		.amdhsa_user_sgpr_queue_ptr 0
		.amdhsa_user_sgpr_kernarg_segment_ptr 1
		.amdhsa_user_sgpr_dispatch_id 0
		.amdhsa_user_sgpr_flat_scratch_init 0
		.amdhsa_user_sgpr_kernarg_preload_length 0
		.amdhsa_user_sgpr_kernarg_preload_offset 0
		.amdhsa_user_sgpr_private_segment_size 0
		.amdhsa_uses_dynamic_stack 0
		.amdhsa_system_sgpr_private_segment_wavefront_offset 0
		.amdhsa_system_sgpr_workgroup_id_x 1
		.amdhsa_system_sgpr_workgroup_id_y 0
		.amdhsa_system_sgpr_workgroup_id_z 0
		.amdhsa_system_sgpr_workgroup_info 0
		.amdhsa_system_vgpr_workitem_id 0
		.amdhsa_next_free_vgpr 50
		.amdhsa_next_free_sgpr 51
		.amdhsa_accum_offset 52
		.amdhsa_reserve_vcc 1
		.amdhsa_reserve_flat_scratch 0
		.amdhsa_float_round_mode_32 0
		.amdhsa_float_round_mode_16_64 0
		.amdhsa_float_denorm_mode_32 3
		.amdhsa_float_denorm_mode_16_64 3
		.amdhsa_dx10_clamp 1
		.amdhsa_ieee_mode 1
		.amdhsa_fp16_overflow 0
		.amdhsa_tg_split 0
		.amdhsa_exception_fp_ieee_invalid_op 0
		.amdhsa_exception_fp_denorm_src 0
		.amdhsa_exception_fp_ieee_div_zero 0
		.amdhsa_exception_fp_ieee_overflow 0
		.amdhsa_exception_fp_ieee_underflow 0
		.amdhsa_exception_fp_ieee_inexact 0
		.amdhsa_exception_int_div_zero 0
	.end_amdhsa_kernel
	.section	.text._ZN5aiter36smooth_per_token_scaled_quant_kernelIDF16_DB8_Li512ELi16ELb1ELb1ELb1ELi1024EEEvPT0_PfPT_S4_PiS7_iiPKiiiiiiiii,"axG",@progbits,_ZN5aiter36smooth_per_token_scaled_quant_kernelIDF16_DB8_Li512ELi16ELb1ELb1ELb1ELi1024EEEvPT0_PfPT_S4_PiS7_iiPKiiiiiiiii,comdat
.Lfunc_end86:
	.size	_ZN5aiter36smooth_per_token_scaled_quant_kernelIDF16_DB8_Li512ELi16ELb1ELb1ELb1ELi1024EEEvPT0_PfPT_S4_PiS7_iiPKiiiiiiiii, .Lfunc_end86-_ZN5aiter36smooth_per_token_scaled_quant_kernelIDF16_DB8_Li512ELi16ELb1ELb1ELb1ELi1024EEEvPT0_PfPT_S4_PiS7_iiPKiiiiiiiii
                                        ; -- End function
	.section	.AMDGPU.csdata,"",@progbits
; Kernel info:
; codeLenInByte = 3432
; NumSgprs: 55
; NumVgprs: 50
; NumAgprs: 0
; TotalNumVgprs: 50
; ScratchSize: 0
; MemoryBound: 0
; FloatMode: 240
; IeeeMode: 1
; LDSByteSize: 4128 bytes/workgroup (compile time only)
; SGPRBlocks: 6
; VGPRBlocks: 6
; NumSGPRsForWavesPerEU: 55
; NumVGPRsForWavesPerEU: 50
; AccumOffset: 52
; Occupancy: 8
; WaveLimiterHint : 0
; COMPUTE_PGM_RSRC2:SCRATCH_EN: 0
; COMPUTE_PGM_RSRC2:USER_SGPR: 6
; COMPUTE_PGM_RSRC2:TRAP_HANDLER: 0
; COMPUTE_PGM_RSRC2:TGID_X_EN: 1
; COMPUTE_PGM_RSRC2:TGID_Y_EN: 0
; COMPUTE_PGM_RSRC2:TGID_Z_EN: 0
; COMPUTE_PGM_RSRC2:TIDIG_COMP_CNT: 0
; COMPUTE_PGM_RSRC3_GFX90A:ACCUM_OFFSET: 12
; COMPUTE_PGM_RSRC3_GFX90A:TG_SPLIT: 0
	.section	.text._ZN5aiter36smooth_per_token_scaled_quant_kernelItDB8_Li512ELi16ELb1ELb1ELb1ELi1024EEEvPT0_PfPT_S4_PiS7_iiPKiiiiiiiii,"axG",@progbits,_ZN5aiter36smooth_per_token_scaled_quant_kernelItDB8_Li512ELi16ELb1ELb1ELb1ELi1024EEEvPT0_PfPT_S4_PiS7_iiPKiiiiiiiii,comdat
	.protected	_ZN5aiter36smooth_per_token_scaled_quant_kernelItDB8_Li512ELi16ELb1ELb1ELb1ELi1024EEEvPT0_PfPT_S4_PiS7_iiPKiiiiiiiii ; -- Begin function _ZN5aiter36smooth_per_token_scaled_quant_kernelItDB8_Li512ELi16ELb1ELb1ELb1ELi1024EEEvPT0_PfPT_S4_PiS7_iiPKiiiiiiiii
	.globl	_ZN5aiter36smooth_per_token_scaled_quant_kernelItDB8_Li512ELi16ELb1ELb1ELb1ELi1024EEEvPT0_PfPT_S4_PiS7_iiPKiiiiiiiii
	.p2align	8
	.type	_ZN5aiter36smooth_per_token_scaled_quant_kernelItDB8_Li512ELi16ELb1ELb1ELb1ELi1024EEEvPT0_PfPT_S4_PiS7_iiPKiiiiiiiii,@function
_ZN5aiter36smooth_per_token_scaled_quant_kernelItDB8_Li512ELi16ELb1ELb1ELb1ELi1024EEEvPT0_PfPT_S4_PiS7_iiPKiiiiiiiii: ; @_ZN5aiter36smooth_per_token_scaled_quant_kernelItDB8_Li512ELi16ELb1ELb1ELb1ELi1024EEEvPT0_PfPT_S4_PiS7_iiPKiiiiiiiii
; %bb.0:
	s_load_dwordx2 s[16:17], s[4:5], 0x38
	s_load_dwordx2 s[0:1], s[4:5], 0x28
	s_load_dwordx8 s[8:15], s[4:5], 0x40
	s_mov_b64 s[2:3], 0
	s_waitcnt lgkmcnt(0)
	s_cmp_lg_u64 s[16:17], 0
	s_cbranch_scc0 .LBB87_11
; %bb.1:
	s_load_dword s7, s[16:17], 0x0
	s_waitcnt lgkmcnt(0)
	s_mul_i32 s7, s7, s8
	s_andn2_b64 vcc, exec, s[2:3]
	s_cbranch_vccnz .LBB87_3
.LBB87_2:
	s_mul_i32 s7, s10, s9
.LBB87_3:
	s_load_dwordx2 s[34:35], s[4:5], 0x30
	v_and_b32_e32 v1, 0x3c0, v0
	v_lshlrev_b32_e32 v1, 2, v1
	s_lshl_b32 s2, s15, 2
	v_lshlrev_b32_e32 v2, 2, v0
	s_waitcnt lgkmcnt(0)
	s_abs_i32 s8, s34
	v_cvt_f32_u32_e32 v3, s8
	v_readfirstlane_b32 s15, v1
	v_add_u32_e32 v1, 0x800, v1
	s_and_b32 s1, s1, 0xffff
	v_rcp_iflag_f32_e32 v3, v3
	s_mov_b32 s3, 0x20000
	;;#ASMSTART
	s_mov_b32 m0 s15
	buffer_load_dword v2, s[0:3], 0 offen offset:0 lds
	
	;;#ASMEND
	v_readfirstlane_b32 s18, v1
	v_add_u32_e32 v1, 0x800, v2
	v_mul_f32_e32 v2, 0x4f7ffffe, v3
	v_cvt_u32_f32_e32 v2, v2
	s_sub_i32 s17, 0, s8
	s_abs_i32 s16, s7
	s_xor_b32 s15, s7, s34
	v_readfirstlane_b32 s19, v2
	s_mul_i32 s17, s17, s19
	s_mul_hi_u32 s17, s19, s17
	s_add_i32 s19, s19, s17
	s_mul_hi_u32 s17, s16, s19
	s_mul_i32 s19, s17, s8
	s_sub_i32 s16, s16, s19
	s_ashr_i32 s15, s15, 31
	s_add_i32 s19, s17, 1
	s_sub_i32 s20, s16, s8
	s_cmp_ge_u32 s16, s8
	s_cselect_b32 s17, s19, s17
	s_cselect_b32 s16, s20, s16
	s_add_i32 s19, s17, 1
	s_cmp_ge_u32 s16, s8
	s_cselect_b32 s8, s19, s17
	s_xor_b32 s8, s8, s15
	s_sub_i32 s8, s8, s15
	s_mul_i32 s15, s8, s34
	s_sub_i32 s15, s7, s15
	s_cmp_lt_u32 s6, s15
	;;#ASMSTART
	s_mov_b32 m0 s18
	buffer_load_dword v1, s[0:3], 0 offen offset:0 lds
	
	;;#ASMEND
	s_cselect_b64 s[16:17], -1, 0
	s_add_i32 s7, s8, 1
	s_cmp_ge_u32 s6, s15
	s_cbranch_scc0 .LBB87_5
; %bb.4:
	s_sub_i32 s1, s6, s15
	s_mul_i32 s0, s15, s7
	s_mul_i32 s1, s1, s8
	s_add_i32 s40, s1, s0
	s_cbranch_execz .LBB87_6
	s_branch .LBB87_7
.LBB87_5:
                                        ; implicit-def: $sgpr40
.LBB87_6:
	s_mul_i32 s40, s7, s6
.LBB87_7:
	v_cndmask_b32_e64 v1, 0, 1, s[16:17]
	v_readfirstlane_b32 s0, v1
	s_add_i32 s8, s8, s0
	s_cmp_lt_i32 s8, 1
	s_cbranch_scc1 .LBB87_35
; %bb.8:
	s_load_dwordx2 s[0:1], s[4:5], 0x20
	s_ashr_i32 s41, s40, 31
	s_lshl_b64 s[2:3], s[40:41], 2
	v_and_b32_e32 v1, 63, v0
	s_mov_b32 s27, 0x20000
	s_waitcnt lgkmcnt(0)
	s_add_u32 s24, s0, s2
	s_addc_u32 s0, s1, s3
	s_lshl_b32 s26, s8, 2
	s_and_b32 s25, s0, 0xffff
	v_lshlrev_b32_e32 v38, 2, v1
	buffer_load_dword v2, v38, s[24:27], 0 offen
	s_abs_i32 s34, s10
	v_cmp_eq_u32_e64 s[0:1], 63, v1
	v_cvt_f32_u32_e32 v1, s34
	s_add_i32 s2, s35, 15
	s_load_dwordx8 s[16:23], s[4:5], 0x0
	s_ashr_i32 s4, s2, 31
	v_rcp_iflag_f32_e32 v1, v1
	s_waitcnt vmcnt(0) lgkmcnt(0)
	s_barrier
	v_mul_f32_e32 v1, 0x4f7ffffe, v1
	v_cvt_u32_f32_e32 v1, v1
	s_add_i32 s3, s35, 3
	s_lshr_b32 s4, s4, 28
	s_ashr_i32 s5, s3, 31
	s_add_i32 s2, s2, s4
	s_sub_i32 s4, 0, s34
	v_readfirstlane_b32 s42, v1
	s_lshr_b32 s5, s5, 30
	s_mul_i32 s4, s4, s42
	s_add_i32 s3, s3, s5
	s_mul_hi_u32 s4, s42, s4
	v_lshrrev_b32_e32 v3, 4, v0
	v_mov_b32_e32 v4, 0x1000
	v_and_b32_e32 v5, 7, v0
	s_lshl_b32 s6, s35, 1
	s_lshl_b32 s30, s35, 2
	s_ashr_i32 s33, s10, 31
	s_ashr_i32 s2, s2, 4
	s_and_b32 s38, s3, -4
	s_add_i32 s42, s42, s4
	s_mov_b32 s15, s35
	v_lshlrev_b32_e32 v32, 5, v0
	v_lshlrev_b32_e32 v33, 6, v0
	v_cmp_eq_u32_e32 vcc, 0, v0
	v_and_or_b32 v34, v3, 60, v4
	v_lshl_or_b32 v35, v5, 2, v4
	v_cmp_gt_u32_e64 s[2:3], s2, v0
	v_lshlrev_b32_e32 v36, 4, v0
	v_lshlrev_b32_e32 v2, 2, v2
	ds_read_b32 v37, v2
	s_waitcnt lgkmcnt(0)
	v_readlane_b32 s28, v37, 0
	s_cmp_lt_i32 s28, 0
	s_cbranch_scc1 .LBB87_12
; %bb.9:
	s_abs_i32 s27, s40
	s_mul_hi_u32 s4, s27, s42
	s_mul_i32 s7, s4, s34
	s_sub_i32 s7, s27, s7
	s_xor_b32 s5, s41, s33
	s_add_i32 s29, s4, 1
	s_sub_i32 s31, s7, s34
	s_cmp_ge_u32 s7, s34
	s_cselect_b32 s4, s29, s4
	s_cselect_b32 s7, s31, s7
	s_add_i32 s29, s4, 1
	s_cmp_ge_u32 s7, s34
	s_cselect_b32 s4, s29, s4
	s_xor_b32 s4, s4, s5
	s_sub_i32 s4, s4, s5
	s_mul_i32 s5, s4, s10
	s_sub_i32 s5, s40, s5
	s_mul_i32 s5, s5, s12
	s_mul_i32 s4, s4, s11
	s_add_i32 s43, s5, s4
	s_cmp_eq_u32 s43, -1
	s_cbranch_scc1 .LBB87_13
; %bb.10:
	s_mul_hi_i32 s5, s43, s15
	s_mul_i32 s4, s43, s15
	s_lshl_b64 s[4:5], s[4:5], 1
	s_add_u32 s4, s20, s4
	s_addc_u32 s5, s21, s5
	s_and_b32 s5, s5, 0xffff
	s_mov_b32 s7, 0x20000
	buffer_load_dwordx4 v[6:9], v32, s[4:7], 0 offen
	buffer_load_dwordx4 v[14:17], v32, s[4:7], 16 offen
	s_waitcnt vmcnt(1)
	v_cvt_f32_u32_sdwa v1, v6 dst_sel:DWORD dst_unused:UNUSED_PAD src0_sel:WORD_1
	v_cvt_f32_u32_sdwa v0, v6 dst_sel:DWORD dst_unused:UNUSED_PAD src0_sel:WORD_0
	v_cvt_f32_u32_sdwa v3, v7 dst_sel:DWORD dst_unused:UNUSED_PAD src0_sel:WORD_1
	v_cvt_f32_u32_sdwa v2, v7 dst_sel:DWORD dst_unused:UNUSED_PAD src0_sel:WORD_0
	;; [unrolled: 2-line block ×4, first 2 shown]
	s_waitcnt vmcnt(0)
	v_cvt_f32_u32_sdwa v9, v14 dst_sel:DWORD dst_unused:UNUSED_PAD src0_sel:WORD_1
	v_cvt_f32_u32_sdwa v8, v14 dst_sel:DWORD dst_unused:UNUSED_PAD src0_sel:WORD_0
	v_cvt_f32_u32_sdwa v11, v15 dst_sel:DWORD dst_unused:UNUSED_PAD src0_sel:WORD_1
	v_cvt_f32_u32_sdwa v10, v15 dst_sel:DWORD dst_unused:UNUSED_PAD src0_sel:WORD_0
	;; [unrolled: 2-line block ×4, first 2 shown]
	s_branch .LBB87_14
.LBB87_11:
                                        ; implicit-def: $sgpr7
	s_branch .LBB87_2
.LBB87_12:
	s_mov_b32 s43, -1
                                        ; implicit-def: $vgpr0_vgpr1_vgpr2_vgpr3_vgpr4_vgpr5_vgpr6_vgpr7_vgpr8_vgpr9_vgpr10_vgpr11_vgpr12_vgpr13_vgpr14_vgpr15
	s_cmp_eq_u32 s8, 1
	s_mov_b32 s41, 1
	s_cbranch_scc0 .LBB87_21
	s_branch .LBB87_35
.LBB87_13:
                                        ; implicit-def: $vgpr0_vgpr1_vgpr2_vgpr3_vgpr4_vgpr5_vgpr6_vgpr7_vgpr8_vgpr9_vgpr10_vgpr11_vgpr12_vgpr13_vgpr14_vgpr15
.LBB87_14:
	s_mul_i32 s4, s28, s35
	s_ashr_i32 s5, s4, 31
	s_lshl_b64 s[4:5], s[4:5], 2
	s_add_u32 s28, s22, s4
	s_addc_u32 s4, s23, s5
	s_and_b32 s29, s4, 0xffff
	s_mov_b32 s31, 0x20000
	buffer_load_dwordx4 v[16:19], v33, s[28:31], 0 offen
	buffer_load_dwordx4 v[20:23], v33, s[28:31], 16 offen
	;; [unrolled: 1-line block ×4, first 2 shown]
	s_mov_b32 s4, 0x2edbe6ff
	s_waitcnt vmcnt(3)
	v_pk_mul_f32 v[30:31], v[0:1], v[16:17]
	v_pk_mul_f32 v[28:29], v[2:3], v[18:19]
	v_max3_f32 v39, |v30|, s4, |v31|
	s_waitcnt vmcnt(2)
	v_pk_mul_f32 v[26:27], v[4:5], v[20:21]
	v_max3_f32 v39, v39, |v28|, |v29|
	v_pk_mul_f32 v[24:25], v[6:7], v[22:23]
	v_max3_f32 v39, v39, |v26|, |v27|
	s_waitcnt vmcnt(1)
	v_pk_mul_f32 v[22:23], v[8:9], v[40:41]
	v_max3_f32 v39, v39, |v24|, |v25|
	v_pk_mul_f32 v[20:21], v[10:11], v[42:43]
	v_max3_f32 v39, v39, |v22|, |v23|
	;; [unrolled: 5-line block ×3, first 2 shown]
	v_max3_f32 v39, v39, |v16|, |v17|
	s_nop 1
	v_mov_b32_dpp v40, v39 quad_perm:[1,0,3,2] row_mask:0xf bank_mask:0xf
	v_cmp_gt_f32_e64 s[4:5], v39, v40
	v_cndmask_b32_e64 v39, v40, v39, s[4:5]
	s_nop 1
	v_mov_b32_dpp v40, v39 quad_perm:[2,3,0,1] row_mask:0xf bank_mask:0xf
	v_cmp_gt_f32_e64 s[4:5], v39, v40
	v_cndmask_b32_e64 v39, v40, v39, s[4:5]
	s_nop 1
	v_mov_b32_dpp v40, v39 row_half_mirror row_mask:0xf bank_mask:0xf
	v_cmp_gt_f32_e64 s[4:5], v39, v40
	v_cndmask_b32_e64 v39, v40, v39, s[4:5]
	s_nop 1
	v_mov_b32_dpp v40, v39 row_mirror row_mask:0xf bank_mask:0xf
	v_cmp_gt_f32_e64 s[4:5], v39, v40
	v_cndmask_b32_e64 v39, v40, v39, s[4:5]
	s_nop 1
	v_mov_b32_dpp v40, v39 row_bcast:15 row_mask:0xf bank_mask:0xf
	v_cmp_gt_f32_e64 s[4:5], v39, v40
	v_cndmask_b32_e64 v39, v40, v39, s[4:5]
	s_nop 1
	v_mov_b32_dpp v40, v39 row_bcast:31 row_mask:0xf bank_mask:0xf
	s_and_saveexec_b64 s[28:29], s[0:1]
	s_cbranch_execz .LBB87_16
; %bb.15:
	v_cmp_gt_f32_e64 s[4:5], v39, v40
	v_cndmask_b32_e64 v39, v40, v39, s[4:5]
	ds_write_b32 v34, v39
.LBB87_16:
	s_or_b64 exec, exec, s[28:29]
	s_waitcnt lgkmcnt(0)
	s_barrier
	ds_read_b32 v39, v35
	s_abs_i32 s7, s9
	v_cvt_f32_u32_e32 v41, s7
	s_waitcnt lgkmcnt(0)
	v_mov_b32_dpp v40, v39 quad_perm:[1,0,3,2] row_mask:0xf bank_mask:0xf
	v_cmp_gt_f32_e64 s[4:5], v39, v40
	v_cndmask_b32_e64 v39, v40, v39, s[4:5]
	v_rcp_iflag_f32_e32 v41, v41
	s_nop 0
	v_mov_b32_dpp v40, v39 quad_perm:[2,3,0,1] row_mask:0xf bank_mask:0xf
	v_cmp_gt_f32_e64 s[4:5], v39, v40
	v_cndmask_b32_e64 v39, v40, v39, s[4:5]
	s_nop 1
	v_mov_b32_dpp v40, v39 row_half_mirror row_mask:0xf bank_mask:0xf
	v_cmp_gt_f32_e64 s[4:5], v39, v40
	v_cndmask_b32_e64 v39, v40, v39, s[4:5]
	v_mul_f32_e32 v40, 0x4f7ffffe, v41
	v_cvt_u32_f32_e32 v40, v40
	s_sub_i32 s5, 0, s7
	s_ashr_i32 s4, s9, 31
	s_xor_b32 s4, s41, s4
	v_readfirstlane_b32 s28, v40
	s_mul_i32 s5, s5, s28
	s_mul_hi_u32 s5, s28, s5
	s_add_i32 s28, s28, s5
	s_mul_hi_u32 s5, s27, s28
	s_mul_i32 s28, s5, s7
	s_sub_i32 s27, s27, s28
	s_add_i32 s28, s5, 1
	s_sub_i32 s29, s27, s7
	s_cmp_ge_u32 s27, s7
	s_cselect_b32 s5, s28, s5
	s_cselect_b32 s27, s29, s27
	s_add_i32 s28, s5, 1
	s_cmp_ge_u32 s27, s7
	s_cselect_b32 s5, s28, s5
	s_xor_b32 s5, s5, s4
	s_sub_i32 s4, s5, s4
	s_mul_i32 s5, s4, s9
	s_sub_i32 s5, s40, s5
	s_mul_i32 s5, s5, s14
	s_mul_i32 s4, s4, s13
	v_mul_f32_e32 v39, 0x3b124925, v39
	s_add_i32 s28, s5, s4
	s_and_saveexec_b64 s[4:5], vcc
	s_cbranch_execz .LBB87_18
; %bb.17:
	s_ashr_i32 s29, s28, 31
	s_lshl_b64 s[36:37], s[28:29], 2
	s_add_u32 s36, s18, s36
	s_addc_u32 s37, s19, s37
	v_mov_b32_e32 v40, 0
	global_store_dword v40, v39, s[36:37]
.LBB87_18:
	s_or_b64 exec, exec, s[4:5]
	s_and_saveexec_b64 s[4:5], s[2:3]
	s_cbranch_execz .LBB87_20
; %bb.19:
	v_rcp_f32_e32 v40, v39
	v_mov_b32_e32 v39, 0xc3e00000
	v_mov_b32_e32 v42, 0x43e00000
	s_mul_i32 s27, s28, s15
	v_mov_b32_e32 v41, v40
	;;#ASMSTART
	v_pk_mul_f32 v[30:31], v[30:31], v[40:41]
	;;#ASMEND
	;;#ASMSTART
	v_med3_f32 v30, v30, v39, v42
v_med3_f32 v31, v31, v39, v42
v_cvt_pk_fp8_f32 v43, v30, v31
	;;#ASMEND
	;;#ASMSTART
	v_pk_mul_f32 v[28:29], v[28:29], v[40:41]
	;;#ASMEND
	;;#ASMSTART
	v_med3_f32 v28, v28, v39, v42
v_med3_f32 v29, v29, v39, v42
v_cvt_pk_fp8_f32 v30, v28, v29
	;;#ASMEND
	;;#ASMSTART
	v_pk_mul_f32 v[26:27], v[26:27], v[40:41]
	;;#ASMEND
	s_mul_hi_i32 s7, s28, s15
	s_add_u32 s36, s16, s27
	;;#ASMSTART
	v_med3_f32 v26, v26, v39, v42
v_med3_f32 v27, v27, v39, v42
v_cvt_pk_fp8_f32 v29, v26, v27
	;;#ASMEND
	;;#ASMSTART
	v_pk_mul_f32 v[24:25], v[24:25], v[40:41]
	;;#ASMEND
	s_addc_u32 s7, s17, s7
	;;#ASMSTART
	v_med3_f32 v24, v24, v39, v42
v_med3_f32 v25, v25, v39, v42
v_cvt_pk_fp8_f32 v26, v24, v25
	;;#ASMEND
	;;#ASMSTART
	v_pk_mul_f32 v[22:23], v[22:23], v[40:41]
	;;#ASMEND
	s_and_b32 s37, s7, 0xffff
	s_mov_b32 s7, 0x5040100
	;;#ASMSTART
	v_med3_f32 v22, v22, v39, v42
v_med3_f32 v23, v23, v39, v42
v_cvt_pk_fp8_f32 v24, v22, v23
	;;#ASMEND
	;;#ASMSTART
	v_pk_mul_f32 v[20:21], v[20:21], v[40:41]
	;;#ASMEND
	v_perm_b32 v28, v30, v43, s7
	s_mov_b32 s7, 0x1060504
	;;#ASMSTART
	v_med3_f32 v20, v20, v39, v42
v_med3_f32 v21, v21, v39, v42
v_cvt_pk_fp8_f32 v22, v20, v21
	;;#ASMEND
	;;#ASMSTART
	v_pk_mul_f32 v[18:19], v[18:19], v[40:41]
	;;#ASMEND
	v_perm_b32 v28, v28, v30, s7
	s_mov_b32 s7, 0x1000504
	;;#ASMSTART
	v_med3_f32 v18, v18, v39, v42
v_med3_f32 v19, v19, v39, v42
v_cvt_pk_fp8_f32 v20, v18, v19
	;;#ASMEND
	;;#ASMSTART
	v_pk_mul_f32 v[16:17], v[16:17], v[40:41]
	;;#ASMEND
	s_mov_b32 s39, 0x20000
	v_perm_b32 v29, v29, v26, s7
	v_perm_b32 v30, v24, v22, s7
	;;#ASMSTART
	v_med3_f32 v16, v16, v39, v42
v_med3_f32 v17, v17, v39, v42
v_cvt_pk_fp8_f32 v18, v16, v17
	;;#ASMEND
	v_perm_b32 v31, v20, v18, s7
	buffer_store_dwordx4 v[28:31], v36, s[36:39], 0 offen
	;;#ASMSTART
	s_nop 0
	;;#ASMEND
.LBB87_20:
	s_or_b64 exec, exec, s[4:5]
	s_cmp_eq_u32 s8, 1
	s_mov_b32 s41, 1
	s_cbranch_scc1 .LBB87_35
.LBB87_21:
	s_abs_i32 s44, s9
	v_cvt_f32_u32_e32 v16, s44
	s_sub_i32 s4, 0, s44
	s_ashr_i32 s45, s9, 31
	v_add_u32_e32 v38, 4, v38
	v_rcp_iflag_f32_e32 v16, v16
	s_mov_b32 s31, 0x20000
	s_mov_b32 s46, 0x2edbe6ff
	v_mov_b32_e32 v39, 0
	v_mul_f32_e32 v16, 0x4f7ffffe, v16
	v_cvt_u32_f32_e32 v16, v16
	v_mov_b32_e32 v40, 0xc3e00000
	v_mov_b32_e32 v41, 0x43e00000
	s_mov_b32 s47, 0x5040100
	v_readfirstlane_b32 s5, v16
	s_mul_i32 s4, s4, s5
	s_mul_hi_u32 s4, s5, s4
	s_add_i32 s48, s5, s4
	s_mov_b32 s49, 0x1060504
	s_mov_b32 s50, 0x1000504
	s_branch .LBB87_24
.LBB87_22:                              ;   in Loop: Header=BB87_24 Depth=1
	s_or_b64 exec, exec, s[4:5]
.LBB87_23:                              ;   in Loop: Header=BB87_24 Depth=1
	s_add_i32 s41, s41, 1
	s_cmp_eq_u32 s8, s41
	v_add_u32_e32 v38, 4, v38
	s_cbranch_scc1 .LBB87_35
.LBB87_24:                              ; =>This Inner Loop Header: Depth=1
	s_and_b32 s4, s41, 63
	s_cmp_lg_u32 s4, 0
	s_cbranch_scc1 .LBB87_26
; %bb.25:                               ;   in Loop: Header=BB87_24 Depth=1
	s_mov_b32 s27, s31
	buffer_load_dword v16, v38, s[24:27], 0 offen
	s_waitcnt vmcnt(0)
	v_lshlrev_b32_e32 v16, 2, v16
	ds_read_b32 v37, v16
.LBB87_26:                              ;   in Loop: Header=BB87_24 Depth=1
	s_waitcnt lgkmcnt(0)
	v_readlane_b32 s28, v37, s4
	s_cmp_lt_i32 s28, 0
	s_cbranch_scc1 .LBB87_23
; %bb.27:                               ;   in Loop: Header=BB87_24 Depth=1
	s_add_i32 s27, s40, s41
	s_abs_i32 s36, s27
	s_mul_hi_u32 s5, s36, s42
	s_mul_i32 s7, s5, s34
	s_ashr_i32 s37, s27, 31
	s_sub_i32 s7, s36, s7
	s_xor_b32 s4, s37, s33
	s_add_i32 s29, s5, 1
	s_sub_i32 s39, s7, s34
	s_cmp_ge_u32 s7, s34
	s_cselect_b32 s5, s29, s5
	s_cselect_b32 s7, s39, s7
	s_add_i32 s29, s5, 1
	s_cmp_ge_u32 s7, s34
	s_cselect_b32 s5, s29, s5
	s_xor_b32 s5, s5, s4
	s_sub_i32 s4, s5, s4
	s_mul_i32 s5, s4, s10
	s_sub_i32 s5, s27, s5
	s_mul_i32 s29, s5, s12
	s_mul_i32 s4, s4, s11
	s_add_i32 s29, s29, s4
	s_cmp_eq_u32 s29, s43
	s_cbranch_scc1 .LBB87_29
; %bb.28:                               ;   in Loop: Header=BB87_24 Depth=1
	s_mul_hi_i32 s5, s29, s15
	s_mul_i32 s4, s29, s15
	s_lshl_b64 s[4:5], s[4:5], 1
	s_add_u32 s4, s20, s4
	s_addc_u32 s5, s21, s5
	s_and_b32 s5, s5, 0xffff
	s_mov_b32 s7, s31
	buffer_load_dwordx4 v[6:9], v32, s[4:7], 0 offen
	buffer_load_dwordx4 v[14:17], v32, s[4:7], 16 offen
	s_mov_b32 s43, s29
	s_waitcnt vmcnt(1)
	v_cvt_f32_u32_sdwa v1, v6 dst_sel:DWORD dst_unused:UNUSED_PAD src0_sel:WORD_1
	v_cvt_f32_u32_sdwa v0, v6 dst_sel:DWORD dst_unused:UNUSED_PAD src0_sel:WORD_0
	v_cvt_f32_u32_sdwa v3, v7 dst_sel:DWORD dst_unused:UNUSED_PAD src0_sel:WORD_1
	v_cvt_f32_u32_sdwa v2, v7 dst_sel:DWORD dst_unused:UNUSED_PAD src0_sel:WORD_0
	;; [unrolled: 2-line block ×4, first 2 shown]
	s_waitcnt vmcnt(0)
	v_cvt_f32_u32_sdwa v9, v14 dst_sel:DWORD dst_unused:UNUSED_PAD src0_sel:WORD_1
	v_cvt_f32_u32_sdwa v8, v14 dst_sel:DWORD dst_unused:UNUSED_PAD src0_sel:WORD_0
	v_cvt_f32_u32_sdwa v11, v15 dst_sel:DWORD dst_unused:UNUSED_PAD src0_sel:WORD_1
	v_cvt_f32_u32_sdwa v10, v15 dst_sel:DWORD dst_unused:UNUSED_PAD src0_sel:WORD_0
	;; [unrolled: 2-line block ×4, first 2 shown]
.LBB87_29:                              ;   in Loop: Header=BB87_24 Depth=1
	s_mul_i32 s4, s28, s35
	s_ashr_i32 s5, s4, 31
	s_lshl_b64 s[4:5], s[4:5], 2
	s_add_u32 s28, s22, s4
	s_addc_u32 s4, s23, s5
	s_and_b32 s29, s4, 0xffff
	buffer_load_dwordx4 v[16:19], v33, s[28:31], 0 offen
	buffer_load_dwordx4 v[20:23], v33, s[28:31], 16 offen
	buffer_load_dwordx4 v[42:45], v33, s[28:31], 32 offen
	buffer_load_dwordx4 v[46:49], v33, s[28:31], 48 offen
	s_waitcnt vmcnt(3)
	v_pk_mul_f32 v[30:31], v[0:1], v[16:17]
	v_pk_mul_f32 v[28:29], v[2:3], v[18:19]
	s_waitcnt vmcnt(2)
	v_pk_mul_f32 v[24:25], v[6:7], v[22:23]
	s_waitcnt vmcnt(1)
	v_pk_mul_f32 v[22:23], v[8:9], v[42:43]
	v_max3_f32 v42, |v30|, s46, |v31|
	v_pk_mul_f32 v[26:27], v[4:5], v[20:21]
	v_max3_f32 v42, v42, |v28|, |v29|
	v_max3_f32 v42, v42, |v26|, |v27|
	;; [unrolled: 1-line block ×3, first 2 shown]
	v_pk_mul_f32 v[20:21], v[10:11], v[44:45]
	v_max3_f32 v42, v42, |v22|, |v23|
	s_waitcnt vmcnt(0)
	v_pk_mul_f32 v[18:19], v[12:13], v[46:47]
	v_max3_f32 v42, v42, |v20|, |v21|
	v_pk_mul_f32 v[16:17], v[14:15], v[48:49]
	v_max3_f32 v42, v42, |v18|, |v19|
	v_max3_f32 v42, v42, |v16|, |v17|
	s_nop 1
	v_mov_b32_dpp v43, v42 quad_perm:[1,0,3,2] row_mask:0xf bank_mask:0xf
	v_cmp_gt_f32_e64 s[4:5], v42, v43
	v_cndmask_b32_e64 v42, v43, v42, s[4:5]
	s_nop 1
	v_mov_b32_dpp v43, v42 quad_perm:[2,3,0,1] row_mask:0xf bank_mask:0xf
	v_cmp_gt_f32_e64 s[4:5], v42, v43
	v_cndmask_b32_e64 v42, v43, v42, s[4:5]
	s_nop 1
	v_mov_b32_dpp v43, v42 row_half_mirror row_mask:0xf bank_mask:0xf
	v_cmp_gt_f32_e64 s[4:5], v42, v43
	v_cndmask_b32_e64 v42, v43, v42, s[4:5]
	s_nop 1
	v_mov_b32_dpp v43, v42 row_mirror row_mask:0xf bank_mask:0xf
	v_cmp_gt_f32_e64 s[4:5], v42, v43
	v_cndmask_b32_e64 v42, v43, v42, s[4:5]
	s_nop 1
	v_mov_b32_dpp v43, v42 row_bcast:15 row_mask:0xf bank_mask:0xf
	v_cmp_gt_f32_e64 s[4:5], v42, v43
	v_cndmask_b32_e64 v42, v43, v42, s[4:5]
	s_nop 1
	v_mov_b32_dpp v43, v42 row_bcast:31 row_mask:0xf bank_mask:0xf
	s_and_saveexec_b64 s[28:29], s[0:1]
	s_cbranch_execz .LBB87_31
; %bb.30:                               ;   in Loop: Header=BB87_24 Depth=1
	v_cmp_gt_f32_e64 s[4:5], v42, v43
	v_cndmask_b32_e64 v42, v43, v42, s[4:5]
	ds_write_b32 v34, v42
.LBB87_31:                              ;   in Loop: Header=BB87_24 Depth=1
	s_or_b64 exec, exec, s[28:29]
	s_waitcnt lgkmcnt(0)
	s_barrier
	ds_read_b32 v42, v35
	s_waitcnt lgkmcnt(0)
	s_nop 0
	v_mov_b32_dpp v43, v42 quad_perm:[1,0,3,2] row_mask:0xf bank_mask:0xf
	v_cmp_gt_f32_e64 s[4:5], v42, v43
	v_cndmask_b32_e64 v42, v43, v42, s[4:5]
	s_nop 1
	v_mov_b32_dpp v43, v42 quad_perm:[2,3,0,1] row_mask:0xf bank_mask:0xf
	v_cmp_gt_f32_e64 s[4:5], v42, v43
	v_cndmask_b32_e64 v42, v43, v42, s[4:5]
	s_nop 1
	v_mov_b32_dpp v43, v42 row_half_mirror row_mask:0xf bank_mask:0xf
	v_cmp_gt_f32_e64 s[4:5], v42, v43
	v_cndmask_b32_e64 v42, v43, v42, s[4:5]
	s_mul_hi_u32 s5, s36, s48
	s_mul_i32 s7, s5, s44
	s_sub_i32 s7, s36, s7
	s_xor_b32 s4, s37, s45
	s_add_i32 s28, s5, 1
	s_sub_i32 s29, s7, s44
	s_cmp_ge_u32 s7, s44
	s_cselect_b32 s5, s28, s5
	s_cselect_b32 s7, s29, s7
	s_add_i32 s28, s5, 1
	s_cmp_ge_u32 s7, s44
	s_cselect_b32 s5, s28, s5
	s_xor_b32 s5, s5, s4
	s_sub_i32 s4, s5, s4
	s_mul_i32 s5, s4, s9
	s_sub_i32 s5, s27, s5
	s_mul_i32 s5, s5, s14
	s_mul_i32 s4, s4, s13
	v_mul_f32_e32 v42, 0x3b124925, v42
	s_add_i32 s28, s5, s4
	s_and_saveexec_b64 s[4:5], vcc
	s_cbranch_execz .LBB87_33
; %bb.32:                               ;   in Loop: Header=BB87_24 Depth=1
	s_ashr_i32 s29, s28, 31
	s_lshl_b64 s[36:37], s[28:29], 2
	s_add_u32 s36, s18, s36
	s_addc_u32 s37, s19, s37
	global_store_dword v39, v42, s[36:37]
.LBB87_33:                              ;   in Loop: Header=BB87_24 Depth=1
	s_or_b64 exec, exec, s[4:5]
	s_and_saveexec_b64 s[4:5], s[2:3]
	s_cbranch_execz .LBB87_22
; %bb.34:                               ;   in Loop: Header=BB87_24 Depth=1
	v_rcp_f32_e32 v42, v42
	s_mul_i32 s27, s28, s15
	s_mul_hi_i32 s7, s28, s15
	s_add_u32 s36, s16, s27
	v_mov_b32_e32 v43, v42
	;;#ASMSTART
	v_pk_mul_f32 v[30:31], v[30:31], v[42:43]
	;;#ASMEND
	;;#ASMSTART
	v_med3_f32 v30, v30, v40, v41
v_med3_f32 v31, v31, v40, v41
v_cvt_pk_fp8_f32 v44, v30, v31
	;;#ASMEND
	;;#ASMSTART
	v_pk_mul_f32 v[28:29], v[28:29], v[42:43]
	;;#ASMEND
	;;#ASMSTART
	v_med3_f32 v28, v28, v40, v41
v_med3_f32 v29, v29, v40, v41
v_cvt_pk_fp8_f32 v30, v28, v29
	;;#ASMEND
	;; [unrolled: 8-line block ×6, first 2 shown]
	;;#ASMSTART
	v_pk_mul_f32 v[18:19], v[18:19], v[42:43]
	;;#ASMEND
	s_addc_u32 s7, s17, s7
	v_perm_b32 v28, v30, v44, s47
	;;#ASMSTART
	v_med3_f32 v18, v18, v40, v41
v_med3_f32 v19, v19, v40, v41
v_cvt_pk_fp8_f32 v20, v18, v19
	;;#ASMEND
	;;#ASMSTART
	v_pk_mul_f32 v[16:17], v[16:17], v[42:43]
	;;#ASMEND
	s_and_b32 s37, s7, 0xffff
	s_mov_b32 s39, s31
	v_perm_b32 v28, v28, v30, s49
	v_perm_b32 v29, v29, v26, s50
	;; [unrolled: 1-line block ×3, first 2 shown]
	;;#ASMSTART
	v_med3_f32 v16, v16, v40, v41
v_med3_f32 v17, v17, v40, v41
v_cvt_pk_fp8_f32 v18, v16, v17
	;;#ASMEND
	v_perm_b32 v31, v20, v18, s50
	buffer_store_dwordx4 v[28:31], v36, s[36:39], 0 offen
	;;#ASMSTART
	s_nop 0
	;;#ASMEND
	s_branch .LBB87_22
.LBB87_35:
	s_endpgm
	.section	.rodata,"a",@progbits
	.p2align	6, 0x0
	.amdhsa_kernel _ZN5aiter36smooth_per_token_scaled_quant_kernelItDB8_Li512ELi16ELb1ELb1ELb1ELi1024EEEvPT0_PfPT_S4_PiS7_iiPKiiiiiiiii
		.amdhsa_group_segment_fixed_size 4128
		.amdhsa_private_segment_fixed_size 0
		.amdhsa_kernarg_size 96
		.amdhsa_user_sgpr_count 6
		.amdhsa_user_sgpr_private_segment_buffer 1
		.amdhsa_user_sgpr_dispatch_ptr 0
		.amdhsa_user_sgpr_queue_ptr 0
		.amdhsa_user_sgpr_kernarg_segment_ptr 1
		.amdhsa_user_sgpr_dispatch_id 0
		.amdhsa_user_sgpr_flat_scratch_init 0
		.amdhsa_user_sgpr_kernarg_preload_length 0
		.amdhsa_user_sgpr_kernarg_preload_offset 0
		.amdhsa_user_sgpr_private_segment_size 0
		.amdhsa_uses_dynamic_stack 0
		.amdhsa_system_sgpr_private_segment_wavefront_offset 0
		.amdhsa_system_sgpr_workgroup_id_x 1
		.amdhsa_system_sgpr_workgroup_id_y 0
		.amdhsa_system_sgpr_workgroup_id_z 0
		.amdhsa_system_sgpr_workgroup_info 0
		.amdhsa_system_vgpr_workitem_id 0
		.amdhsa_next_free_vgpr 50
		.amdhsa_next_free_sgpr 51
		.amdhsa_accum_offset 52
		.amdhsa_reserve_vcc 1
		.amdhsa_reserve_flat_scratch 0
		.amdhsa_float_round_mode_32 0
		.amdhsa_float_round_mode_16_64 0
		.amdhsa_float_denorm_mode_32 3
		.amdhsa_float_denorm_mode_16_64 3
		.amdhsa_dx10_clamp 1
		.amdhsa_ieee_mode 1
		.amdhsa_fp16_overflow 0
		.amdhsa_tg_split 0
		.amdhsa_exception_fp_ieee_invalid_op 0
		.amdhsa_exception_fp_denorm_src 0
		.amdhsa_exception_fp_ieee_div_zero 0
		.amdhsa_exception_fp_ieee_overflow 0
		.amdhsa_exception_fp_ieee_underflow 0
		.amdhsa_exception_fp_ieee_inexact 0
		.amdhsa_exception_int_div_zero 0
	.end_amdhsa_kernel
	.section	.text._ZN5aiter36smooth_per_token_scaled_quant_kernelItDB8_Li512ELi16ELb1ELb1ELb1ELi1024EEEvPT0_PfPT_S4_PiS7_iiPKiiiiiiiii,"axG",@progbits,_ZN5aiter36smooth_per_token_scaled_quant_kernelItDB8_Li512ELi16ELb1ELb1ELb1ELi1024EEEvPT0_PfPT_S4_PiS7_iiPKiiiiiiiii,comdat
.Lfunc_end87:
	.size	_ZN5aiter36smooth_per_token_scaled_quant_kernelItDB8_Li512ELi16ELb1ELb1ELb1ELi1024EEEvPT0_PfPT_S4_PiS7_iiPKiiiiiiiii, .Lfunc_end87-_ZN5aiter36smooth_per_token_scaled_quant_kernelItDB8_Li512ELi16ELb1ELb1ELb1ELi1024EEEvPT0_PfPT_S4_PiS7_iiPKiiiiiiiii
                                        ; -- End function
	.section	.AMDGPU.csdata,"",@progbits
; Kernel info:
; codeLenInByte = 3496
; NumSgprs: 55
; NumVgprs: 50
; NumAgprs: 0
; TotalNumVgprs: 50
; ScratchSize: 0
; MemoryBound: 0
; FloatMode: 240
; IeeeMode: 1
; LDSByteSize: 4128 bytes/workgroup (compile time only)
; SGPRBlocks: 6
; VGPRBlocks: 6
; NumSGPRsForWavesPerEU: 55
; NumVGPRsForWavesPerEU: 50
; AccumOffset: 52
; Occupancy: 8
; WaveLimiterHint : 0
; COMPUTE_PGM_RSRC2:SCRATCH_EN: 0
; COMPUTE_PGM_RSRC2:USER_SGPR: 6
; COMPUTE_PGM_RSRC2:TRAP_HANDLER: 0
; COMPUTE_PGM_RSRC2:TGID_X_EN: 1
; COMPUTE_PGM_RSRC2:TGID_Y_EN: 0
; COMPUTE_PGM_RSRC2:TGID_Z_EN: 0
; COMPUTE_PGM_RSRC2:TIDIG_COMP_CNT: 0
; COMPUTE_PGM_RSRC3_GFX90A:ACCUM_OFFSET: 12
; COMPUTE_PGM_RSRC3_GFX90A:TG_SPLIT: 0
	.section	.text._ZN5aiter36smooth_per_token_scaled_quant_kernelIDF16_DB8_Li512ELi16ELb1ELb1ELb0ELi1024EEEvPT0_PfPT_S4_PiS7_iiPKiiiiiiiii,"axG",@progbits,_ZN5aiter36smooth_per_token_scaled_quant_kernelIDF16_DB8_Li512ELi16ELb1ELb1ELb0ELi1024EEEvPT0_PfPT_S4_PiS7_iiPKiiiiiiiii,comdat
	.protected	_ZN5aiter36smooth_per_token_scaled_quant_kernelIDF16_DB8_Li512ELi16ELb1ELb1ELb0ELi1024EEEvPT0_PfPT_S4_PiS7_iiPKiiiiiiiii ; -- Begin function _ZN5aiter36smooth_per_token_scaled_quant_kernelIDF16_DB8_Li512ELi16ELb1ELb1ELb0ELi1024EEEvPT0_PfPT_S4_PiS7_iiPKiiiiiiiii
	.globl	_ZN5aiter36smooth_per_token_scaled_quant_kernelIDF16_DB8_Li512ELi16ELb1ELb1ELb0ELi1024EEEvPT0_PfPT_S4_PiS7_iiPKiiiiiiiii
	.p2align	8
	.type	_ZN5aiter36smooth_per_token_scaled_quant_kernelIDF16_DB8_Li512ELi16ELb1ELb1ELb0ELi1024EEEvPT0_PfPT_S4_PiS7_iiPKiiiiiiiii,@function
_ZN5aiter36smooth_per_token_scaled_quant_kernelIDF16_DB8_Li512ELi16ELb1ELb1ELb0ELi1024EEEvPT0_PfPT_S4_PiS7_iiPKiiiiiiiii: ; @_ZN5aiter36smooth_per_token_scaled_quant_kernelIDF16_DB8_Li512ELi16ELb1ELb1ELb0ELi1024EEEvPT0_PfPT_S4_PiS7_iiPKiiiiiiiii
; %bb.0:
	s_load_dwordx2 s[2:3], s[4:5], 0x38
	s_load_dwordx8 s[8:15], s[4:5], 0x40
	s_mov_b64 s[0:1], 0
	s_waitcnt lgkmcnt(0)
	s_cmp_lg_u64 s[2:3], 0
	s_cbranch_scc0 .LBB88_24
; %bb.1:
	s_load_dword s2, s[2:3], 0x0
	s_waitcnt lgkmcnt(0)
	s_mul_i32 s2, s2, s8
	s_andn2_b64 vcc, exec, s[0:1]
	s_cbranch_vccnz .LBB88_3
.LBB88_2:
	s_mul_i32 s2, s10, s9
.LBB88_3:
	s_load_dwordx2 s[34:35], s[4:5], 0x30
	s_abs_i32 s1, s2
	s_waitcnt lgkmcnt(0)
	s_abs_i32 s0, s34
	v_cvt_f32_u32_e32 v1, s0
	s_sub_i32 s7, 0, s0
	s_xor_b32 s3, s2, s34
	s_ashr_i32 s3, s3, 31
	v_rcp_iflag_f32_e32 v1, v1
	v_mul_f32_e32 v1, 0x4f7ffffe, v1
	v_cvt_u32_f32_e32 v1, v1
	v_readfirstlane_b32 s8, v1
	s_mul_i32 s7, s7, s8
	s_mul_hi_u32 s7, s8, s7
	s_add_i32 s8, s8, s7
	s_mul_hi_u32 s7, s1, s8
	s_mul_i32 s8, s7, s0
	s_sub_i32 s1, s1, s8
	s_add_i32 s15, s7, 1
	s_sub_i32 s8, s1, s0
	s_cmp_ge_u32 s1, s0
	s_cselect_b32 s7, s15, s7
	s_cselect_b32 s1, s8, s1
	s_add_i32 s8, s7, 1
	s_cmp_ge_u32 s1, s0
	s_cselect_b32 s0, s8, s7
	s_xor_b32 s0, s0, s3
	s_sub_i32 s8, s0, s3
	s_mul_i32 s0, s8, s34
	s_sub_i32 s2, s2, s0
	s_cmp_lt_u32 s6, s2
	s_cselect_b64 s[0:1], -1, 0
	s_add_i32 s7, s8, 1
	s_cmp_ge_u32 s6, s2
	s_cbranch_scc0 .LBB88_5
; %bb.4:
	s_mul_i32 s3, s2, s7
	s_sub_i32 s2, s6, s2
	s_mul_i32 s2, s2, s8
	s_add_i32 s40, s2, s3
	s_cbranch_execz .LBB88_6
	s_branch .LBB88_7
.LBB88_5:
                                        ; implicit-def: $sgpr40
.LBB88_6:
	s_mul_i32 s40, s7, s6
.LBB88_7:
	v_cndmask_b32_e64 v1, 0, 1, s[0:1]
	v_readfirstlane_b32 s0, v1
	s_add_i32 s8, s8, s0
	s_cmp_lt_i32 s8, 1
	s_cbranch_scc1 .LBB88_23
; %bb.8:
	s_load_dwordx2 s[0:1], s[4:5], 0x20
	s_load_dwordx8 s[16:23], s[4:5], 0x0
	s_ashr_i32 s41, s40, 31
	s_lshl_b64 s[2:3], s[40:41], 2
	v_lshrrev_b32_e32 v2, 4, v0
	s_waitcnt lgkmcnt(0)
	s_add_u32 s24, s0, s2
	s_addc_u32 s0, s1, s3
	v_and_b32_e32 v74, 60, v2
	v_and_b32_e32 v2, 7, v0
	s_abs_i32 s34, s10
	v_lshlrev_b32_e32 v75, 2, v2
	v_cvt_f32_u32_e32 v2, s34
	s_add_i32 s2, s35, 15
	s_ashr_i32 s3, s2, 31
	s_lshr_b32 s3, s3, 28
	v_rcp_iflag_f32_e32 v2, v2
	s_add_i32 s2, s2, s3
	s_ashr_i32 s2, s2, 4
	s_abs_i32 s41, s9
	v_and_b32_e32 v1, 63, v0
	s_and_b32 s25, s0, 0xffff
	v_lshlrev_b32_e32 v72, 5, v0
	v_lshlrev_b32_e32 v73, 6, v0
	v_cmp_eq_u32_e64 s[0:1], 0, v0
	v_cmp_gt_u32_e64 s[2:3], s2, v0
	v_lshlrev_b32_e32 v76, 4, v0
	v_mul_f32_e32 v0, 0x4f7ffffe, v2
	v_cvt_f32_u32_e32 v2, s41
	v_cvt_u32_f32_e32 v0, v0
	s_add_i32 s4, s35, 3
	s_ashr_i32 s5, s4, 31
	v_rcp_iflag_f32_e32 v2, v2
	s_lshr_b32 s5, s5, 30
	s_add_i32 s4, s4, s5
	v_readfirstlane_b32 s5, v0
	v_mul_f32_e32 v0, 0x4f7ffffe, v2
	v_cvt_u32_f32_e32 v0, v0
	s_and_b32 s38, s4, -4
	s_sub_i32 s4, 0, s34
	s_mul_i32 s4, s4, s5
	s_mul_hi_u32 s4, s5, s4
	v_cmp_eq_u32_e32 vcc, 63, v1
	s_add_i32 s43, s5, s4
	v_readfirstlane_b32 s5, v0
	v_lshlrev_b32_e32 v77, 2, v1
                                        ; implicit-def: $vgpr0_vgpr1_vgpr2_vgpr3_vgpr4_vgpr5_vgpr6_vgpr7_vgpr8_vgpr9_vgpr10_vgpr11_vgpr12_vgpr13_vgpr14_vgpr15
                                        ; implicit-def: $vgpr4_vgpr5_vgpr6_vgpr7_vgpr8_vgpr9_vgpr10_vgpr11_vgpr12_vgpr13_vgpr14_vgpr15_vgpr16_vgpr17_vgpr18_vgpr19
	s_sub_i32 s4, 0, s41
                                        ; implicit-def: $vgpr10_vgpr11_vgpr12_vgpr13_vgpr14_vgpr15_vgpr16_vgpr17_vgpr18_vgpr19_vgpr20_vgpr21_vgpr22_vgpr23_vgpr24_vgpr25
	s_mul_i32 s4, s4, s5
                                        ; implicit-def: $vgpr18_vgpr19_vgpr20_vgpr21_vgpr22_vgpr23_vgpr24_vgpr25_vgpr26_vgpr27_vgpr28_vgpr29_vgpr30_vgpr31_vgpr32_vgpr33
	s_lshl_b32 s6, s8, 2
	s_mov_b32 s7, 0x20000
	s_mul_hi_u32 s4, s5, s4
                                        ; implicit-def: $vgpr28_vgpr29_vgpr30_vgpr31_vgpr32_vgpr33_vgpr34_vgpr35_vgpr36_vgpr37_vgpr38_vgpr39_vgpr40_vgpr41_vgpr42_vgpr43
	s_mov_b64 s[26:27], s[6:7]
	s_mov_b32 s15, s35
	s_lshl_b32 s30, s35, 1
	s_lshl_b32 s6, s35, 2
	s_mov_b32 s33, 0
	s_ashr_i32 s42, s10, 31
	s_ashr_i32 s44, s9, 31
	s_add_i32 s45, s5, s4
	s_mov_b32 s31, -1
	v_mov_b32_e32 v81, 0
	s_mov_b32 s46, 0x2edbe6ff
	v_mov_b32_e32 v78, 0
	v_mov_b32_e32 v79, 0xc3e00000
	;; [unrolled: 1-line block ×3, first 2 shown]
	s_mov_b32 s47, 0x5040100
	s_mov_b32 s48, 0x1060504
	;; [unrolled: 1-line block ×3, first 2 shown]
                                        ; implicit-def: $vgpr40_vgpr41_vgpr42_vgpr43_vgpr44_vgpr45_vgpr46_vgpr47_vgpr48_vgpr49_vgpr50_vgpr51_vgpr52_vgpr53_vgpr54_vgpr55
                                        ; implicit-def: $vgpr70
                                        ; implicit-def: $vgpr54_vgpr55_vgpr56_vgpr57_vgpr58_vgpr59_vgpr60_vgpr61_vgpr62_vgpr63_vgpr64_vgpr65_vgpr66_vgpr67_vgpr68_vgpr69
	s_branch .LBB88_11
.LBB88_9:                               ;   in Loop: Header=BB88_11 Depth=1
	s_or_b64 exec, exec, s[4:5]
.LBB88_10:                              ;   in Loop: Header=BB88_11 Depth=1
	s_add_i32 s33, s33, 1
	s_cmp_eq_u32 s8, s33
	v_add_u32_e32 v77, 4, v77
	s_cbranch_scc1 .LBB88_23
.LBB88_11:                              ; =>This Inner Loop Header: Depth=1
	s_and_b32 s4, s33, 63
	s_cmp_lg_u32 s4, 0
	s_cbranch_scc1 .LBB88_14
; %bb.12:                               ;   in Loop: Header=BB88_11 Depth=1
	buffer_load_dword v81, v77, s[24:27], 0 offen
	s_cmp_lg_u32 s33, 0
	s_waitcnt vmcnt(0)
	s_cbranch_scc1 .LBB88_14
; %bb.13:                               ;   in Loop: Header=BB88_11 Depth=1
	s_barrier
.LBB88_14:                              ;   in Loop: Header=BB88_11 Depth=1
	v_readlane_b32 s4, v81, s4
	s_cmp_lt_i32 s4, 0
	s_cbranch_scc1 .LBB88_10
; %bb.15:                               ;   in Loop: Header=BB88_11 Depth=1
	s_add_i32 s36, s40, s33
	s_abs_i32 s37, s36
	s_mul_hi_u32 s28, s37, s43
	s_mul_i32 s29, s28, s34
	s_ashr_i32 s39, s36, 31
	s_sub_i32 s29, s37, s29
	s_xor_b32 s5, s39, s42
	s_add_i32 s50, s28, 1
	s_sub_i32 s51, s29, s34
	s_cmp_ge_u32 s29, s34
	s_cselect_b32 s28, s50, s28
	s_cselect_b32 s29, s51, s29
	s_add_i32 s50, s28, 1
	s_cmp_ge_u32 s29, s34
	s_cselect_b32 s28, s50, s28
	s_xor_b32 s28, s28, s5
	s_sub_i32 s5, s28, s5
	s_mul_i32 s28, s5, s10
	s_sub_i32 s28, s36, s28
	s_mul_i32 s28, s28, s12
	s_mul_i32 s5, s5, s11
	s_add_i32 s5, s28, s5
	s_cmp_eq_u32 s5, s31
	s_cbranch_scc1 .LBB88_17
; %bb.16:                               ;   in Loop: Header=BB88_11 Depth=1
	s_mul_hi_i32 s29, s5, s15
	s_mul_i32 s28, s5, s15
	s_lshl_b64 s[28:29], s[28:29], 1
	s_add_u32 s28, s20, s28
	s_addc_u32 s29, s21, s29
	s_and_b32 s29, s29, 0xffff
	s_mov_b32 s31, s7
	buffer_load_dwordx4 v[2:5], v72, s[28:31], 0 offen
	buffer_load_dwordx4 v[10:13], v72, s[28:31], 16 offen
	s_mov_b32 s31, s5
	s_waitcnt vmcnt(1)
	v_cvt_f32_f16_e32 v70, v2
	v_cvt_f32_f16_sdwa v71, v2 dst_sel:DWORD dst_unused:UNUSED_PAD src0_sel:WORD_1
	v_cvt_f32_f16_e32 v2, v3
	v_cvt_f32_f16_sdwa v3, v3 dst_sel:DWORD dst_unused:UNUSED_PAD src0_sel:WORD_1
	;; [unrolled: 2-line block ×4, first 2 shown]
	s_waitcnt vmcnt(0)
	v_cvt_f32_f16_e32 v26, v10
	v_cvt_f32_f16_sdwa v27, v10 dst_sel:DWORD dst_unused:UNUSED_PAD src0_sel:WORD_1
	v_cvt_f32_f16_e32 v38, v11
	v_cvt_f32_f16_sdwa v39, v11 dst_sel:DWORD dst_unused:UNUSED_PAD src0_sel:WORD_1
	;; [unrolled: 2-line block ×4, first 2 shown]
.LBB88_17:                              ;   in Loop: Header=BB88_11 Depth=1
	s_mul_i32 s4, s4, s35
	s_ashr_i32 s5, s4, 31
	s_lshl_b64 s[4:5], s[4:5], 2
	s_add_u32 s4, s22, s4
	s_addc_u32 s5, s23, s5
	s_and_b32 s5, s5, 0xffff
	buffer_load_dwordx4 v[4:7], v73, s[4:7], 0 offen
	buffer_load_dwordx4 v[10:13], v73, s[4:7], 16 offen
	s_waitcnt vmcnt(1)
	v_pk_mul_f32 v[20:21], v[70:71], v[4:5]
	v_pk_mul_f32 v[18:19], v[2:3], v[6:7]
	buffer_load_dwordx4 v[4:7], v73, s[4:7], 32 offen
	buffer_load_dwordx4 v[22:25], v73, s[4:7], 48 offen
	s_waitcnt vmcnt(2)
	v_pk_mul_f32 v[14:15], v[8:9], v[10:11]
	v_pk_mul_f32 v[12:13], v[16:17], v[12:13]
	s_waitcnt vmcnt(1)
	v_pk_mul_f32 v[10:11], v[26:27], v[4:5]
	s_waitcnt vmcnt(0)
	v_pk_mul_f32 v[4:5], v[52:53], v[22:23]
	v_max3_f32 v22, |v20|, s46, |v21|
	v_max3_f32 v22, v22, |v18|, |v19|
	v_max3_f32 v22, v22, |v14|, |v15|
	;; [unrolled: 1-line block ×3, first 2 shown]
	v_pk_mul_f32 v[6:7], v[38:39], v[6:7]
	v_max3_f32 v22, v22, |v10|, |v11|
	v_max3_f32 v22, v22, |v6|, |v7|
	v_pk_mul_f32 v[0:1], v[68:69], v[24:25]
	v_max3_f32 v22, v22, |v4|, |v5|
	v_max3_f32 v22, v22, |v0|, |v1|
	s_nop 1
	v_mov_b32_dpp v23, v22 quad_perm:[1,0,3,2] row_mask:0xf bank_mask:0xf
	v_cmp_gt_f32_e64 s[4:5], v22, v23
	v_cndmask_b32_e64 v22, v23, v22, s[4:5]
	s_nop 1
	v_mov_b32_dpp v23, v22 quad_perm:[2,3,0,1] row_mask:0xf bank_mask:0xf
	v_cmp_gt_f32_e64 s[4:5], v22, v23
	v_cndmask_b32_e64 v22, v23, v22, s[4:5]
	s_nop 1
	v_mov_b32_dpp v23, v22 row_half_mirror row_mask:0xf bank_mask:0xf
	v_cmp_gt_f32_e64 s[4:5], v22, v23
	v_cndmask_b32_e64 v22, v23, v22, s[4:5]
	s_nop 1
	v_mov_b32_dpp v23, v22 row_mirror row_mask:0xf bank_mask:0xf
	v_cmp_gt_f32_e64 s[4:5], v22, v23
	v_cndmask_b32_e64 v22, v23, v22, s[4:5]
	s_nop 1
	v_mov_b32_dpp v23, v22 row_bcast:15 row_mask:0xf bank_mask:0xf
	v_cmp_gt_f32_e64 s[4:5], v22, v23
	v_cndmask_b32_e64 v22, v23, v22, s[4:5]
	s_nop 1
	v_mov_b32_dpp v23, v22 row_bcast:31 row_mask:0xf bank_mask:0xf
	s_and_saveexec_b64 s[28:29], vcc
	s_cbranch_execz .LBB88_19
; %bb.18:                               ;   in Loop: Header=BB88_11 Depth=1
	v_cmp_gt_f32_e64 s[4:5], v22, v23
	v_cndmask_b32_e64 v22, v23, v22, s[4:5]
	ds_write_b32 v74, v22
.LBB88_19:                              ;   in Loop: Header=BB88_11 Depth=1
	s_or_b64 exec, exec, s[28:29]
	s_waitcnt lgkmcnt(0)
	s_barrier
	ds_read_b32 v22, v75
	s_waitcnt lgkmcnt(0)
	s_nop 0
	v_mov_b32_dpp v23, v22 quad_perm:[1,0,3,2] row_mask:0xf bank_mask:0xf
	v_cmp_gt_f32_e64 s[4:5], v22, v23
	v_cndmask_b32_e64 v22, v23, v22, s[4:5]
	s_nop 1
	v_mov_b32_dpp v23, v22 quad_perm:[2,3,0,1] row_mask:0xf bank_mask:0xf
	v_cmp_gt_f32_e64 s[4:5], v22, v23
	v_cndmask_b32_e64 v22, v23, v22, s[4:5]
	s_nop 1
	v_mov_b32_dpp v23, v22 row_half_mirror row_mask:0xf bank_mask:0xf
	v_cmp_gt_f32_e64 s[4:5], v22, v23
	v_cndmask_b32_e64 v22, v23, v22, s[4:5]
	s_mul_hi_u32 s5, s37, s45
	s_mul_i32 s28, s5, s41
	s_sub_i32 s28, s37, s28
	s_xor_b32 s4, s39, s44
	s_add_i32 s29, s5, 1
	s_sub_i32 s37, s28, s41
	s_cmp_ge_u32 s28, s41
	s_cselect_b32 s5, s29, s5
	s_cselect_b32 s28, s37, s28
	s_add_i32 s29, s5, 1
	s_cmp_ge_u32 s28, s41
	s_cselect_b32 s5, s29, s5
	s_xor_b32 s5, s5, s4
	s_sub_i32 s4, s5, s4
	s_mul_i32 s5, s4, s9
	s_sub_i32 s5, s36, s5
	s_mul_i32 s5, s5, s14
	s_mul_i32 s4, s4, s13
	v_mul_f32_e32 v22, 0x3b124925, v22
	s_add_i32 s28, s5, s4
	s_and_saveexec_b64 s[4:5], s[0:1]
	s_cbranch_execz .LBB88_21
; %bb.20:                               ;   in Loop: Header=BB88_11 Depth=1
	s_ashr_i32 s29, s28, 31
	s_lshl_b64 s[36:37], s[28:29], 2
	s_add_u32 s36, s18, s36
	s_addc_u32 s37, s19, s37
	global_store_dword v78, v22, s[36:37]
.LBB88_21:                              ;   in Loop: Header=BB88_11 Depth=1
	s_or_b64 exec, exec, s[4:5]
	s_and_saveexec_b64 s[4:5], s[2:3]
	s_cbranch_execz .LBB88_9
; %bb.22:                               ;   in Loop: Header=BB88_11 Depth=1
	v_rcp_f32_e32 v22, v22
	s_mul_hi_i32 s29, s28, s15
	s_mul_i32 s28, s28, s15
	s_add_u32 s36, s16, s28
	v_mov_b32_e32 v23, v22
	;;#ASMSTART
	v_pk_mul_f32 v[20:21], v[20:21], v[22:23]
	;;#ASMEND
	;;#ASMSTART
	v_med3_f32 v20, v20, v79, v80
v_med3_f32 v21, v21, v79, v80
v_cvt_pk_fp8_f32 v24, v20, v21
	;;#ASMEND
	;;#ASMSTART
	v_pk_mul_f32 v[18:19], v[18:19], v[22:23]
	;;#ASMEND
	;;#ASMSTART
	v_med3_f32 v18, v18, v79, v80
v_med3_f32 v19, v19, v79, v80
v_cvt_pk_fp8_f32 v20, v18, v19
	;;#ASMEND
	;; [unrolled: 8-line block ×6, first 2 shown]
	;;#ASMSTART
	v_pk_mul_f32 v[4:5], v[4:5], v[22:23]
	;;#ASMEND
	s_addc_u32 s28, s17, s29
	v_perm_b32 v18, v20, v24, s47
	;;#ASMSTART
	v_med3_f32 v4, v4, v79, v80
v_med3_f32 v5, v5, v79, v80
v_cvt_pk_fp8_f32 v6, v4, v5
	;;#ASMEND
	;;#ASMSTART
	v_pk_mul_f32 v[0:1], v[0:1], v[22:23]
	;;#ASMEND
	s_and_b32 s37, s28, 0xffff
	s_mov_b32 s39, s7
	v_perm_b32 v18, v18, v20, s48
	v_perm_b32 v19, v19, v14, s49
	;; [unrolled: 1-line block ×3, first 2 shown]
	;;#ASMSTART
	v_med3_f32 v0, v0, v79, v80
v_med3_f32 v1, v1, v79, v80
v_cvt_pk_fp8_f32 v4, v0, v1
	;;#ASMEND
	v_perm_b32 v21, v6, v4, s49
	buffer_store_dwordx4 v[18:21], v76, s[36:39], 0 offen
	;;#ASMSTART
	s_nop 0
	;;#ASMEND
	s_branch .LBB88_9
.LBB88_23:
	s_endpgm
.LBB88_24:
                                        ; implicit-def: $sgpr2
	s_branch .LBB88_2
	.section	.rodata,"a",@progbits
	.p2align	6, 0x0
	.amdhsa_kernel _ZN5aiter36smooth_per_token_scaled_quant_kernelIDF16_DB8_Li512ELi16ELb1ELb1ELb0ELi1024EEEvPT0_PfPT_S4_PiS7_iiPKiiiiiiiii
		.amdhsa_group_segment_fixed_size 32
		.amdhsa_private_segment_fixed_size 0
		.amdhsa_kernarg_size 96
		.amdhsa_user_sgpr_count 6
		.amdhsa_user_sgpr_private_segment_buffer 1
		.amdhsa_user_sgpr_dispatch_ptr 0
		.amdhsa_user_sgpr_queue_ptr 0
		.amdhsa_user_sgpr_kernarg_segment_ptr 1
		.amdhsa_user_sgpr_dispatch_id 0
		.amdhsa_user_sgpr_flat_scratch_init 0
		.amdhsa_user_sgpr_kernarg_preload_length 0
		.amdhsa_user_sgpr_kernarg_preload_offset 0
		.amdhsa_user_sgpr_private_segment_size 0
		.amdhsa_uses_dynamic_stack 0
		.amdhsa_system_sgpr_private_segment_wavefront_offset 0
		.amdhsa_system_sgpr_workgroup_id_x 1
		.amdhsa_system_sgpr_workgroup_id_y 0
		.amdhsa_system_sgpr_workgroup_id_z 0
		.amdhsa_system_sgpr_workgroup_info 0
		.amdhsa_system_vgpr_workitem_id 0
		.amdhsa_next_free_vgpr 82
		.amdhsa_next_free_sgpr 52
		.amdhsa_accum_offset 84
		.amdhsa_reserve_vcc 1
		.amdhsa_reserve_flat_scratch 0
		.amdhsa_float_round_mode_32 0
		.amdhsa_float_round_mode_16_64 0
		.amdhsa_float_denorm_mode_32 3
		.amdhsa_float_denorm_mode_16_64 3
		.amdhsa_dx10_clamp 1
		.amdhsa_ieee_mode 1
		.amdhsa_fp16_overflow 0
		.amdhsa_tg_split 0
		.amdhsa_exception_fp_ieee_invalid_op 0
		.amdhsa_exception_fp_denorm_src 0
		.amdhsa_exception_fp_ieee_div_zero 0
		.amdhsa_exception_fp_ieee_overflow 0
		.amdhsa_exception_fp_ieee_underflow 0
		.amdhsa_exception_fp_ieee_inexact 0
		.amdhsa_exception_int_div_zero 0
	.end_amdhsa_kernel
	.section	.text._ZN5aiter36smooth_per_token_scaled_quant_kernelIDF16_DB8_Li512ELi16ELb1ELb1ELb0ELi1024EEEvPT0_PfPT_S4_PiS7_iiPKiiiiiiiii,"axG",@progbits,_ZN5aiter36smooth_per_token_scaled_quant_kernelIDF16_DB8_Li512ELi16ELb1ELb1ELb0ELi1024EEEvPT0_PfPT_S4_PiS7_iiPKiiiiiiiii,comdat
.Lfunc_end88:
	.size	_ZN5aiter36smooth_per_token_scaled_quant_kernelIDF16_DB8_Li512ELi16ELb1ELb1ELb0ELi1024EEEvPT0_PfPT_S4_PiS7_iiPKiiiiiiiii, .Lfunc_end88-_ZN5aiter36smooth_per_token_scaled_quant_kernelIDF16_DB8_Li512ELi16ELb1ELb1ELb0ELi1024EEEvPT0_PfPT_S4_PiS7_iiPKiiiiiiiii
                                        ; -- End function
	.section	.AMDGPU.csdata,"",@progbits
; Kernel info:
; codeLenInByte = 1900
; NumSgprs: 56
; NumVgprs: 82
; NumAgprs: 0
; TotalNumVgprs: 82
; ScratchSize: 0
; MemoryBound: 0
; FloatMode: 240
; IeeeMode: 1
; LDSByteSize: 32 bytes/workgroup (compile time only)
; SGPRBlocks: 6
; VGPRBlocks: 10
; NumSGPRsForWavesPerEU: 56
; NumVGPRsForWavesPerEU: 82
; AccumOffset: 84
; Occupancy: 5
; WaveLimiterHint : 0
; COMPUTE_PGM_RSRC2:SCRATCH_EN: 0
; COMPUTE_PGM_RSRC2:USER_SGPR: 6
; COMPUTE_PGM_RSRC2:TRAP_HANDLER: 0
; COMPUTE_PGM_RSRC2:TGID_X_EN: 1
; COMPUTE_PGM_RSRC2:TGID_Y_EN: 0
; COMPUTE_PGM_RSRC2:TGID_Z_EN: 0
; COMPUTE_PGM_RSRC2:TIDIG_COMP_CNT: 0
; COMPUTE_PGM_RSRC3_GFX90A:ACCUM_OFFSET: 20
; COMPUTE_PGM_RSRC3_GFX90A:TG_SPLIT: 0
	.section	.text._ZN5aiter36smooth_per_token_scaled_quant_kernelItDB8_Li512ELi16ELb1ELb1ELb0ELi1024EEEvPT0_PfPT_S4_PiS7_iiPKiiiiiiiii,"axG",@progbits,_ZN5aiter36smooth_per_token_scaled_quant_kernelItDB8_Li512ELi16ELb1ELb1ELb0ELi1024EEEvPT0_PfPT_S4_PiS7_iiPKiiiiiiiii,comdat
	.protected	_ZN5aiter36smooth_per_token_scaled_quant_kernelItDB8_Li512ELi16ELb1ELb1ELb0ELi1024EEEvPT0_PfPT_S4_PiS7_iiPKiiiiiiiii ; -- Begin function _ZN5aiter36smooth_per_token_scaled_quant_kernelItDB8_Li512ELi16ELb1ELb1ELb0ELi1024EEEvPT0_PfPT_S4_PiS7_iiPKiiiiiiiii
	.globl	_ZN5aiter36smooth_per_token_scaled_quant_kernelItDB8_Li512ELi16ELb1ELb1ELb0ELi1024EEEvPT0_PfPT_S4_PiS7_iiPKiiiiiiiii
	.p2align	8
	.type	_ZN5aiter36smooth_per_token_scaled_quant_kernelItDB8_Li512ELi16ELb1ELb1ELb0ELi1024EEEvPT0_PfPT_S4_PiS7_iiPKiiiiiiiii,@function
_ZN5aiter36smooth_per_token_scaled_quant_kernelItDB8_Li512ELi16ELb1ELb1ELb0ELi1024EEEvPT0_PfPT_S4_PiS7_iiPKiiiiiiiii: ; @_ZN5aiter36smooth_per_token_scaled_quant_kernelItDB8_Li512ELi16ELb1ELb1ELb0ELi1024EEEvPT0_PfPT_S4_PiS7_iiPKiiiiiiiii
; %bb.0:
	s_load_dwordx2 s[2:3], s[4:5], 0x38
	s_load_dwordx8 s[8:15], s[4:5], 0x40
	s_mov_b64 s[0:1], 0
	s_waitcnt lgkmcnt(0)
	s_cmp_lg_u64 s[2:3], 0
	s_cbranch_scc0 .LBB89_24
; %bb.1:
	s_load_dword s2, s[2:3], 0x0
	s_waitcnt lgkmcnt(0)
	s_mul_i32 s2, s2, s8
	s_andn2_b64 vcc, exec, s[0:1]
	s_cbranch_vccnz .LBB89_3
.LBB89_2:
	s_mul_i32 s2, s10, s9
.LBB89_3:
	s_load_dwordx2 s[34:35], s[4:5], 0x30
	s_abs_i32 s1, s2
	s_waitcnt lgkmcnt(0)
	s_abs_i32 s0, s34
	v_cvt_f32_u32_e32 v1, s0
	s_sub_i32 s7, 0, s0
	s_xor_b32 s3, s2, s34
	s_ashr_i32 s3, s3, 31
	v_rcp_iflag_f32_e32 v1, v1
	v_mul_f32_e32 v1, 0x4f7ffffe, v1
	v_cvt_u32_f32_e32 v1, v1
	v_readfirstlane_b32 s8, v1
	s_mul_i32 s7, s7, s8
	s_mul_hi_u32 s7, s8, s7
	s_add_i32 s8, s8, s7
	s_mul_hi_u32 s7, s1, s8
	s_mul_i32 s8, s7, s0
	s_sub_i32 s1, s1, s8
	s_add_i32 s15, s7, 1
	s_sub_i32 s8, s1, s0
	s_cmp_ge_u32 s1, s0
	s_cselect_b32 s7, s15, s7
	s_cselect_b32 s1, s8, s1
	s_add_i32 s8, s7, 1
	s_cmp_ge_u32 s1, s0
	s_cselect_b32 s0, s8, s7
	s_xor_b32 s0, s0, s3
	s_sub_i32 s8, s0, s3
	s_mul_i32 s0, s8, s34
	s_sub_i32 s2, s2, s0
	s_cmp_lt_u32 s6, s2
	s_cselect_b64 s[0:1], -1, 0
	s_add_i32 s7, s8, 1
	s_cmp_ge_u32 s6, s2
	s_cbranch_scc0 .LBB89_5
; %bb.4:
	s_mul_i32 s3, s2, s7
	s_sub_i32 s2, s6, s2
	s_mul_i32 s2, s2, s8
	s_add_i32 s40, s2, s3
	s_cbranch_execz .LBB89_6
	s_branch .LBB89_7
.LBB89_5:
                                        ; implicit-def: $sgpr40
.LBB89_6:
	s_mul_i32 s40, s7, s6
.LBB89_7:
	v_cndmask_b32_e64 v1, 0, 1, s[0:1]
	v_readfirstlane_b32 s0, v1
	s_add_i32 s8, s8, s0
	s_cmp_lt_i32 s8, 1
	s_cbranch_scc1 .LBB89_23
; %bb.8:
	s_load_dwordx2 s[0:1], s[4:5], 0x20
	s_load_dwordx8 s[16:23], s[4:5], 0x0
	s_ashr_i32 s41, s40, 31
	s_lshl_b64 s[2:3], s[40:41], 2
	v_lshrrev_b32_e32 v2, 4, v0
	s_waitcnt lgkmcnt(0)
	s_add_u32 s24, s0, s2
	s_addc_u32 s0, s1, s3
	v_and_b32_e32 v74, 60, v2
	v_and_b32_e32 v2, 7, v0
	s_abs_i32 s34, s10
	v_lshlrev_b32_e32 v75, 2, v2
	v_cvt_f32_u32_e32 v2, s34
	s_add_i32 s2, s35, 15
	s_ashr_i32 s3, s2, 31
	s_lshr_b32 s3, s3, 28
	v_rcp_iflag_f32_e32 v2, v2
	s_add_i32 s2, s2, s3
	s_ashr_i32 s2, s2, 4
	s_abs_i32 s41, s9
	v_and_b32_e32 v1, 63, v0
	s_and_b32 s25, s0, 0xffff
	v_lshlrev_b32_e32 v72, 5, v0
	v_lshlrev_b32_e32 v73, 6, v0
	v_cmp_eq_u32_e64 s[0:1], 0, v0
	v_cmp_gt_u32_e64 s[2:3], s2, v0
	v_lshlrev_b32_e32 v76, 4, v0
	v_mul_f32_e32 v0, 0x4f7ffffe, v2
	v_cvt_f32_u32_e32 v2, s41
	v_cvt_u32_f32_e32 v0, v0
	s_add_i32 s4, s35, 3
	s_ashr_i32 s5, s4, 31
	v_rcp_iflag_f32_e32 v2, v2
	s_lshr_b32 s5, s5, 30
	s_add_i32 s4, s4, s5
	v_readfirstlane_b32 s5, v0
	v_mul_f32_e32 v0, 0x4f7ffffe, v2
	v_cvt_u32_f32_e32 v0, v0
	s_and_b32 s38, s4, -4
	s_sub_i32 s4, 0, s34
	s_mul_i32 s4, s4, s5
	s_mul_hi_u32 s4, s5, s4
	v_cmp_eq_u32_e32 vcc, 63, v1
	s_add_i32 s43, s5, s4
	v_readfirstlane_b32 s5, v0
	v_lshlrev_b32_e32 v77, 2, v1
                                        ; implicit-def: $vgpr0_vgpr1_vgpr2_vgpr3_vgpr4_vgpr5_vgpr6_vgpr7_vgpr8_vgpr9_vgpr10_vgpr11_vgpr12_vgpr13_vgpr14_vgpr15
                                        ; implicit-def: $vgpr4_vgpr5_vgpr6_vgpr7_vgpr8_vgpr9_vgpr10_vgpr11_vgpr12_vgpr13_vgpr14_vgpr15_vgpr16_vgpr17_vgpr18_vgpr19
	s_sub_i32 s4, 0, s41
                                        ; implicit-def: $vgpr10_vgpr11_vgpr12_vgpr13_vgpr14_vgpr15_vgpr16_vgpr17_vgpr18_vgpr19_vgpr20_vgpr21_vgpr22_vgpr23_vgpr24_vgpr25
	s_mul_i32 s4, s4, s5
                                        ; implicit-def: $vgpr18_vgpr19_vgpr20_vgpr21_vgpr22_vgpr23_vgpr24_vgpr25_vgpr26_vgpr27_vgpr28_vgpr29_vgpr30_vgpr31_vgpr32_vgpr33
	s_lshl_b32 s6, s8, 2
	s_mov_b32 s7, 0x20000
	s_mul_hi_u32 s4, s5, s4
                                        ; implicit-def: $vgpr28_vgpr29_vgpr30_vgpr31_vgpr32_vgpr33_vgpr34_vgpr35_vgpr36_vgpr37_vgpr38_vgpr39_vgpr40_vgpr41_vgpr42_vgpr43
	s_mov_b64 s[26:27], s[6:7]
	s_mov_b32 s15, s35
	s_lshl_b32 s30, s35, 1
	s_lshl_b32 s6, s35, 2
	s_mov_b32 s33, 0
	s_ashr_i32 s42, s10, 31
	s_ashr_i32 s44, s9, 31
	s_add_i32 s45, s5, s4
	s_mov_b32 s31, -1
	v_mov_b32_e32 v81, 0
	s_mov_b32 s46, 0x2edbe6ff
	v_mov_b32_e32 v78, 0
	v_mov_b32_e32 v79, 0xc3e00000
	;; [unrolled: 1-line block ×3, first 2 shown]
	s_mov_b32 s47, 0x5040100
	s_mov_b32 s48, 0x1060504
	;; [unrolled: 1-line block ×3, first 2 shown]
                                        ; implicit-def: $vgpr40_vgpr41_vgpr42_vgpr43_vgpr44_vgpr45_vgpr46_vgpr47_vgpr48_vgpr49_vgpr50_vgpr51_vgpr52_vgpr53_vgpr54_vgpr55
                                        ; implicit-def: $vgpr70
                                        ; implicit-def: $vgpr54_vgpr55_vgpr56_vgpr57_vgpr58_vgpr59_vgpr60_vgpr61_vgpr62_vgpr63_vgpr64_vgpr65_vgpr66_vgpr67_vgpr68_vgpr69
	s_branch .LBB89_11
.LBB89_9:                               ;   in Loop: Header=BB89_11 Depth=1
	s_or_b64 exec, exec, s[4:5]
.LBB89_10:                              ;   in Loop: Header=BB89_11 Depth=1
	s_add_i32 s33, s33, 1
	s_cmp_eq_u32 s8, s33
	v_add_u32_e32 v77, 4, v77
	s_cbranch_scc1 .LBB89_23
.LBB89_11:                              ; =>This Inner Loop Header: Depth=1
	s_and_b32 s4, s33, 63
	s_cmp_lg_u32 s4, 0
	s_cbranch_scc1 .LBB89_14
; %bb.12:                               ;   in Loop: Header=BB89_11 Depth=1
	buffer_load_dword v81, v77, s[24:27], 0 offen
	s_cmp_lg_u32 s33, 0
	s_waitcnt vmcnt(0)
	s_cbranch_scc1 .LBB89_14
; %bb.13:                               ;   in Loop: Header=BB89_11 Depth=1
	s_barrier
.LBB89_14:                              ;   in Loop: Header=BB89_11 Depth=1
	v_readlane_b32 s4, v81, s4
	s_cmp_lt_i32 s4, 0
	s_cbranch_scc1 .LBB89_10
; %bb.15:                               ;   in Loop: Header=BB89_11 Depth=1
	s_add_i32 s36, s40, s33
	s_abs_i32 s37, s36
	s_mul_hi_u32 s28, s37, s43
	s_mul_i32 s29, s28, s34
	s_ashr_i32 s39, s36, 31
	s_sub_i32 s29, s37, s29
	s_xor_b32 s5, s39, s42
	s_add_i32 s50, s28, 1
	s_sub_i32 s51, s29, s34
	s_cmp_ge_u32 s29, s34
	s_cselect_b32 s28, s50, s28
	s_cselect_b32 s29, s51, s29
	s_add_i32 s50, s28, 1
	s_cmp_ge_u32 s29, s34
	s_cselect_b32 s28, s50, s28
	s_xor_b32 s28, s28, s5
	s_sub_i32 s5, s28, s5
	s_mul_i32 s28, s5, s10
	s_sub_i32 s28, s36, s28
	s_mul_i32 s28, s28, s12
	s_mul_i32 s5, s5, s11
	s_add_i32 s5, s28, s5
	s_cmp_eq_u32 s5, s31
	s_cbranch_scc1 .LBB89_17
; %bb.16:                               ;   in Loop: Header=BB89_11 Depth=1
	s_mul_hi_i32 s29, s5, s15
	s_mul_i32 s28, s5, s15
	s_lshl_b64 s[28:29], s[28:29], 1
	s_add_u32 s28, s20, s28
	s_addc_u32 s29, s21, s29
	s_and_b32 s29, s29, 0xffff
	s_mov_b32 s31, s7
	buffer_load_dwordx4 v[4:7], v72, s[28:31], 0 offen
	buffer_load_dwordx4 v[10:13], v72, s[28:31], 16 offen
	s_mov_b32 s31, s5
	s_waitcnt vmcnt(1)
	v_cvt_f32_u32_sdwa v71, v4 dst_sel:DWORD dst_unused:UNUSED_PAD src0_sel:WORD_1
	v_cvt_f32_u32_sdwa v70, v4 dst_sel:DWORD dst_unused:UNUSED_PAD src0_sel:WORD_0
	v_cvt_f32_u32_sdwa v3, v5 dst_sel:DWORD dst_unused:UNUSED_PAD src0_sel:WORD_1
	v_cvt_f32_u32_sdwa v2, v5 dst_sel:DWORD dst_unused:UNUSED_PAD src0_sel:WORD_0
	;; [unrolled: 2-line block ×4, first 2 shown]
	s_waitcnt vmcnt(0)
	v_cvt_f32_u32_sdwa v27, v10 dst_sel:DWORD dst_unused:UNUSED_PAD src0_sel:WORD_1
	v_cvt_f32_u32_sdwa v26, v10 dst_sel:DWORD dst_unused:UNUSED_PAD src0_sel:WORD_0
	v_cvt_f32_u32_sdwa v39, v11 dst_sel:DWORD dst_unused:UNUSED_PAD src0_sel:WORD_1
	v_cvt_f32_u32_sdwa v38, v11 dst_sel:DWORD dst_unused:UNUSED_PAD src0_sel:WORD_0
	;; [unrolled: 2-line block ×4, first 2 shown]
.LBB89_17:                              ;   in Loop: Header=BB89_11 Depth=1
	s_mul_i32 s4, s4, s35
	s_ashr_i32 s5, s4, 31
	s_lshl_b64 s[4:5], s[4:5], 2
	s_add_u32 s4, s22, s4
	s_addc_u32 s5, s23, s5
	s_and_b32 s5, s5, 0xffff
	buffer_load_dwordx4 v[4:7], v73, s[4:7], 0 offen
	buffer_load_dwordx4 v[10:13], v73, s[4:7], 16 offen
	s_waitcnt vmcnt(1)
	v_pk_mul_f32 v[20:21], v[70:71], v[4:5]
	v_pk_mul_f32 v[18:19], v[2:3], v[6:7]
	buffer_load_dwordx4 v[4:7], v73, s[4:7], 32 offen
	buffer_load_dwordx4 v[22:25], v73, s[4:7], 48 offen
	s_waitcnt vmcnt(2)
	v_pk_mul_f32 v[14:15], v[8:9], v[10:11]
	v_pk_mul_f32 v[12:13], v[16:17], v[12:13]
	s_waitcnt vmcnt(1)
	v_pk_mul_f32 v[10:11], v[26:27], v[4:5]
	s_waitcnt vmcnt(0)
	v_pk_mul_f32 v[4:5], v[52:53], v[22:23]
	v_max3_f32 v22, |v20|, s46, |v21|
	v_max3_f32 v22, v22, |v18|, |v19|
	v_max3_f32 v22, v22, |v14|, |v15|
	;; [unrolled: 1-line block ×3, first 2 shown]
	v_pk_mul_f32 v[6:7], v[38:39], v[6:7]
	v_max3_f32 v22, v22, |v10|, |v11|
	v_max3_f32 v22, v22, |v6|, |v7|
	v_pk_mul_f32 v[0:1], v[68:69], v[24:25]
	v_max3_f32 v22, v22, |v4|, |v5|
	v_max3_f32 v22, v22, |v0|, |v1|
	s_nop 1
	v_mov_b32_dpp v23, v22 quad_perm:[1,0,3,2] row_mask:0xf bank_mask:0xf
	v_cmp_gt_f32_e64 s[4:5], v22, v23
	v_cndmask_b32_e64 v22, v23, v22, s[4:5]
	s_nop 1
	v_mov_b32_dpp v23, v22 quad_perm:[2,3,0,1] row_mask:0xf bank_mask:0xf
	v_cmp_gt_f32_e64 s[4:5], v22, v23
	v_cndmask_b32_e64 v22, v23, v22, s[4:5]
	s_nop 1
	v_mov_b32_dpp v23, v22 row_half_mirror row_mask:0xf bank_mask:0xf
	v_cmp_gt_f32_e64 s[4:5], v22, v23
	v_cndmask_b32_e64 v22, v23, v22, s[4:5]
	s_nop 1
	v_mov_b32_dpp v23, v22 row_mirror row_mask:0xf bank_mask:0xf
	v_cmp_gt_f32_e64 s[4:5], v22, v23
	v_cndmask_b32_e64 v22, v23, v22, s[4:5]
	s_nop 1
	v_mov_b32_dpp v23, v22 row_bcast:15 row_mask:0xf bank_mask:0xf
	v_cmp_gt_f32_e64 s[4:5], v22, v23
	v_cndmask_b32_e64 v22, v23, v22, s[4:5]
	s_nop 1
	v_mov_b32_dpp v23, v22 row_bcast:31 row_mask:0xf bank_mask:0xf
	s_and_saveexec_b64 s[28:29], vcc
	s_cbranch_execz .LBB89_19
; %bb.18:                               ;   in Loop: Header=BB89_11 Depth=1
	v_cmp_gt_f32_e64 s[4:5], v22, v23
	v_cndmask_b32_e64 v22, v23, v22, s[4:5]
	ds_write_b32 v74, v22
.LBB89_19:                              ;   in Loop: Header=BB89_11 Depth=1
	s_or_b64 exec, exec, s[28:29]
	s_waitcnt lgkmcnt(0)
	s_barrier
	ds_read_b32 v22, v75
	s_waitcnt lgkmcnt(0)
	s_nop 0
	v_mov_b32_dpp v23, v22 quad_perm:[1,0,3,2] row_mask:0xf bank_mask:0xf
	v_cmp_gt_f32_e64 s[4:5], v22, v23
	v_cndmask_b32_e64 v22, v23, v22, s[4:5]
	s_nop 1
	v_mov_b32_dpp v23, v22 quad_perm:[2,3,0,1] row_mask:0xf bank_mask:0xf
	v_cmp_gt_f32_e64 s[4:5], v22, v23
	v_cndmask_b32_e64 v22, v23, v22, s[4:5]
	s_nop 1
	v_mov_b32_dpp v23, v22 row_half_mirror row_mask:0xf bank_mask:0xf
	v_cmp_gt_f32_e64 s[4:5], v22, v23
	v_cndmask_b32_e64 v22, v23, v22, s[4:5]
	s_mul_hi_u32 s5, s37, s45
	s_mul_i32 s28, s5, s41
	s_sub_i32 s28, s37, s28
	s_xor_b32 s4, s39, s44
	s_add_i32 s29, s5, 1
	s_sub_i32 s37, s28, s41
	s_cmp_ge_u32 s28, s41
	s_cselect_b32 s5, s29, s5
	s_cselect_b32 s28, s37, s28
	s_add_i32 s29, s5, 1
	s_cmp_ge_u32 s28, s41
	s_cselect_b32 s5, s29, s5
	s_xor_b32 s5, s5, s4
	s_sub_i32 s4, s5, s4
	s_mul_i32 s5, s4, s9
	s_sub_i32 s5, s36, s5
	s_mul_i32 s5, s5, s14
	s_mul_i32 s4, s4, s13
	v_mul_f32_e32 v22, 0x3b124925, v22
	s_add_i32 s28, s5, s4
	s_and_saveexec_b64 s[4:5], s[0:1]
	s_cbranch_execz .LBB89_21
; %bb.20:                               ;   in Loop: Header=BB89_11 Depth=1
	s_ashr_i32 s29, s28, 31
	s_lshl_b64 s[36:37], s[28:29], 2
	s_add_u32 s36, s18, s36
	s_addc_u32 s37, s19, s37
	global_store_dword v78, v22, s[36:37]
.LBB89_21:                              ;   in Loop: Header=BB89_11 Depth=1
	s_or_b64 exec, exec, s[4:5]
	s_and_saveexec_b64 s[4:5], s[2:3]
	s_cbranch_execz .LBB89_9
; %bb.22:                               ;   in Loop: Header=BB89_11 Depth=1
	v_rcp_f32_e32 v22, v22
	s_mul_hi_i32 s29, s28, s15
	s_mul_i32 s28, s28, s15
	s_add_u32 s36, s16, s28
	v_mov_b32_e32 v23, v22
	;;#ASMSTART
	v_pk_mul_f32 v[20:21], v[20:21], v[22:23]
	;;#ASMEND
	;;#ASMSTART
	v_med3_f32 v20, v20, v79, v80
v_med3_f32 v21, v21, v79, v80
v_cvt_pk_fp8_f32 v24, v20, v21
	;;#ASMEND
	;;#ASMSTART
	v_pk_mul_f32 v[18:19], v[18:19], v[22:23]
	;;#ASMEND
	;;#ASMSTART
	v_med3_f32 v18, v18, v79, v80
v_med3_f32 v19, v19, v79, v80
v_cvt_pk_fp8_f32 v20, v18, v19
	;;#ASMEND
	;; [unrolled: 8-line block ×6, first 2 shown]
	;;#ASMSTART
	v_pk_mul_f32 v[4:5], v[4:5], v[22:23]
	;;#ASMEND
	s_addc_u32 s28, s17, s29
	v_perm_b32 v18, v20, v24, s47
	;;#ASMSTART
	v_med3_f32 v4, v4, v79, v80
v_med3_f32 v5, v5, v79, v80
v_cvt_pk_fp8_f32 v6, v4, v5
	;;#ASMEND
	;;#ASMSTART
	v_pk_mul_f32 v[0:1], v[0:1], v[22:23]
	;;#ASMEND
	s_and_b32 s37, s28, 0xffff
	s_mov_b32 s39, s7
	v_perm_b32 v18, v18, v20, s48
	v_perm_b32 v19, v19, v14, s49
	;; [unrolled: 1-line block ×3, first 2 shown]
	;;#ASMSTART
	v_med3_f32 v0, v0, v79, v80
v_med3_f32 v1, v1, v79, v80
v_cvt_pk_fp8_f32 v4, v0, v1
	;;#ASMEND
	v_perm_b32 v21, v6, v4, s49
	buffer_store_dwordx4 v[18:21], v76, s[36:39], 0 offen
	;;#ASMSTART
	s_nop 0
	;;#ASMEND
	s_branch .LBB89_9
.LBB89_23:
	s_endpgm
.LBB89_24:
                                        ; implicit-def: $sgpr2
	s_branch .LBB89_2
	.section	.rodata,"a",@progbits
	.p2align	6, 0x0
	.amdhsa_kernel _ZN5aiter36smooth_per_token_scaled_quant_kernelItDB8_Li512ELi16ELb1ELb1ELb0ELi1024EEEvPT0_PfPT_S4_PiS7_iiPKiiiiiiiii
		.amdhsa_group_segment_fixed_size 32
		.amdhsa_private_segment_fixed_size 0
		.amdhsa_kernarg_size 96
		.amdhsa_user_sgpr_count 6
		.amdhsa_user_sgpr_private_segment_buffer 1
		.amdhsa_user_sgpr_dispatch_ptr 0
		.amdhsa_user_sgpr_queue_ptr 0
		.amdhsa_user_sgpr_kernarg_segment_ptr 1
		.amdhsa_user_sgpr_dispatch_id 0
		.amdhsa_user_sgpr_flat_scratch_init 0
		.amdhsa_user_sgpr_kernarg_preload_length 0
		.amdhsa_user_sgpr_kernarg_preload_offset 0
		.amdhsa_user_sgpr_private_segment_size 0
		.amdhsa_uses_dynamic_stack 0
		.amdhsa_system_sgpr_private_segment_wavefront_offset 0
		.amdhsa_system_sgpr_workgroup_id_x 1
		.amdhsa_system_sgpr_workgroup_id_y 0
		.amdhsa_system_sgpr_workgroup_id_z 0
		.amdhsa_system_sgpr_workgroup_info 0
		.amdhsa_system_vgpr_workitem_id 0
		.amdhsa_next_free_vgpr 82
		.amdhsa_next_free_sgpr 52
		.amdhsa_accum_offset 84
		.amdhsa_reserve_vcc 1
		.amdhsa_reserve_flat_scratch 0
		.amdhsa_float_round_mode_32 0
		.amdhsa_float_round_mode_16_64 0
		.amdhsa_float_denorm_mode_32 3
		.amdhsa_float_denorm_mode_16_64 3
		.amdhsa_dx10_clamp 1
		.amdhsa_ieee_mode 1
		.amdhsa_fp16_overflow 0
		.amdhsa_tg_split 0
		.amdhsa_exception_fp_ieee_invalid_op 0
		.amdhsa_exception_fp_denorm_src 0
		.amdhsa_exception_fp_ieee_div_zero 0
		.amdhsa_exception_fp_ieee_overflow 0
		.amdhsa_exception_fp_ieee_underflow 0
		.amdhsa_exception_fp_ieee_inexact 0
		.amdhsa_exception_int_div_zero 0
	.end_amdhsa_kernel
	.section	.text._ZN5aiter36smooth_per_token_scaled_quant_kernelItDB8_Li512ELi16ELb1ELb1ELb0ELi1024EEEvPT0_PfPT_S4_PiS7_iiPKiiiiiiiii,"axG",@progbits,_ZN5aiter36smooth_per_token_scaled_quant_kernelItDB8_Li512ELi16ELb1ELb1ELb0ELi1024EEEvPT0_PfPT_S4_PiS7_iiPKiiiiiiiii,comdat
.Lfunc_end89:
	.size	_ZN5aiter36smooth_per_token_scaled_quant_kernelItDB8_Li512ELi16ELb1ELb1ELb0ELi1024EEEvPT0_PfPT_S4_PiS7_iiPKiiiiiiiii, .Lfunc_end89-_ZN5aiter36smooth_per_token_scaled_quant_kernelItDB8_Li512ELi16ELb1ELb1ELb0ELi1024EEEvPT0_PfPT_S4_PiS7_iiPKiiiiiiiii
                                        ; -- End function
	.section	.AMDGPU.csdata,"",@progbits
; Kernel info:
; codeLenInByte = 1932
; NumSgprs: 56
; NumVgprs: 82
; NumAgprs: 0
; TotalNumVgprs: 82
; ScratchSize: 0
; MemoryBound: 0
; FloatMode: 240
; IeeeMode: 1
; LDSByteSize: 32 bytes/workgroup (compile time only)
; SGPRBlocks: 6
; VGPRBlocks: 10
; NumSGPRsForWavesPerEU: 56
; NumVGPRsForWavesPerEU: 82
; AccumOffset: 84
; Occupancy: 5
; WaveLimiterHint : 0
; COMPUTE_PGM_RSRC2:SCRATCH_EN: 0
; COMPUTE_PGM_RSRC2:USER_SGPR: 6
; COMPUTE_PGM_RSRC2:TRAP_HANDLER: 0
; COMPUTE_PGM_RSRC2:TGID_X_EN: 1
; COMPUTE_PGM_RSRC2:TGID_Y_EN: 0
; COMPUTE_PGM_RSRC2:TGID_Z_EN: 0
; COMPUTE_PGM_RSRC2:TIDIG_COMP_CNT: 0
; COMPUTE_PGM_RSRC3_GFX90A:ACCUM_OFFSET: 20
; COMPUTE_PGM_RSRC3_GFX90A:TG_SPLIT: 0
	.section	.text._ZN5aiter36smooth_per_token_scaled_quant_kernelIDF16_DB8_Li512ELi16ELb1ELb0ELb0ELi1024EEEvPT0_PfPT_S4_PiS7_iiPKiiiiiiiii,"axG",@progbits,_ZN5aiter36smooth_per_token_scaled_quant_kernelIDF16_DB8_Li512ELi16ELb1ELb0ELb0ELi1024EEEvPT0_PfPT_S4_PiS7_iiPKiiiiiiiii,comdat
	.protected	_ZN5aiter36smooth_per_token_scaled_quant_kernelIDF16_DB8_Li512ELi16ELb1ELb0ELb0ELi1024EEEvPT0_PfPT_S4_PiS7_iiPKiiiiiiiii ; -- Begin function _ZN5aiter36smooth_per_token_scaled_quant_kernelIDF16_DB8_Li512ELi16ELb1ELb0ELb0ELi1024EEEvPT0_PfPT_S4_PiS7_iiPKiiiiiiiii
	.globl	_ZN5aiter36smooth_per_token_scaled_quant_kernelIDF16_DB8_Li512ELi16ELb1ELb0ELb0ELi1024EEEvPT0_PfPT_S4_PiS7_iiPKiiiiiiiii
	.p2align	8
	.type	_ZN5aiter36smooth_per_token_scaled_quant_kernelIDF16_DB8_Li512ELi16ELb1ELb0ELb0ELi1024EEEvPT0_PfPT_S4_PiS7_iiPKiiiiiiiii,@function
_ZN5aiter36smooth_per_token_scaled_quant_kernelIDF16_DB8_Li512ELi16ELb1ELb0ELb0ELi1024EEEvPT0_PfPT_S4_PiS7_iiPKiiiiiiiii: ; @_ZN5aiter36smooth_per_token_scaled_quant_kernelIDF16_DB8_Li512ELi16ELb1ELb0ELb0ELi1024EEEvPT0_PfPT_S4_PiS7_iiPKiiiiiiiii
; %bb.0:
	s_load_dwordx2 s[2:3], s[4:5], 0x38
	s_load_dwordx8 s[8:15], s[4:5], 0x40
	s_mov_b64 s[0:1], 0
	s_waitcnt lgkmcnt(0)
	s_cmp_lg_u64 s[2:3], 0
	s_cbranch_scc0 .LBB90_19
; %bb.1:
	s_load_dword s2, s[2:3], 0x0
	s_waitcnt lgkmcnt(0)
	s_mul_i32 s2, s2, s8
	s_andn2_b64 vcc, exec, s[0:1]
	s_cbranch_vccnz .LBB90_3
.LBB90_2:
	s_mul_i32 s2, s10, s9
.LBB90_3:
	s_load_dwordx2 s[24:25], s[4:5], 0x30
	s_abs_i32 s1, s2
	s_waitcnt lgkmcnt(0)
	s_abs_i32 s0, s24
	v_cvt_f32_u32_e32 v1, s0
	s_sub_i32 s7, 0, s0
	s_xor_b32 s3, s2, s24
	s_ashr_i32 s3, s3, 31
	v_rcp_iflag_f32_e32 v1, v1
	v_mul_f32_e32 v1, 0x4f7ffffe, v1
	v_cvt_u32_f32_e32 v1, v1
	v_readfirstlane_b32 s8, v1
	s_mul_i32 s7, s7, s8
	s_mul_hi_u32 s7, s8, s7
	s_add_i32 s8, s8, s7
	s_mul_hi_u32 s7, s1, s8
	s_mul_i32 s8, s7, s0
	s_sub_i32 s1, s1, s8
	s_add_i32 s15, s7, 1
	s_sub_i32 s8, s1, s0
	s_cmp_ge_u32 s1, s0
	s_cselect_b32 s7, s15, s7
	s_cselect_b32 s1, s8, s1
	s_add_i32 s8, s7, 1
	s_cmp_ge_u32 s1, s0
	s_cselect_b32 s0, s8, s7
	s_xor_b32 s0, s0, s3
	s_sub_i32 s7, s0, s3
	s_mul_i32 s0, s7, s24
	s_sub_i32 s2, s2, s0
	s_cmp_lt_u32 s6, s2
	s_cselect_b64 s[0:1], -1, 0
	s_add_i32 s15, s7, 1
	s_cmp_ge_u32 s6, s2
	s_cbranch_scc0 .LBB90_5
; %bb.4:
	s_mul_i32 s3, s2, s15
	s_sub_i32 s2, s6, s2
	s_mul_i32 s2, s2, s7
	s_add_i32 s8, s2, s3
	s_cbranch_execz .LBB90_6
	s_branch .LBB90_7
.LBB90_5:
                                        ; implicit-def: $sgpr8
.LBB90_6:
	s_mul_i32 s8, s15, s6
.LBB90_7:
	v_cndmask_b32_e64 v1, 0, 1, s[0:1]
	v_readfirstlane_b32 s0, v1
	s_add_i32 s15, s7, s0
	s_cmp_lt_i32 s15, 1
	s_cbranch_scc1 .LBB90_18
; %bb.8:
	v_and_b32_e32 v1, 63, v0
	v_cmp_eq_u32_e32 vcc, 63, v1
	v_lshrrev_b32_e32 v1, 4, v0
	v_and_b32_e32 v74, 60, v1
	v_and_b32_e32 v1, 7, v0
	s_abs_i32 s34, s10
	v_lshlrev_b32_e32 v75, 2, v1
	v_cvt_f32_u32_e32 v1, s34
	s_add_i32 s2, s25, 15
	s_ashr_i32 s3, s2, 31
	s_lshr_b32 s3, s3, 28
	v_rcp_iflag_f32_e32 v1, v1
	s_add_i32 s2, s2, s3
	s_ashr_i32 s2, s2, 4
	s_abs_i32 s35, s9
	v_lshlrev_b32_e32 v72, 5, v0
	v_lshlrev_b32_e32 v73, 6, v0
	v_cmp_eq_u32_e64 s[0:1], 0, v0
	v_cmp_gt_u32_e64 s[2:3], s2, v0
	v_lshlrev_b32_e32 v76, 4, v0
	v_mul_f32_e32 v0, 0x4f7ffffe, v1
	v_cvt_f32_u32_e32 v1, s35
	v_cvt_u32_f32_e32 v0, v0
	s_load_dwordx8 s[16:23], s[4:5], 0x0
	s_add_i32 s4, s25, 3
	v_rcp_iflag_f32_e32 v1, v1
	s_ashr_i32 s5, s4, 31
	s_lshr_b32 s5, s5, 30
	s_add_i32 s4, s4, s5
	v_readfirstlane_b32 s5, v0
	v_mul_f32_e32 v0, 0x4f7ffffe, v1
	v_cvt_u32_f32_e32 v0, v0
	s_and_b32 s30, s4, -4
	s_sub_i32 s4, 0, s34
	s_mul_i32 s4, s4, s5
	s_mul_hi_u32 s4, s5, s4
	s_add_i32 s37, s5, s4
	v_readfirstlane_b32 s5, v0
                                        ; implicit-def: $vgpr0_vgpr1_vgpr2_vgpr3_vgpr4_vgpr5_vgpr6_vgpr7_vgpr8_vgpr9_vgpr10_vgpr11_vgpr12_vgpr13_vgpr14_vgpr15
                                        ; implicit-def: $vgpr4_vgpr5_vgpr6_vgpr7_vgpr8_vgpr9_vgpr10_vgpr11_vgpr12_vgpr13_vgpr14_vgpr15_vgpr16_vgpr17_vgpr18_vgpr19
	s_sub_i32 s4, 0, s35
                                        ; implicit-def: $vgpr10_vgpr11_vgpr12_vgpr13_vgpr14_vgpr15_vgpr16_vgpr17_vgpr18_vgpr19_vgpr20_vgpr21_vgpr22_vgpr23_vgpr24_vgpr25
	s_mul_i32 s4, s4, s5
                                        ; implicit-def: $vgpr18_vgpr19_vgpr20_vgpr21_vgpr22_vgpr23_vgpr24_vgpr25_vgpr26_vgpr27_vgpr28_vgpr29_vgpr30_vgpr31_vgpr32_vgpr33
	s_mov_b32 s7, 0x20000
	s_waitcnt lgkmcnt(0)
	s_and_b32 s23, s23, 0xffff
	s_mul_hi_u32 s4, s5, s4
                                        ; implicit-def: $vgpr28_vgpr29_vgpr30_vgpr31_vgpr32_vgpr33_vgpr34_vgpr35_vgpr36_vgpr37_vgpr38_vgpr39_vgpr40_vgpr41_vgpr42_vgpr43
	s_mov_b32 s33, s25
	s_lshl_b32 s6, s25, 1
	s_lshl_b32 s26, s25, 2
	s_mov_b32 s27, s7
	s_ashr_i32 s36, s10, 31
	s_ashr_i32 s38, s9, 31
	s_add_i32 s39, s5, s4
	s_mov_b32 s44, -1
	s_mov_b32 s25, s23
	s_mov_b32 s24, s22
	s_mov_b32 s40, 0x2edbe6ff
	v_mov_b32_e32 v77, 0
	v_mov_b32_e32 v78, 0xc3e00000
	;; [unrolled: 1-line block ×3, first 2 shown]
	s_mov_b32 s41, 0x5040100
	s_mov_b32 s42, 0x1060504
	;; [unrolled: 1-line block ×3, first 2 shown]
                                        ; implicit-def: $vgpr40_vgpr41_vgpr42_vgpr43_vgpr44_vgpr45_vgpr46_vgpr47_vgpr48_vgpr49_vgpr50_vgpr51_vgpr52_vgpr53_vgpr54_vgpr55
                                        ; implicit-def: $vgpr70
                                        ; implicit-def: $vgpr54_vgpr55_vgpr56_vgpr57_vgpr58_vgpr59_vgpr60_vgpr61_vgpr62_vgpr63_vgpr64_vgpr65_vgpr66_vgpr67_vgpr68_vgpr69
	s_branch .LBB90_10
.LBB90_9:                               ;   in Loop: Header=BB90_10 Depth=1
	s_or_b64 exec, exec, s[4:5]
	s_add_i32 s15, s15, -1
	s_add_i32 s8, s8, 1
	s_cmp_eq_u32 s15, 0
	s_cbranch_scc1 .LBB90_18
.LBB90_10:                              ; =>This Inner Loop Header: Depth=1
	s_abs_i32 s28, s8
	s_mul_hi_u32 s5, s28, s37
	s_mul_i32 s22, s5, s34
	s_ashr_i32 s29, s8, 31
	s_sub_i32 s22, s28, s22
	s_xor_b32 s4, s29, s36
	s_add_i32 s23, s5, 1
	s_sub_i32 s31, s22, s34
	s_cmp_ge_u32 s22, s34
	s_cselect_b32 s5, s23, s5
	s_cselect_b32 s22, s31, s22
	s_add_i32 s23, s5, 1
	s_cmp_ge_u32 s22, s34
	s_cselect_b32 s5, s23, s5
	s_xor_b32 s5, s5, s4
	s_sub_i32 s4, s5, s4
	s_mul_i32 s5, s4, s10
	s_sub_i32 s5, s8, s5
	s_mul_i32 s22, s5, s12
	s_mul_i32 s4, s4, s11
	s_add_i32 s22, s22, s4
	s_cmp_eq_u32 s22, s44
	s_cbranch_scc1 .LBB90_12
; %bb.11:                               ;   in Loop: Header=BB90_10 Depth=1
	s_mul_hi_i32 s5, s22, s33
	s_mul_i32 s4, s22, s33
	s_lshl_b64 s[4:5], s[4:5], 1
	s_add_u32 s4, s20, s4
	s_addc_u32 s5, s21, s5
	s_and_b32 s5, s5, 0xffff
	buffer_load_dwordx4 v[2:5], v72, s[4:7], 0 offen
	buffer_load_dwordx4 v[10:13], v72, s[4:7], 16 offen
	s_mov_b32 s44, s22
	s_waitcnt vmcnt(1)
	v_cvt_f32_f16_e32 v70, v2
	v_cvt_f32_f16_sdwa v71, v2 dst_sel:DWORD dst_unused:UNUSED_PAD src0_sel:WORD_1
	v_cvt_f32_f16_e32 v2, v3
	v_cvt_f32_f16_sdwa v3, v3 dst_sel:DWORD dst_unused:UNUSED_PAD src0_sel:WORD_1
	;; [unrolled: 2-line block ×4, first 2 shown]
	s_waitcnt vmcnt(0)
	v_cvt_f32_f16_e32 v26, v10
	v_cvt_f32_f16_sdwa v27, v10 dst_sel:DWORD dst_unused:UNUSED_PAD src0_sel:WORD_1
	v_cvt_f32_f16_e32 v38, v11
	v_cvt_f32_f16_sdwa v39, v11 dst_sel:DWORD dst_unused:UNUSED_PAD src0_sel:WORD_1
	;; [unrolled: 2-line block ×4, first 2 shown]
.LBB90_12:                              ;   in Loop: Header=BB90_10 Depth=1
	buffer_load_dwordx4 v[4:7], v73, s[24:27], 0 offen
	buffer_load_dwordx4 v[10:13], v73, s[24:27], 16 offen
	s_waitcnt vmcnt(1)
	v_pk_mul_f32 v[20:21], v[70:71], v[4:5]
	v_pk_mul_f32 v[18:19], v[2:3], v[6:7]
	buffer_load_dwordx4 v[4:7], v73, s[24:27], 32 offen
	buffer_load_dwordx4 v[22:25], v73, s[24:27], 48 offen
	s_waitcnt vmcnt(2)
	v_pk_mul_f32 v[14:15], v[8:9], v[10:11]
	v_pk_mul_f32 v[12:13], v[16:17], v[12:13]
	s_waitcnt vmcnt(1)
	v_pk_mul_f32 v[10:11], v[26:27], v[4:5]
	s_waitcnt vmcnt(0)
	v_pk_mul_f32 v[4:5], v[52:53], v[22:23]
	v_max3_f32 v22, |v20|, s40, |v21|
	v_max3_f32 v22, v22, |v18|, |v19|
	v_max3_f32 v22, v22, |v14|, |v15|
	;; [unrolled: 1-line block ×3, first 2 shown]
	v_pk_mul_f32 v[6:7], v[38:39], v[6:7]
	v_max3_f32 v22, v22, |v10|, |v11|
	v_max3_f32 v22, v22, |v6|, |v7|
	v_pk_mul_f32 v[0:1], v[68:69], v[24:25]
	v_max3_f32 v22, v22, |v4|, |v5|
	v_max3_f32 v22, v22, |v0|, |v1|
	s_nop 1
	v_mov_b32_dpp v23, v22 quad_perm:[1,0,3,2] row_mask:0xf bank_mask:0xf
	v_cmp_gt_f32_e64 s[4:5], v22, v23
	v_cndmask_b32_e64 v22, v23, v22, s[4:5]
	s_nop 1
	v_mov_b32_dpp v23, v22 quad_perm:[2,3,0,1] row_mask:0xf bank_mask:0xf
	v_cmp_gt_f32_e64 s[4:5], v22, v23
	v_cndmask_b32_e64 v22, v23, v22, s[4:5]
	s_nop 1
	v_mov_b32_dpp v23, v22 row_half_mirror row_mask:0xf bank_mask:0xf
	v_cmp_gt_f32_e64 s[4:5], v22, v23
	v_cndmask_b32_e64 v22, v23, v22, s[4:5]
	s_nop 1
	v_mov_b32_dpp v23, v22 row_mirror row_mask:0xf bank_mask:0xf
	v_cmp_gt_f32_e64 s[4:5], v22, v23
	v_cndmask_b32_e64 v22, v23, v22, s[4:5]
	s_nop 1
	v_mov_b32_dpp v23, v22 row_bcast:15 row_mask:0xf bank_mask:0xf
	v_cmp_gt_f32_e64 s[4:5], v22, v23
	v_cndmask_b32_e64 v22, v23, v22, s[4:5]
	s_nop 1
	v_mov_b32_dpp v23, v22 row_bcast:31 row_mask:0xf bank_mask:0xf
	s_and_saveexec_b64 s[22:23], vcc
	s_cbranch_execz .LBB90_14
; %bb.13:                               ;   in Loop: Header=BB90_10 Depth=1
	v_cmp_gt_f32_e64 s[4:5], v22, v23
	v_cndmask_b32_e64 v22, v23, v22, s[4:5]
	ds_write_b32 v74, v22
.LBB90_14:                              ;   in Loop: Header=BB90_10 Depth=1
	s_or_b64 exec, exec, s[22:23]
	s_waitcnt lgkmcnt(0)
	s_barrier
	ds_read_b32 v22, v75
	s_waitcnt lgkmcnt(0)
	s_nop 0
	v_mov_b32_dpp v23, v22 quad_perm:[1,0,3,2] row_mask:0xf bank_mask:0xf
	v_cmp_gt_f32_e64 s[4:5], v22, v23
	v_cndmask_b32_e64 v22, v23, v22, s[4:5]
	s_nop 1
	v_mov_b32_dpp v23, v22 quad_perm:[2,3,0,1] row_mask:0xf bank_mask:0xf
	v_cmp_gt_f32_e64 s[4:5], v22, v23
	v_cndmask_b32_e64 v22, v23, v22, s[4:5]
	s_nop 1
	v_mov_b32_dpp v23, v22 row_half_mirror row_mask:0xf bank_mask:0xf
	v_cmp_gt_f32_e64 s[4:5], v22, v23
	v_cndmask_b32_e64 v22, v23, v22, s[4:5]
	s_mul_hi_u32 s5, s28, s39
	s_mul_i32 s22, s5, s35
	s_sub_i32 s22, s28, s22
	s_xor_b32 s4, s29, s38
	s_add_i32 s23, s5, 1
	s_sub_i32 s28, s22, s35
	s_cmp_ge_u32 s22, s35
	s_cselect_b32 s5, s23, s5
	s_cselect_b32 s22, s28, s22
	s_add_i32 s23, s5, 1
	s_cmp_ge_u32 s22, s35
	s_cselect_b32 s5, s23, s5
	s_xor_b32 s5, s5, s4
	s_sub_i32 s4, s5, s4
	s_mul_i32 s5, s4, s9
	s_sub_i32 s5, s8, s5
	s_mul_i32 s5, s5, s14
	s_mul_i32 s4, s4, s13
	v_mul_f32_e32 v22, 0x3b124925, v22
	s_add_i32 s22, s5, s4
	s_and_saveexec_b64 s[4:5], s[0:1]
	s_cbranch_execz .LBB90_16
; %bb.15:                               ;   in Loop: Header=BB90_10 Depth=1
	s_ashr_i32 s23, s22, 31
	s_lshl_b64 s[28:29], s[22:23], 2
	s_add_u32 s28, s18, s28
	s_addc_u32 s29, s19, s29
	global_store_dword v77, v22, s[28:29]
.LBB90_16:                              ;   in Loop: Header=BB90_10 Depth=1
	s_or_b64 exec, exec, s[4:5]
	s_and_saveexec_b64 s[4:5], s[2:3]
	s_cbranch_execz .LBB90_9
; %bb.17:                               ;   in Loop: Header=BB90_10 Depth=1
	v_rcp_f32_e32 v22, v22
	s_mul_hi_i32 s23, s22, s33
	s_mul_i32 s22, s22, s33
	s_add_u32 s28, s16, s22
	v_mov_b32_e32 v23, v22
	;;#ASMSTART
	v_pk_mul_f32 v[20:21], v[20:21], v[22:23]
	;;#ASMEND
	;;#ASMSTART
	v_med3_f32 v20, v20, v78, v79
v_med3_f32 v21, v21, v78, v79
v_cvt_pk_fp8_f32 v24, v20, v21
	;;#ASMEND
	;;#ASMSTART
	v_pk_mul_f32 v[18:19], v[18:19], v[22:23]
	;;#ASMEND
	;;#ASMSTART
	v_med3_f32 v18, v18, v78, v79
v_med3_f32 v19, v19, v78, v79
v_cvt_pk_fp8_f32 v20, v18, v19
	;;#ASMEND
	;; [unrolled: 8-line block ×6, first 2 shown]
	;;#ASMSTART
	v_pk_mul_f32 v[4:5], v[4:5], v[22:23]
	;;#ASMEND
	s_addc_u32 s22, s17, s23
	v_perm_b32 v18, v20, v24, s41
	;;#ASMSTART
	v_med3_f32 v4, v4, v78, v79
v_med3_f32 v5, v5, v78, v79
v_cvt_pk_fp8_f32 v6, v4, v5
	;;#ASMEND
	;;#ASMSTART
	v_pk_mul_f32 v[0:1], v[0:1], v[22:23]
	;;#ASMEND
	s_and_b32 s29, s22, 0xffff
	s_mov_b32 s31, s7
	v_perm_b32 v18, v18, v20, s42
	v_perm_b32 v19, v19, v14, s43
	;; [unrolled: 1-line block ×3, first 2 shown]
	;;#ASMSTART
	v_med3_f32 v0, v0, v78, v79
v_med3_f32 v1, v1, v78, v79
v_cvt_pk_fp8_f32 v4, v0, v1
	;;#ASMEND
	v_perm_b32 v21, v6, v4, s43
	buffer_store_dwordx4 v[18:21], v76, s[28:31], 0 offen
	;;#ASMSTART
	s_nop 0
	;;#ASMEND
	s_branch .LBB90_9
.LBB90_18:
	s_endpgm
.LBB90_19:
                                        ; implicit-def: $sgpr2
	s_branch .LBB90_2
	.section	.rodata,"a",@progbits
	.p2align	6, 0x0
	.amdhsa_kernel _ZN5aiter36smooth_per_token_scaled_quant_kernelIDF16_DB8_Li512ELi16ELb1ELb0ELb0ELi1024EEEvPT0_PfPT_S4_PiS7_iiPKiiiiiiiii
		.amdhsa_group_segment_fixed_size 32
		.amdhsa_private_segment_fixed_size 0
		.amdhsa_kernarg_size 96
		.amdhsa_user_sgpr_count 6
		.amdhsa_user_sgpr_private_segment_buffer 1
		.amdhsa_user_sgpr_dispatch_ptr 0
		.amdhsa_user_sgpr_queue_ptr 0
		.amdhsa_user_sgpr_kernarg_segment_ptr 1
		.amdhsa_user_sgpr_dispatch_id 0
		.amdhsa_user_sgpr_flat_scratch_init 0
		.amdhsa_user_sgpr_kernarg_preload_length 0
		.amdhsa_user_sgpr_kernarg_preload_offset 0
		.amdhsa_user_sgpr_private_segment_size 0
		.amdhsa_uses_dynamic_stack 0
		.amdhsa_system_sgpr_private_segment_wavefront_offset 0
		.amdhsa_system_sgpr_workgroup_id_x 1
		.amdhsa_system_sgpr_workgroup_id_y 0
		.amdhsa_system_sgpr_workgroup_id_z 0
		.amdhsa_system_sgpr_workgroup_info 0
		.amdhsa_system_vgpr_workitem_id 0
		.amdhsa_next_free_vgpr 80
		.amdhsa_next_free_sgpr 45
		.amdhsa_accum_offset 80
		.amdhsa_reserve_vcc 1
		.amdhsa_reserve_flat_scratch 0
		.amdhsa_float_round_mode_32 0
		.amdhsa_float_round_mode_16_64 0
		.amdhsa_float_denorm_mode_32 3
		.amdhsa_float_denorm_mode_16_64 3
		.amdhsa_dx10_clamp 1
		.amdhsa_ieee_mode 1
		.amdhsa_fp16_overflow 0
		.amdhsa_tg_split 0
		.amdhsa_exception_fp_ieee_invalid_op 0
		.amdhsa_exception_fp_denorm_src 0
		.amdhsa_exception_fp_ieee_div_zero 0
		.amdhsa_exception_fp_ieee_overflow 0
		.amdhsa_exception_fp_ieee_underflow 0
		.amdhsa_exception_fp_ieee_inexact 0
		.amdhsa_exception_int_div_zero 0
	.end_amdhsa_kernel
	.section	.text._ZN5aiter36smooth_per_token_scaled_quant_kernelIDF16_DB8_Li512ELi16ELb1ELb0ELb0ELi1024EEEvPT0_PfPT_S4_PiS7_iiPKiiiiiiiii,"axG",@progbits,_ZN5aiter36smooth_per_token_scaled_quant_kernelIDF16_DB8_Li512ELi16ELb1ELb0ELb0ELi1024EEEvPT0_PfPT_S4_PiS7_iiPKiiiiiiiii,comdat
.Lfunc_end90:
	.size	_ZN5aiter36smooth_per_token_scaled_quant_kernelIDF16_DB8_Li512ELi16ELb1ELb0ELb0ELi1024EEEvPT0_PfPT_S4_PiS7_iiPKiiiiiiiii, .Lfunc_end90-_ZN5aiter36smooth_per_token_scaled_quant_kernelIDF16_DB8_Li512ELi16ELb1ELb0ELb0ELi1024EEEvPT0_PfPT_S4_PiS7_iiPKiiiiiiiii
                                        ; -- End function
	.section	.AMDGPU.csdata,"",@progbits
; Kernel info:
; codeLenInByte = 1780
; NumSgprs: 49
; NumVgprs: 80
; NumAgprs: 0
; TotalNumVgprs: 80
; ScratchSize: 0
; MemoryBound: 0
; FloatMode: 240
; IeeeMode: 1
; LDSByteSize: 32 bytes/workgroup (compile time only)
; SGPRBlocks: 6
; VGPRBlocks: 9
; NumSGPRsForWavesPerEU: 49
; NumVGPRsForWavesPerEU: 80
; AccumOffset: 80
; Occupancy: 6
; WaveLimiterHint : 0
; COMPUTE_PGM_RSRC2:SCRATCH_EN: 0
; COMPUTE_PGM_RSRC2:USER_SGPR: 6
; COMPUTE_PGM_RSRC2:TRAP_HANDLER: 0
; COMPUTE_PGM_RSRC2:TGID_X_EN: 1
; COMPUTE_PGM_RSRC2:TGID_Y_EN: 0
; COMPUTE_PGM_RSRC2:TGID_Z_EN: 0
; COMPUTE_PGM_RSRC2:TIDIG_COMP_CNT: 0
; COMPUTE_PGM_RSRC3_GFX90A:ACCUM_OFFSET: 19
; COMPUTE_PGM_RSRC3_GFX90A:TG_SPLIT: 0
	.section	.text._ZN5aiter36smooth_per_token_scaled_quant_kernelItDB8_Li512ELi16ELb1ELb0ELb0ELi1024EEEvPT0_PfPT_S4_PiS7_iiPKiiiiiiiii,"axG",@progbits,_ZN5aiter36smooth_per_token_scaled_quant_kernelItDB8_Li512ELi16ELb1ELb0ELb0ELi1024EEEvPT0_PfPT_S4_PiS7_iiPKiiiiiiiii,comdat
	.protected	_ZN5aiter36smooth_per_token_scaled_quant_kernelItDB8_Li512ELi16ELb1ELb0ELb0ELi1024EEEvPT0_PfPT_S4_PiS7_iiPKiiiiiiiii ; -- Begin function _ZN5aiter36smooth_per_token_scaled_quant_kernelItDB8_Li512ELi16ELb1ELb0ELb0ELi1024EEEvPT0_PfPT_S4_PiS7_iiPKiiiiiiiii
	.globl	_ZN5aiter36smooth_per_token_scaled_quant_kernelItDB8_Li512ELi16ELb1ELb0ELb0ELi1024EEEvPT0_PfPT_S4_PiS7_iiPKiiiiiiiii
	.p2align	8
	.type	_ZN5aiter36smooth_per_token_scaled_quant_kernelItDB8_Li512ELi16ELb1ELb0ELb0ELi1024EEEvPT0_PfPT_S4_PiS7_iiPKiiiiiiiii,@function
_ZN5aiter36smooth_per_token_scaled_quant_kernelItDB8_Li512ELi16ELb1ELb0ELb0ELi1024EEEvPT0_PfPT_S4_PiS7_iiPKiiiiiiiii: ; @_ZN5aiter36smooth_per_token_scaled_quant_kernelItDB8_Li512ELi16ELb1ELb0ELb0ELi1024EEEvPT0_PfPT_S4_PiS7_iiPKiiiiiiiii
; %bb.0:
	s_load_dwordx2 s[2:3], s[4:5], 0x38
	s_load_dwordx8 s[8:15], s[4:5], 0x40
	s_mov_b64 s[0:1], 0
	s_waitcnt lgkmcnt(0)
	s_cmp_lg_u64 s[2:3], 0
	s_cbranch_scc0 .LBB91_19
; %bb.1:
	s_load_dword s2, s[2:3], 0x0
	s_waitcnt lgkmcnt(0)
	s_mul_i32 s2, s2, s8
	s_andn2_b64 vcc, exec, s[0:1]
	s_cbranch_vccnz .LBB91_3
.LBB91_2:
	s_mul_i32 s2, s10, s9
.LBB91_3:
	s_load_dwordx2 s[24:25], s[4:5], 0x30
	s_abs_i32 s1, s2
	s_waitcnt lgkmcnt(0)
	s_abs_i32 s0, s24
	v_cvt_f32_u32_e32 v1, s0
	s_sub_i32 s7, 0, s0
	s_xor_b32 s3, s2, s24
	s_ashr_i32 s3, s3, 31
	v_rcp_iflag_f32_e32 v1, v1
	v_mul_f32_e32 v1, 0x4f7ffffe, v1
	v_cvt_u32_f32_e32 v1, v1
	v_readfirstlane_b32 s8, v1
	s_mul_i32 s7, s7, s8
	s_mul_hi_u32 s7, s8, s7
	s_add_i32 s8, s8, s7
	s_mul_hi_u32 s7, s1, s8
	s_mul_i32 s8, s7, s0
	s_sub_i32 s1, s1, s8
	s_add_i32 s15, s7, 1
	s_sub_i32 s8, s1, s0
	s_cmp_ge_u32 s1, s0
	s_cselect_b32 s7, s15, s7
	s_cselect_b32 s1, s8, s1
	s_add_i32 s8, s7, 1
	s_cmp_ge_u32 s1, s0
	s_cselect_b32 s0, s8, s7
	s_xor_b32 s0, s0, s3
	s_sub_i32 s7, s0, s3
	s_mul_i32 s0, s7, s24
	s_sub_i32 s2, s2, s0
	s_cmp_lt_u32 s6, s2
	s_cselect_b64 s[0:1], -1, 0
	s_add_i32 s15, s7, 1
	s_cmp_ge_u32 s6, s2
	s_cbranch_scc0 .LBB91_5
; %bb.4:
	s_mul_i32 s3, s2, s15
	s_sub_i32 s2, s6, s2
	s_mul_i32 s2, s2, s7
	s_add_i32 s8, s2, s3
	s_cbranch_execz .LBB91_6
	s_branch .LBB91_7
.LBB91_5:
                                        ; implicit-def: $sgpr8
.LBB91_6:
	s_mul_i32 s8, s15, s6
.LBB91_7:
	v_cndmask_b32_e64 v1, 0, 1, s[0:1]
	v_readfirstlane_b32 s0, v1
	s_add_i32 s15, s7, s0
	s_cmp_lt_i32 s15, 1
	s_cbranch_scc1 .LBB91_18
; %bb.8:
	v_and_b32_e32 v1, 63, v0
	v_cmp_eq_u32_e32 vcc, 63, v1
	v_lshrrev_b32_e32 v1, 4, v0
	v_and_b32_e32 v74, 60, v1
	v_and_b32_e32 v1, 7, v0
	s_abs_i32 s34, s10
	v_lshlrev_b32_e32 v75, 2, v1
	v_cvt_f32_u32_e32 v1, s34
	s_add_i32 s2, s25, 15
	s_ashr_i32 s3, s2, 31
	s_lshr_b32 s3, s3, 28
	v_rcp_iflag_f32_e32 v1, v1
	s_add_i32 s2, s2, s3
	s_ashr_i32 s2, s2, 4
	s_abs_i32 s35, s9
	v_lshlrev_b32_e32 v72, 5, v0
	v_lshlrev_b32_e32 v73, 6, v0
	v_cmp_eq_u32_e64 s[0:1], 0, v0
	v_cmp_gt_u32_e64 s[2:3], s2, v0
	v_lshlrev_b32_e32 v76, 4, v0
	v_mul_f32_e32 v0, 0x4f7ffffe, v1
	v_cvt_f32_u32_e32 v1, s35
	v_cvt_u32_f32_e32 v0, v0
	s_load_dwordx8 s[16:23], s[4:5], 0x0
	s_add_i32 s4, s25, 3
	v_rcp_iflag_f32_e32 v1, v1
	s_ashr_i32 s5, s4, 31
	s_lshr_b32 s5, s5, 30
	s_add_i32 s4, s4, s5
	v_readfirstlane_b32 s5, v0
	v_mul_f32_e32 v0, 0x4f7ffffe, v1
	v_cvt_u32_f32_e32 v0, v0
	s_and_b32 s30, s4, -4
	s_sub_i32 s4, 0, s34
	s_mul_i32 s4, s4, s5
	s_mul_hi_u32 s4, s5, s4
	s_add_i32 s37, s5, s4
	v_readfirstlane_b32 s5, v0
                                        ; implicit-def: $vgpr0_vgpr1_vgpr2_vgpr3_vgpr4_vgpr5_vgpr6_vgpr7_vgpr8_vgpr9_vgpr10_vgpr11_vgpr12_vgpr13_vgpr14_vgpr15
                                        ; implicit-def: $vgpr4_vgpr5_vgpr6_vgpr7_vgpr8_vgpr9_vgpr10_vgpr11_vgpr12_vgpr13_vgpr14_vgpr15_vgpr16_vgpr17_vgpr18_vgpr19
	s_sub_i32 s4, 0, s35
                                        ; implicit-def: $vgpr10_vgpr11_vgpr12_vgpr13_vgpr14_vgpr15_vgpr16_vgpr17_vgpr18_vgpr19_vgpr20_vgpr21_vgpr22_vgpr23_vgpr24_vgpr25
	s_mul_i32 s4, s4, s5
                                        ; implicit-def: $vgpr18_vgpr19_vgpr20_vgpr21_vgpr22_vgpr23_vgpr24_vgpr25_vgpr26_vgpr27_vgpr28_vgpr29_vgpr30_vgpr31_vgpr32_vgpr33
	s_mov_b32 s7, 0x20000
	s_waitcnt lgkmcnt(0)
	s_and_b32 s23, s23, 0xffff
	s_mul_hi_u32 s4, s5, s4
                                        ; implicit-def: $vgpr28_vgpr29_vgpr30_vgpr31_vgpr32_vgpr33_vgpr34_vgpr35_vgpr36_vgpr37_vgpr38_vgpr39_vgpr40_vgpr41_vgpr42_vgpr43
	s_mov_b32 s33, s25
	s_lshl_b32 s6, s25, 1
	s_lshl_b32 s26, s25, 2
	s_mov_b32 s27, s7
	s_ashr_i32 s36, s10, 31
	s_ashr_i32 s38, s9, 31
	s_add_i32 s39, s5, s4
	s_mov_b32 s44, -1
	s_mov_b32 s25, s23
	s_mov_b32 s24, s22
	;; [unrolled: 1-line block ×3, first 2 shown]
	v_mov_b32_e32 v77, 0
	v_mov_b32_e32 v78, 0xc3e00000
	;; [unrolled: 1-line block ×3, first 2 shown]
	s_mov_b32 s41, 0x5040100
	s_mov_b32 s42, 0x1060504
	;; [unrolled: 1-line block ×3, first 2 shown]
                                        ; implicit-def: $vgpr40_vgpr41_vgpr42_vgpr43_vgpr44_vgpr45_vgpr46_vgpr47_vgpr48_vgpr49_vgpr50_vgpr51_vgpr52_vgpr53_vgpr54_vgpr55
                                        ; implicit-def: $vgpr70
                                        ; implicit-def: $vgpr54_vgpr55_vgpr56_vgpr57_vgpr58_vgpr59_vgpr60_vgpr61_vgpr62_vgpr63_vgpr64_vgpr65_vgpr66_vgpr67_vgpr68_vgpr69
	s_branch .LBB91_10
.LBB91_9:                               ;   in Loop: Header=BB91_10 Depth=1
	s_or_b64 exec, exec, s[4:5]
	s_add_i32 s15, s15, -1
	s_add_i32 s8, s8, 1
	s_cmp_eq_u32 s15, 0
	s_cbranch_scc1 .LBB91_18
.LBB91_10:                              ; =>This Inner Loop Header: Depth=1
	s_abs_i32 s28, s8
	s_mul_hi_u32 s5, s28, s37
	s_mul_i32 s22, s5, s34
	s_ashr_i32 s29, s8, 31
	s_sub_i32 s22, s28, s22
	s_xor_b32 s4, s29, s36
	s_add_i32 s23, s5, 1
	s_sub_i32 s31, s22, s34
	s_cmp_ge_u32 s22, s34
	s_cselect_b32 s5, s23, s5
	s_cselect_b32 s22, s31, s22
	s_add_i32 s23, s5, 1
	s_cmp_ge_u32 s22, s34
	s_cselect_b32 s5, s23, s5
	s_xor_b32 s5, s5, s4
	s_sub_i32 s4, s5, s4
	s_mul_i32 s5, s4, s10
	s_sub_i32 s5, s8, s5
	s_mul_i32 s22, s5, s12
	s_mul_i32 s4, s4, s11
	s_add_i32 s22, s22, s4
	s_cmp_eq_u32 s22, s44
	s_cbranch_scc1 .LBB91_12
; %bb.11:                               ;   in Loop: Header=BB91_10 Depth=1
	s_mul_hi_i32 s5, s22, s33
	s_mul_i32 s4, s22, s33
	s_lshl_b64 s[4:5], s[4:5], 1
	s_add_u32 s4, s20, s4
	s_addc_u32 s5, s21, s5
	s_and_b32 s5, s5, 0xffff
	buffer_load_dwordx4 v[4:7], v72, s[4:7], 0 offen
	buffer_load_dwordx4 v[10:13], v72, s[4:7], 16 offen
	s_mov_b32 s44, s22
	s_waitcnt vmcnt(1)
	v_cvt_f32_u32_sdwa v71, v4 dst_sel:DWORD dst_unused:UNUSED_PAD src0_sel:WORD_1
	v_cvt_f32_u32_sdwa v70, v4 dst_sel:DWORD dst_unused:UNUSED_PAD src0_sel:WORD_0
	v_cvt_f32_u32_sdwa v3, v5 dst_sel:DWORD dst_unused:UNUSED_PAD src0_sel:WORD_1
	v_cvt_f32_u32_sdwa v2, v5 dst_sel:DWORD dst_unused:UNUSED_PAD src0_sel:WORD_0
	;; [unrolled: 2-line block ×4, first 2 shown]
	s_waitcnt vmcnt(0)
	v_cvt_f32_u32_sdwa v27, v10 dst_sel:DWORD dst_unused:UNUSED_PAD src0_sel:WORD_1
	v_cvt_f32_u32_sdwa v26, v10 dst_sel:DWORD dst_unused:UNUSED_PAD src0_sel:WORD_0
	v_cvt_f32_u32_sdwa v39, v11 dst_sel:DWORD dst_unused:UNUSED_PAD src0_sel:WORD_1
	v_cvt_f32_u32_sdwa v38, v11 dst_sel:DWORD dst_unused:UNUSED_PAD src0_sel:WORD_0
	;; [unrolled: 2-line block ×4, first 2 shown]
.LBB91_12:                              ;   in Loop: Header=BB91_10 Depth=1
	buffer_load_dwordx4 v[4:7], v73, s[24:27], 0 offen
	buffer_load_dwordx4 v[10:13], v73, s[24:27], 16 offen
	s_waitcnt vmcnt(1)
	v_pk_mul_f32 v[20:21], v[70:71], v[4:5]
	v_pk_mul_f32 v[18:19], v[2:3], v[6:7]
	buffer_load_dwordx4 v[4:7], v73, s[24:27], 32 offen
	buffer_load_dwordx4 v[22:25], v73, s[24:27], 48 offen
	s_waitcnt vmcnt(2)
	v_pk_mul_f32 v[14:15], v[8:9], v[10:11]
	v_pk_mul_f32 v[12:13], v[16:17], v[12:13]
	s_waitcnt vmcnt(1)
	v_pk_mul_f32 v[10:11], v[26:27], v[4:5]
	s_waitcnt vmcnt(0)
	v_pk_mul_f32 v[4:5], v[52:53], v[22:23]
	v_max3_f32 v22, |v20|, s40, |v21|
	v_max3_f32 v22, v22, |v18|, |v19|
	v_max3_f32 v22, v22, |v14|, |v15|
	;; [unrolled: 1-line block ×3, first 2 shown]
	v_pk_mul_f32 v[6:7], v[38:39], v[6:7]
	v_max3_f32 v22, v22, |v10|, |v11|
	v_max3_f32 v22, v22, |v6|, |v7|
	v_pk_mul_f32 v[0:1], v[68:69], v[24:25]
	v_max3_f32 v22, v22, |v4|, |v5|
	v_max3_f32 v22, v22, |v0|, |v1|
	s_nop 1
	v_mov_b32_dpp v23, v22 quad_perm:[1,0,3,2] row_mask:0xf bank_mask:0xf
	v_cmp_gt_f32_e64 s[4:5], v22, v23
	v_cndmask_b32_e64 v22, v23, v22, s[4:5]
	s_nop 1
	v_mov_b32_dpp v23, v22 quad_perm:[2,3,0,1] row_mask:0xf bank_mask:0xf
	v_cmp_gt_f32_e64 s[4:5], v22, v23
	v_cndmask_b32_e64 v22, v23, v22, s[4:5]
	s_nop 1
	v_mov_b32_dpp v23, v22 row_half_mirror row_mask:0xf bank_mask:0xf
	v_cmp_gt_f32_e64 s[4:5], v22, v23
	v_cndmask_b32_e64 v22, v23, v22, s[4:5]
	s_nop 1
	v_mov_b32_dpp v23, v22 row_mirror row_mask:0xf bank_mask:0xf
	v_cmp_gt_f32_e64 s[4:5], v22, v23
	v_cndmask_b32_e64 v22, v23, v22, s[4:5]
	s_nop 1
	v_mov_b32_dpp v23, v22 row_bcast:15 row_mask:0xf bank_mask:0xf
	v_cmp_gt_f32_e64 s[4:5], v22, v23
	v_cndmask_b32_e64 v22, v23, v22, s[4:5]
	s_nop 1
	v_mov_b32_dpp v23, v22 row_bcast:31 row_mask:0xf bank_mask:0xf
	s_and_saveexec_b64 s[22:23], vcc
	s_cbranch_execz .LBB91_14
; %bb.13:                               ;   in Loop: Header=BB91_10 Depth=1
	v_cmp_gt_f32_e64 s[4:5], v22, v23
	v_cndmask_b32_e64 v22, v23, v22, s[4:5]
	ds_write_b32 v74, v22
.LBB91_14:                              ;   in Loop: Header=BB91_10 Depth=1
	s_or_b64 exec, exec, s[22:23]
	s_waitcnt lgkmcnt(0)
	s_barrier
	ds_read_b32 v22, v75
	s_waitcnt lgkmcnt(0)
	s_nop 0
	v_mov_b32_dpp v23, v22 quad_perm:[1,0,3,2] row_mask:0xf bank_mask:0xf
	v_cmp_gt_f32_e64 s[4:5], v22, v23
	v_cndmask_b32_e64 v22, v23, v22, s[4:5]
	s_nop 1
	v_mov_b32_dpp v23, v22 quad_perm:[2,3,0,1] row_mask:0xf bank_mask:0xf
	v_cmp_gt_f32_e64 s[4:5], v22, v23
	v_cndmask_b32_e64 v22, v23, v22, s[4:5]
	s_nop 1
	v_mov_b32_dpp v23, v22 row_half_mirror row_mask:0xf bank_mask:0xf
	v_cmp_gt_f32_e64 s[4:5], v22, v23
	v_cndmask_b32_e64 v22, v23, v22, s[4:5]
	s_mul_hi_u32 s5, s28, s39
	s_mul_i32 s22, s5, s35
	s_sub_i32 s22, s28, s22
	s_xor_b32 s4, s29, s38
	s_add_i32 s23, s5, 1
	s_sub_i32 s28, s22, s35
	s_cmp_ge_u32 s22, s35
	s_cselect_b32 s5, s23, s5
	s_cselect_b32 s22, s28, s22
	s_add_i32 s23, s5, 1
	s_cmp_ge_u32 s22, s35
	s_cselect_b32 s5, s23, s5
	s_xor_b32 s5, s5, s4
	s_sub_i32 s4, s5, s4
	s_mul_i32 s5, s4, s9
	s_sub_i32 s5, s8, s5
	s_mul_i32 s5, s5, s14
	s_mul_i32 s4, s4, s13
	v_mul_f32_e32 v22, 0x3b124925, v22
	s_add_i32 s22, s5, s4
	s_and_saveexec_b64 s[4:5], s[0:1]
	s_cbranch_execz .LBB91_16
; %bb.15:                               ;   in Loop: Header=BB91_10 Depth=1
	s_ashr_i32 s23, s22, 31
	s_lshl_b64 s[28:29], s[22:23], 2
	s_add_u32 s28, s18, s28
	s_addc_u32 s29, s19, s29
	global_store_dword v77, v22, s[28:29]
.LBB91_16:                              ;   in Loop: Header=BB91_10 Depth=1
	s_or_b64 exec, exec, s[4:5]
	s_and_saveexec_b64 s[4:5], s[2:3]
	s_cbranch_execz .LBB91_9
; %bb.17:                               ;   in Loop: Header=BB91_10 Depth=1
	v_rcp_f32_e32 v22, v22
	s_mul_hi_i32 s23, s22, s33
	s_mul_i32 s22, s22, s33
	s_add_u32 s28, s16, s22
	v_mov_b32_e32 v23, v22
	;;#ASMSTART
	v_pk_mul_f32 v[20:21], v[20:21], v[22:23]
	;;#ASMEND
	;;#ASMSTART
	v_med3_f32 v20, v20, v78, v79
v_med3_f32 v21, v21, v78, v79
v_cvt_pk_fp8_f32 v24, v20, v21
	;;#ASMEND
	;;#ASMSTART
	v_pk_mul_f32 v[18:19], v[18:19], v[22:23]
	;;#ASMEND
	;;#ASMSTART
	v_med3_f32 v18, v18, v78, v79
v_med3_f32 v19, v19, v78, v79
v_cvt_pk_fp8_f32 v20, v18, v19
	;;#ASMEND
	;; [unrolled: 8-line block ×6, first 2 shown]
	;;#ASMSTART
	v_pk_mul_f32 v[4:5], v[4:5], v[22:23]
	;;#ASMEND
	s_addc_u32 s22, s17, s23
	v_perm_b32 v18, v20, v24, s41
	;;#ASMSTART
	v_med3_f32 v4, v4, v78, v79
v_med3_f32 v5, v5, v78, v79
v_cvt_pk_fp8_f32 v6, v4, v5
	;;#ASMEND
	;;#ASMSTART
	v_pk_mul_f32 v[0:1], v[0:1], v[22:23]
	;;#ASMEND
	s_and_b32 s29, s22, 0xffff
	s_mov_b32 s31, s7
	v_perm_b32 v18, v18, v20, s42
	v_perm_b32 v19, v19, v14, s43
	;; [unrolled: 1-line block ×3, first 2 shown]
	;;#ASMSTART
	v_med3_f32 v0, v0, v78, v79
v_med3_f32 v1, v1, v78, v79
v_cvt_pk_fp8_f32 v4, v0, v1
	;;#ASMEND
	v_perm_b32 v21, v6, v4, s43
	buffer_store_dwordx4 v[18:21], v76, s[28:31], 0 offen
	;;#ASMSTART
	s_nop 0
	;;#ASMEND
	s_branch .LBB91_9
.LBB91_18:
	s_endpgm
.LBB91_19:
                                        ; implicit-def: $sgpr2
	s_branch .LBB91_2
	.section	.rodata,"a",@progbits
	.p2align	6, 0x0
	.amdhsa_kernel _ZN5aiter36smooth_per_token_scaled_quant_kernelItDB8_Li512ELi16ELb1ELb0ELb0ELi1024EEEvPT0_PfPT_S4_PiS7_iiPKiiiiiiiii
		.amdhsa_group_segment_fixed_size 32
		.amdhsa_private_segment_fixed_size 0
		.amdhsa_kernarg_size 96
		.amdhsa_user_sgpr_count 6
		.amdhsa_user_sgpr_private_segment_buffer 1
		.amdhsa_user_sgpr_dispatch_ptr 0
		.amdhsa_user_sgpr_queue_ptr 0
		.amdhsa_user_sgpr_kernarg_segment_ptr 1
		.amdhsa_user_sgpr_dispatch_id 0
		.amdhsa_user_sgpr_flat_scratch_init 0
		.amdhsa_user_sgpr_kernarg_preload_length 0
		.amdhsa_user_sgpr_kernarg_preload_offset 0
		.amdhsa_user_sgpr_private_segment_size 0
		.amdhsa_uses_dynamic_stack 0
		.amdhsa_system_sgpr_private_segment_wavefront_offset 0
		.amdhsa_system_sgpr_workgroup_id_x 1
		.amdhsa_system_sgpr_workgroup_id_y 0
		.amdhsa_system_sgpr_workgroup_id_z 0
		.amdhsa_system_sgpr_workgroup_info 0
		.amdhsa_system_vgpr_workitem_id 0
		.amdhsa_next_free_vgpr 80
		.amdhsa_next_free_sgpr 45
		.amdhsa_accum_offset 80
		.amdhsa_reserve_vcc 1
		.amdhsa_reserve_flat_scratch 0
		.amdhsa_float_round_mode_32 0
		.amdhsa_float_round_mode_16_64 0
		.amdhsa_float_denorm_mode_32 3
		.amdhsa_float_denorm_mode_16_64 3
		.amdhsa_dx10_clamp 1
		.amdhsa_ieee_mode 1
		.amdhsa_fp16_overflow 0
		.amdhsa_tg_split 0
		.amdhsa_exception_fp_ieee_invalid_op 0
		.amdhsa_exception_fp_denorm_src 0
		.amdhsa_exception_fp_ieee_div_zero 0
		.amdhsa_exception_fp_ieee_overflow 0
		.amdhsa_exception_fp_ieee_underflow 0
		.amdhsa_exception_fp_ieee_inexact 0
		.amdhsa_exception_int_div_zero 0
	.end_amdhsa_kernel
	.section	.text._ZN5aiter36smooth_per_token_scaled_quant_kernelItDB8_Li512ELi16ELb1ELb0ELb0ELi1024EEEvPT0_PfPT_S4_PiS7_iiPKiiiiiiiii,"axG",@progbits,_ZN5aiter36smooth_per_token_scaled_quant_kernelItDB8_Li512ELi16ELb1ELb0ELb0ELi1024EEEvPT0_PfPT_S4_PiS7_iiPKiiiiiiiii,comdat
.Lfunc_end91:
	.size	_ZN5aiter36smooth_per_token_scaled_quant_kernelItDB8_Li512ELi16ELb1ELb0ELb0ELi1024EEEvPT0_PfPT_S4_PiS7_iiPKiiiiiiiii, .Lfunc_end91-_ZN5aiter36smooth_per_token_scaled_quant_kernelItDB8_Li512ELi16ELb1ELb0ELb0ELi1024EEEvPT0_PfPT_S4_PiS7_iiPKiiiiiiiii
                                        ; -- End function
	.section	.AMDGPU.csdata,"",@progbits
; Kernel info:
; codeLenInByte = 1812
; NumSgprs: 49
; NumVgprs: 80
; NumAgprs: 0
; TotalNumVgprs: 80
; ScratchSize: 0
; MemoryBound: 0
; FloatMode: 240
; IeeeMode: 1
; LDSByteSize: 32 bytes/workgroup (compile time only)
; SGPRBlocks: 6
; VGPRBlocks: 9
; NumSGPRsForWavesPerEU: 49
; NumVGPRsForWavesPerEU: 80
; AccumOffset: 80
; Occupancy: 6
; WaveLimiterHint : 0
; COMPUTE_PGM_RSRC2:SCRATCH_EN: 0
; COMPUTE_PGM_RSRC2:USER_SGPR: 6
; COMPUTE_PGM_RSRC2:TRAP_HANDLER: 0
; COMPUTE_PGM_RSRC2:TGID_X_EN: 1
; COMPUTE_PGM_RSRC2:TGID_Y_EN: 0
; COMPUTE_PGM_RSRC2:TGID_Z_EN: 0
; COMPUTE_PGM_RSRC2:TIDIG_COMP_CNT: 0
; COMPUTE_PGM_RSRC3_GFX90A:ACCUM_OFFSET: 19
; COMPUTE_PGM_RSRC3_GFX90A:TG_SPLIT: 0
	.section	.text._ZN5aiter36smooth_per_token_scaled_quant_kernelIDF16_DB8_Li512ELi16ELb0ELb1ELb1ELi1024EEEvPT0_PfPT_S4_PiS7_iiPKiiiiiiiii,"axG",@progbits,_ZN5aiter36smooth_per_token_scaled_quant_kernelIDF16_DB8_Li512ELi16ELb0ELb1ELb1ELi1024EEEvPT0_PfPT_S4_PiS7_iiPKiiiiiiiii,comdat
	.protected	_ZN5aiter36smooth_per_token_scaled_quant_kernelIDF16_DB8_Li512ELi16ELb0ELb1ELb1ELi1024EEEvPT0_PfPT_S4_PiS7_iiPKiiiiiiiii ; -- Begin function _ZN5aiter36smooth_per_token_scaled_quant_kernelIDF16_DB8_Li512ELi16ELb0ELb1ELb1ELi1024EEEvPT0_PfPT_S4_PiS7_iiPKiiiiiiiii
	.globl	_ZN5aiter36smooth_per_token_scaled_quant_kernelIDF16_DB8_Li512ELi16ELb0ELb1ELb1ELi1024EEEvPT0_PfPT_S4_PiS7_iiPKiiiiiiiii
	.p2align	8
	.type	_ZN5aiter36smooth_per_token_scaled_quant_kernelIDF16_DB8_Li512ELi16ELb0ELb1ELb1ELi1024EEEvPT0_PfPT_S4_PiS7_iiPKiiiiiiiii,@function
_ZN5aiter36smooth_per_token_scaled_quant_kernelIDF16_DB8_Li512ELi16ELb0ELb1ELb1ELi1024EEEvPT0_PfPT_S4_PiS7_iiPKiiiiiiiii: ; @_ZN5aiter36smooth_per_token_scaled_quant_kernelIDF16_DB8_Li512ELi16ELb0ELb1ELb1ELi1024EEEvPT0_PfPT_S4_PiS7_iiPKiiiiiiiii
; %bb.0:
	s_load_dwordx2 s[16:17], s[4:5], 0x38
	s_load_dwordx2 s[0:1], s[4:5], 0x28
	s_load_dwordx8 s[8:15], s[4:5], 0x40
	s_mov_b64 s[2:3], 0
	s_waitcnt lgkmcnt(0)
	s_cmp_lg_u64 s[16:17], 0
	s_cbranch_scc0 .LBB92_11
; %bb.1:
	s_load_dword s7, s[16:17], 0x0
	s_waitcnt lgkmcnt(0)
	s_mul_i32 s7, s7, s8
	s_andn2_b64 vcc, exec, s[2:3]
	s_cbranch_vccnz .LBB92_3
.LBB92_2:
	s_mul_i32 s7, s10, s9
.LBB92_3:
	s_load_dwordx2 s[8:9], s[4:5], 0x30
	s_lshl_b32 s2, s15, 2
	v_and_b32_e32 v1, 0x3c0, v0
	v_lshlrev_b32_e32 v1, 2, v1
	v_lshlrev_b32_e32 v2, 2, v0
	s_waitcnt lgkmcnt(0)
	s_abs_i32 s15, s8
	v_cvt_f32_u32_e32 v3, s15
	v_readfirstlane_b32 s16, v1
	v_add_u32_e32 v1, 0x800, v1
	s_and_b32 s1, s1, 0xffff
	v_rcp_iflag_f32_e32 v3, v3
	s_mov_b32 s3, 0x20000
	;;#ASMSTART
	s_mov_b32 m0 s16
	buffer_load_dword v2, s[0:3], 0 offen offset:0 lds
	
	;;#ASMEND
	v_readfirstlane_b32 s18, v1
	v_add_u32_e32 v1, 0x800, v2
	v_mul_f32_e32 v2, 0x4f7ffffe, v3
	v_cvt_u32_f32_e32 v2, v2
	s_sub_i32 s19, 0, s15
	s_abs_i32 s17, s7
	s_xor_b32 s16, s7, s8
	v_readfirstlane_b32 s20, v2
	s_mul_i32 s19, s19, s20
	s_mul_hi_u32 s19, s20, s19
	s_add_i32 s20, s20, s19
	s_mul_hi_u32 s19, s17, s20
	s_mul_i32 s20, s19, s15
	s_sub_i32 s17, s17, s20
	s_ashr_i32 s16, s16, 31
	s_add_i32 s20, s19, 1
	s_sub_i32 s21, s17, s15
	s_cmp_ge_u32 s17, s15
	s_cselect_b32 s19, s20, s19
	s_cselect_b32 s17, s21, s17
	s_add_i32 s20, s19, 1
	s_cmp_ge_u32 s17, s15
	s_cselect_b32 s15, s20, s19
	s_xor_b32 s15, s15, s16
	s_sub_i32 s15, s15, s16
	s_mul_i32 s8, s15, s8
	s_sub_i32 s8, s7, s8
	s_cmp_lt_u32 s6, s8
	;;#ASMSTART
	s_mov_b32 m0 s18
	buffer_load_dword v1, s[0:3], 0 offen offset:0 lds
	
	;;#ASMEND
	s_cselect_b64 s[16:17], -1, 0
	s_add_i32 s7, s15, 1
	s_cmp_ge_u32 s6, s8
	s_cbranch_scc0 .LBB92_5
; %bb.4:
	s_sub_i32 s1, s6, s8
	s_mul_i32 s0, s8, s7
	s_mul_i32 s1, s1, s15
	s_add_i32 s34, s1, s0
	s_cbranch_execz .LBB92_6
	s_branch .LBB92_7
.LBB92_5:
                                        ; implicit-def: $sgpr34
.LBB92_6:
	s_mul_i32 s34, s7, s6
.LBB92_7:
	v_cndmask_b32_e64 v1, 0, 1, s[16:17]
	v_readfirstlane_b32 s0, v1
	s_add_i32 s8, s15, s0
	s_cmp_lt_i32 s8, 1
	s_cbranch_scc1 .LBB92_35
; %bb.8:
	s_load_dwordx2 s[0:1], s[4:5], 0x20
	s_ashr_i32 s35, s34, 31
	s_lshl_b64 s[2:3], s[34:35], 2
	v_and_b32_e32 v1, 63, v0
	s_mov_b32 s27, 0x20000
	s_waitcnt lgkmcnt(0)
	s_add_u32 s24, s0, s2
	s_addc_u32 s0, s1, s3
	s_lshl_b32 s26, s8, 2
	s_and_b32 s25, s0, 0xffff
	v_lshlrev_b32_e32 v38, 2, v1
	buffer_load_dword v2, v38, s[24:27], 0 offen
	s_abs_i32 s40, s10
	v_cmp_eq_u32_e64 s[0:1], 63, v1
	v_cvt_f32_u32_e32 v1, s40
	s_add_i32 s2, s9, 15
	s_load_dwordx8 s[16:23], s[4:5], 0x0
	s_ashr_i32 s4, s2, 31
	v_rcp_iflag_f32_e32 v1, v1
	s_waitcnt vmcnt(0) lgkmcnt(0)
	s_barrier
	v_mul_f32_e32 v1, 0x4f7ffffe, v1
	v_cvt_u32_f32_e32 v1, v1
	s_add_i32 s3, s9, 3
	s_lshr_b32 s4, s4, 28
	s_ashr_i32 s5, s3, 31
	s_add_i32 s2, s2, s4
	s_sub_i32 s4, 0, s40
	v_readfirstlane_b32 s41, v1
	s_lshr_b32 s5, s5, 30
	s_mul_i32 s4, s4, s41
	s_add_i32 s3, s3, s5
	s_mul_hi_u32 s4, s41, s4
	v_lshrrev_b32_e32 v3, 4, v0
	v_mov_b32_e32 v4, 0x1000
	v_and_b32_e32 v5, 7, v0
	s_lshl_b32 s6, s9, 1
	s_lshl_b32 s30, s9, 2
	s_ashr_i32 s33, s10, 31
	s_ashr_i32 s2, s2, 4
	s_and_b32 s38, s3, -4
	s_add_i32 s41, s41, s4
	s_mov_b32 s15, s9
	v_lshlrev_b32_e32 v32, 5, v0
	v_lshlrev_b32_e32 v33, 6, v0
	v_cmp_eq_u32_e32 vcc, 0, v0
	v_and_or_b32 v34, v3, 60, v4
	v_lshl_or_b32 v35, v5, 2, v4
	v_cmp_gt_u32_e64 s[2:3], s2, v0
	v_lshlrev_b32_e32 v36, 4, v0
	v_lshlrev_b32_e32 v2, 2, v2
	ds_read_b32 v37, v2
	s_waitcnt lgkmcnt(0)
	v_readlane_b32 s28, v37, 0
	s_cmp_lt_i32 s28, 0
	s_cbranch_scc1 .LBB92_12
; %bb.9:
	s_abs_i32 s4, s34
	s_mul_hi_u32 s5, s4, s41
	s_mul_i32 s27, s5, s40
	s_sub_i32 s4, s4, s27
	s_xor_b32 s7, s35, s33
	s_add_i32 s27, s5, 1
	s_sub_i32 s29, s4, s40
	s_cmp_ge_u32 s4, s40
	s_cselect_b32 s5, s27, s5
	s_cselect_b32 s4, s29, s4
	s_add_i32 s27, s5, 1
	s_cmp_ge_u32 s4, s40
	s_cselect_b32 s4, s27, s5
	s_xor_b32 s4, s4, s7
	s_sub_i32 s27, s4, s7
	s_mul_i32 s4, s27, s10
	s_sub_i32 s36, s34, s4
	s_mul_i32 s4, s36, s12
	s_mul_i32 s5, s27, s11
	s_add_i32 s35, s4, s5
	s_cmp_eq_u32 s35, -1
	s_cbranch_scc1 .LBB92_13
; %bb.10:
	s_mul_hi_i32 s5, s35, s15
	s_mul_i32 s4, s35, s15
	s_lshl_b64 s[4:5], s[4:5], 1
	s_add_u32 s4, s20, s4
	s_addc_u32 s5, s21, s5
	s_and_b32 s5, s5, 0xffff
	s_mov_b32 s7, 0x20000
	buffer_load_dwordx4 v[4:7], v32, s[4:7], 0 offen
	buffer_load_dwordx4 v[12:15], v32, s[4:7], 16 offen
	s_waitcnt vmcnt(1)
	v_cvt_f32_f16_e32 v0, v4
	v_cvt_f32_f16_sdwa v1, v4 dst_sel:DWORD dst_unused:UNUSED_PAD src0_sel:WORD_1
	v_cvt_f32_f16_e32 v2, v5
	v_cvt_f32_f16_sdwa v3, v5 dst_sel:DWORD dst_unused:UNUSED_PAD src0_sel:WORD_1
	;; [unrolled: 2-line block ×4, first 2 shown]
	s_waitcnt vmcnt(0)
	v_cvt_f32_f16_e32 v8, v12
	v_cvt_f32_f16_sdwa v9, v12 dst_sel:DWORD dst_unused:UNUSED_PAD src0_sel:WORD_1
	v_cvt_f32_f16_e32 v10, v13
	v_cvt_f32_f16_sdwa v11, v13 dst_sel:DWORD dst_unused:UNUSED_PAD src0_sel:WORD_1
	;; [unrolled: 2-line block ×4, first 2 shown]
	s_branch .LBB92_14
.LBB92_11:
                                        ; implicit-def: $sgpr7
	s_branch .LBB92_2
.LBB92_12:
	s_mov_b32 s35, -1
                                        ; implicit-def: $vgpr0_vgpr1_vgpr2_vgpr3_vgpr4_vgpr5_vgpr6_vgpr7_vgpr8_vgpr9_vgpr10_vgpr11_vgpr12_vgpr13_vgpr14_vgpr15
	s_cmp_eq_u32 s8, 1
	s_mov_b32 s42, 1
	s_cbranch_scc0 .LBB92_21
	s_branch .LBB92_35
.LBB92_13:
                                        ; implicit-def: $vgpr0_vgpr1_vgpr2_vgpr3_vgpr4_vgpr5_vgpr6_vgpr7_vgpr8_vgpr9_vgpr10_vgpr11_vgpr12_vgpr13_vgpr14_vgpr15
.LBB92_14:
	s_mul_i32 s4, s28, s9
	s_ashr_i32 s5, s4, 31
	s_lshl_b64 s[4:5], s[4:5], 2
	s_add_u32 s28, s22, s4
	s_addc_u32 s4, s23, s5
	s_and_b32 s29, s4, 0xffff
	s_mov_b32 s31, 0x20000
	buffer_load_dwordx4 v[16:19], v33, s[28:31], 0 offen
	buffer_load_dwordx4 v[20:23], v33, s[28:31], 16 offen
	;; [unrolled: 1-line block ×4, first 2 shown]
	s_mov_b32 s4, 0x2edbe6ff
	s_waitcnt vmcnt(3)
	v_pk_mul_f32 v[30:31], v[0:1], v[16:17]
	v_pk_mul_f32 v[28:29], v[2:3], v[18:19]
	v_max3_f32 v39, |v30|, s4, |v31|
	s_waitcnt vmcnt(2)
	v_pk_mul_f32 v[26:27], v[4:5], v[20:21]
	v_max3_f32 v39, v39, |v28|, |v29|
	v_pk_mul_f32 v[24:25], v[6:7], v[22:23]
	v_max3_f32 v39, v39, |v26|, |v27|
	s_waitcnt vmcnt(1)
	v_pk_mul_f32 v[22:23], v[8:9], v[40:41]
	v_max3_f32 v39, v39, |v24|, |v25|
	v_pk_mul_f32 v[20:21], v[10:11], v[42:43]
	v_max3_f32 v39, v39, |v22|, |v23|
	;; [unrolled: 5-line block ×3, first 2 shown]
	v_max3_f32 v39, v39, |v16|, |v17|
	s_nop 1
	v_mov_b32_dpp v40, v39 quad_perm:[1,0,3,2] row_mask:0xf bank_mask:0xf
	v_cmp_gt_f32_e64 s[4:5], v39, v40
	v_cndmask_b32_e64 v39, v40, v39, s[4:5]
	s_nop 1
	v_mov_b32_dpp v40, v39 quad_perm:[2,3,0,1] row_mask:0xf bank_mask:0xf
	v_cmp_gt_f32_e64 s[4:5], v39, v40
	v_cndmask_b32_e64 v39, v40, v39, s[4:5]
	s_nop 1
	v_mov_b32_dpp v40, v39 row_half_mirror row_mask:0xf bank_mask:0xf
	v_cmp_gt_f32_e64 s[4:5], v39, v40
	v_cndmask_b32_e64 v39, v40, v39, s[4:5]
	s_nop 1
	v_mov_b32_dpp v40, v39 row_mirror row_mask:0xf bank_mask:0xf
	v_cmp_gt_f32_e64 s[4:5], v39, v40
	v_cndmask_b32_e64 v39, v40, v39, s[4:5]
	s_nop 1
	v_mov_b32_dpp v40, v39 row_bcast:15 row_mask:0xf bank_mask:0xf
	v_cmp_gt_f32_e64 s[4:5], v39, v40
	v_cndmask_b32_e64 v39, v40, v39, s[4:5]
	s_nop 1
	v_mov_b32_dpp v40, v39 row_bcast:31 row_mask:0xf bank_mask:0xf
	s_and_saveexec_b64 s[28:29], s[0:1]
	s_cbranch_execz .LBB92_16
; %bb.15:
	v_cmp_gt_f32_e64 s[4:5], v39, v40
	v_cndmask_b32_e64 v39, v40, v39, s[4:5]
	ds_write_b32 v34, v39
.LBB92_16:
	s_or_b64 exec, exec, s[28:29]
	s_waitcnt lgkmcnt(0)
	s_barrier
	ds_read_b32 v39, v35
	s_mul_i32 s27, s27, s13
	s_waitcnt lgkmcnt(0)
	v_mov_b32_dpp v40, v39 quad_perm:[1,0,3,2] row_mask:0xf bank_mask:0xf
	v_cmp_gt_f32_e64 s[4:5], v39, v40
	v_cndmask_b32_e64 v39, v40, v39, s[4:5]
	s_nop 1
	v_mov_b32_dpp v40, v39 quad_perm:[2,3,0,1] row_mask:0xf bank_mask:0xf
	v_cmp_gt_f32_e64 s[4:5], v39, v40
	v_cndmask_b32_e64 v39, v40, v39, s[4:5]
	s_nop 1
	v_mov_b32_dpp v40, v39 row_half_mirror row_mask:0xf bank_mask:0xf
	v_cmp_gt_f32_e64 s[4:5], v39, v40
	v_cndmask_b32_e64 v39, v40, v39, s[4:5]
	s_mul_i32 s4, s36, s14
	v_mul_f32_e32 v39, 0x3b124925, v39
	s_add_i32 s28, s4, s27
	s_and_saveexec_b64 s[4:5], vcc
	s_cbranch_execz .LBB92_18
; %bb.17:
	s_ashr_i32 s29, s28, 31
	s_lshl_b64 s[36:37], s[28:29], 2
	s_add_u32 s36, s18, s36
	s_addc_u32 s37, s19, s37
	v_mov_b32_e32 v40, 0
	global_store_dword v40, v39, s[36:37]
.LBB92_18:
	s_or_b64 exec, exec, s[4:5]
	s_and_saveexec_b64 s[4:5], s[2:3]
	s_cbranch_execz .LBB92_20
; %bb.19:
	v_rcp_f32_e32 v40, v39
	v_mov_b32_e32 v39, 0xc3e00000
	v_mov_b32_e32 v42, 0x43e00000
	s_mul_i32 s27, s28, s15
	v_mov_b32_e32 v41, v40
	;;#ASMSTART
	v_pk_mul_f32 v[30:31], v[30:31], v[40:41]
	;;#ASMEND
	;;#ASMSTART
	v_med3_f32 v30, v30, v39, v42
v_med3_f32 v31, v31, v39, v42
v_cvt_pk_fp8_f32 v43, v30, v31
	;;#ASMEND
	;;#ASMSTART
	v_pk_mul_f32 v[28:29], v[28:29], v[40:41]
	;;#ASMEND
	;;#ASMSTART
	v_med3_f32 v28, v28, v39, v42
v_med3_f32 v29, v29, v39, v42
v_cvt_pk_fp8_f32 v30, v28, v29
	;;#ASMEND
	;;#ASMSTART
	v_pk_mul_f32 v[26:27], v[26:27], v[40:41]
	;;#ASMEND
	s_mul_hi_i32 s7, s28, s15
	s_add_u32 s36, s16, s27
	;;#ASMSTART
	v_med3_f32 v26, v26, v39, v42
v_med3_f32 v27, v27, v39, v42
v_cvt_pk_fp8_f32 v29, v26, v27
	;;#ASMEND
	;;#ASMSTART
	v_pk_mul_f32 v[24:25], v[24:25], v[40:41]
	;;#ASMEND
	s_addc_u32 s7, s17, s7
	;;#ASMSTART
	v_med3_f32 v24, v24, v39, v42
v_med3_f32 v25, v25, v39, v42
v_cvt_pk_fp8_f32 v26, v24, v25
	;;#ASMEND
	;;#ASMSTART
	v_pk_mul_f32 v[22:23], v[22:23], v[40:41]
	;;#ASMEND
	s_and_b32 s37, s7, 0xffff
	s_mov_b32 s7, 0x5040100
	;;#ASMSTART
	v_med3_f32 v22, v22, v39, v42
v_med3_f32 v23, v23, v39, v42
v_cvt_pk_fp8_f32 v24, v22, v23
	;;#ASMEND
	;;#ASMSTART
	v_pk_mul_f32 v[20:21], v[20:21], v[40:41]
	;;#ASMEND
	v_perm_b32 v28, v30, v43, s7
	s_mov_b32 s7, 0x1060504
	;;#ASMSTART
	v_med3_f32 v20, v20, v39, v42
v_med3_f32 v21, v21, v39, v42
v_cvt_pk_fp8_f32 v22, v20, v21
	;;#ASMEND
	;;#ASMSTART
	v_pk_mul_f32 v[18:19], v[18:19], v[40:41]
	;;#ASMEND
	v_perm_b32 v28, v28, v30, s7
	s_mov_b32 s7, 0x1000504
	;;#ASMSTART
	v_med3_f32 v18, v18, v39, v42
v_med3_f32 v19, v19, v39, v42
v_cvt_pk_fp8_f32 v20, v18, v19
	;;#ASMEND
	;;#ASMSTART
	v_pk_mul_f32 v[16:17], v[16:17], v[40:41]
	;;#ASMEND
	s_mov_b32 s39, 0x20000
	v_perm_b32 v29, v29, v26, s7
	v_perm_b32 v30, v24, v22, s7
	;;#ASMSTART
	v_med3_f32 v16, v16, v39, v42
v_med3_f32 v17, v17, v39, v42
v_cvt_pk_fp8_f32 v18, v16, v17
	;;#ASMEND
	v_perm_b32 v31, v20, v18, s7
	buffer_store_dwordx4 v[28:31], v36, s[36:39], 0 offen
	;;#ASMSTART
	s_nop 0
	;;#ASMEND
.LBB92_20:
	s_or_b64 exec, exec, s[4:5]
	s_cmp_eq_u32 s8, 1
	s_mov_b32 s42, 1
	s_cbranch_scc1 .LBB92_35
.LBB92_21:
	v_add_u32_e32 v38, 4, v38
	s_mov_b32 s31, 0x20000
	s_mov_b32 s43, 0x2edbe6ff
	v_mov_b32_e32 v39, 0
	v_mov_b32_e32 v40, 0xc3e00000
	;; [unrolled: 1-line block ×3, first 2 shown]
	s_mov_b32 s44, 0x5040100
	s_mov_b32 s45, 0x1060504
	s_mov_b32 s46, 0x1000504
	s_branch .LBB92_24
.LBB92_22:                              ;   in Loop: Header=BB92_24 Depth=1
	s_or_b64 exec, exec, s[4:5]
.LBB92_23:                              ;   in Loop: Header=BB92_24 Depth=1
	s_add_i32 s42, s42, 1
	s_cmp_eq_u32 s8, s42
	v_add_u32_e32 v38, 4, v38
	s_cbranch_scc1 .LBB92_35
.LBB92_24:                              ; =>This Inner Loop Header: Depth=1
	s_and_b32 s4, s42, 63
	s_cmp_lg_u32 s4, 0
	s_cbranch_scc1 .LBB92_26
; %bb.25:                               ;   in Loop: Header=BB92_24 Depth=1
	s_mov_b32 s27, s31
	buffer_load_dword v16, v38, s[24:27], 0 offen
	s_waitcnt vmcnt(0)
	v_lshlrev_b32_e32 v16, 2, v16
	ds_read_b32 v37, v16
.LBB92_26:                              ;   in Loop: Header=BB92_24 Depth=1
	s_waitcnt lgkmcnt(0)
	v_readlane_b32 s28, v37, s4
	s_cmp_lt_i32 s28, 0
	s_cbranch_scc1 .LBB92_23
; %bb.27:                               ;   in Loop: Header=BB92_24 Depth=1
	s_add_i32 s4, s34, s42
	s_abs_i32 s7, s4
	s_mul_hi_u32 s27, s7, s41
	s_mul_i32 s29, s27, s40
	s_ashr_i32 s5, s4, 31
	s_sub_i32 s7, s7, s29
	s_xor_b32 s5, s5, s33
	s_add_i32 s29, s27, 1
	s_sub_i32 s36, s7, s40
	s_cmp_ge_u32 s7, s40
	s_cselect_b32 s27, s29, s27
	s_cselect_b32 s7, s36, s7
	s_add_i32 s29, s27, 1
	s_cmp_ge_u32 s7, s40
	s_cselect_b32 s7, s29, s27
	s_xor_b32 s7, s7, s5
	s_sub_i32 s27, s7, s5
	s_mul_i32 s5, s27, s10
	s_sub_i32 s36, s4, s5
	s_mul_i32 s29, s36, s12
	s_mul_i32 s4, s27, s11
	s_add_i32 s29, s29, s4
	s_cmp_eq_u32 s29, s35
	s_cbranch_scc1 .LBB92_29
; %bb.28:                               ;   in Loop: Header=BB92_24 Depth=1
	s_mul_hi_i32 s5, s29, s15
	s_mul_i32 s4, s29, s15
	s_lshl_b64 s[4:5], s[4:5], 1
	s_add_u32 s4, s20, s4
	s_addc_u32 s5, s21, s5
	s_and_b32 s5, s5, 0xffff
	s_mov_b32 s7, s31
	buffer_load_dwordx4 v[4:7], v32, s[4:7], 0 offen
	buffer_load_dwordx4 v[12:15], v32, s[4:7], 16 offen
	s_mov_b32 s35, s29
	s_waitcnt vmcnt(1)
	v_cvt_f32_f16_e32 v0, v4
	v_cvt_f32_f16_sdwa v1, v4 dst_sel:DWORD dst_unused:UNUSED_PAD src0_sel:WORD_1
	v_cvt_f32_f16_e32 v2, v5
	v_cvt_f32_f16_sdwa v3, v5 dst_sel:DWORD dst_unused:UNUSED_PAD src0_sel:WORD_1
	;; [unrolled: 2-line block ×4, first 2 shown]
	s_waitcnt vmcnt(0)
	v_cvt_f32_f16_e32 v8, v12
	v_cvt_f32_f16_sdwa v9, v12 dst_sel:DWORD dst_unused:UNUSED_PAD src0_sel:WORD_1
	v_cvt_f32_f16_e32 v10, v13
	v_cvt_f32_f16_sdwa v11, v13 dst_sel:DWORD dst_unused:UNUSED_PAD src0_sel:WORD_1
	;; [unrolled: 2-line block ×4, first 2 shown]
.LBB92_29:                              ;   in Loop: Header=BB92_24 Depth=1
	s_mul_i32 s4, s28, s9
	s_ashr_i32 s5, s4, 31
	s_lshl_b64 s[4:5], s[4:5], 2
	s_add_u32 s28, s22, s4
	s_addc_u32 s4, s23, s5
	s_and_b32 s29, s4, 0xffff
	buffer_load_dwordx4 v[16:19], v33, s[28:31], 0 offen
	buffer_load_dwordx4 v[20:23], v33, s[28:31], 16 offen
	;; [unrolled: 1-line block ×4, first 2 shown]
	s_waitcnt vmcnt(3)
	v_pk_mul_f32 v[30:31], v[0:1], v[16:17]
	v_pk_mul_f32 v[28:29], v[2:3], v[18:19]
	s_waitcnt vmcnt(2)
	v_pk_mul_f32 v[24:25], v[6:7], v[22:23]
	s_waitcnt vmcnt(1)
	v_pk_mul_f32 v[22:23], v[8:9], v[42:43]
	v_max3_f32 v42, |v30|, s43, |v31|
	v_pk_mul_f32 v[26:27], v[4:5], v[20:21]
	v_max3_f32 v42, v42, |v28|, |v29|
	v_max3_f32 v42, v42, |v26|, |v27|
	;; [unrolled: 1-line block ×3, first 2 shown]
	v_pk_mul_f32 v[20:21], v[10:11], v[44:45]
	v_max3_f32 v42, v42, |v22|, |v23|
	s_waitcnt vmcnt(0)
	v_pk_mul_f32 v[18:19], v[12:13], v[46:47]
	v_max3_f32 v42, v42, |v20|, |v21|
	v_pk_mul_f32 v[16:17], v[14:15], v[48:49]
	v_max3_f32 v42, v42, |v18|, |v19|
	v_max3_f32 v42, v42, |v16|, |v17|
	s_nop 1
	v_mov_b32_dpp v43, v42 quad_perm:[1,0,3,2] row_mask:0xf bank_mask:0xf
	v_cmp_gt_f32_e64 s[4:5], v42, v43
	v_cndmask_b32_e64 v42, v43, v42, s[4:5]
	s_nop 1
	v_mov_b32_dpp v43, v42 quad_perm:[2,3,0,1] row_mask:0xf bank_mask:0xf
	v_cmp_gt_f32_e64 s[4:5], v42, v43
	v_cndmask_b32_e64 v42, v43, v42, s[4:5]
	s_nop 1
	v_mov_b32_dpp v43, v42 row_half_mirror row_mask:0xf bank_mask:0xf
	v_cmp_gt_f32_e64 s[4:5], v42, v43
	v_cndmask_b32_e64 v42, v43, v42, s[4:5]
	s_nop 1
	v_mov_b32_dpp v43, v42 row_mirror row_mask:0xf bank_mask:0xf
	v_cmp_gt_f32_e64 s[4:5], v42, v43
	v_cndmask_b32_e64 v42, v43, v42, s[4:5]
	s_nop 1
	v_mov_b32_dpp v43, v42 row_bcast:15 row_mask:0xf bank_mask:0xf
	v_cmp_gt_f32_e64 s[4:5], v42, v43
	v_cndmask_b32_e64 v42, v43, v42, s[4:5]
	s_nop 1
	v_mov_b32_dpp v43, v42 row_bcast:31 row_mask:0xf bank_mask:0xf
	s_and_saveexec_b64 s[28:29], s[0:1]
	s_cbranch_execz .LBB92_31
; %bb.30:                               ;   in Loop: Header=BB92_24 Depth=1
	v_cmp_gt_f32_e64 s[4:5], v42, v43
	v_cndmask_b32_e64 v42, v43, v42, s[4:5]
	ds_write_b32 v34, v42
.LBB92_31:                              ;   in Loop: Header=BB92_24 Depth=1
	s_or_b64 exec, exec, s[28:29]
	s_waitcnt lgkmcnt(0)
	s_barrier
	ds_read_b32 v42, v35
	s_mul_i32 s27, s27, s13
	s_waitcnt lgkmcnt(0)
	v_mov_b32_dpp v43, v42 quad_perm:[1,0,3,2] row_mask:0xf bank_mask:0xf
	v_cmp_gt_f32_e64 s[4:5], v42, v43
	v_cndmask_b32_e64 v42, v43, v42, s[4:5]
	s_nop 1
	v_mov_b32_dpp v43, v42 quad_perm:[2,3,0,1] row_mask:0xf bank_mask:0xf
	v_cmp_gt_f32_e64 s[4:5], v42, v43
	v_cndmask_b32_e64 v42, v43, v42, s[4:5]
	s_nop 1
	v_mov_b32_dpp v43, v42 row_half_mirror row_mask:0xf bank_mask:0xf
	v_cmp_gt_f32_e64 s[4:5], v42, v43
	v_cndmask_b32_e64 v42, v43, v42, s[4:5]
	s_mul_i32 s4, s36, s14
	v_mul_f32_e32 v42, 0x3b124925, v42
	s_add_i32 s28, s4, s27
	s_and_saveexec_b64 s[4:5], vcc
	s_cbranch_execz .LBB92_33
; %bb.32:                               ;   in Loop: Header=BB92_24 Depth=1
	s_ashr_i32 s29, s28, 31
	s_lshl_b64 s[36:37], s[28:29], 2
	s_add_u32 s36, s18, s36
	s_addc_u32 s37, s19, s37
	global_store_dword v39, v42, s[36:37]
.LBB92_33:                              ;   in Loop: Header=BB92_24 Depth=1
	s_or_b64 exec, exec, s[4:5]
	s_and_saveexec_b64 s[4:5], s[2:3]
	s_cbranch_execz .LBB92_22
; %bb.34:                               ;   in Loop: Header=BB92_24 Depth=1
	v_rcp_f32_e32 v42, v42
	s_mul_i32 s27, s28, s15
	s_mul_hi_i32 s7, s28, s15
	s_add_u32 s36, s16, s27
	v_mov_b32_e32 v43, v42
	;;#ASMSTART
	v_pk_mul_f32 v[30:31], v[30:31], v[42:43]
	;;#ASMEND
	;;#ASMSTART
	v_med3_f32 v30, v30, v40, v41
v_med3_f32 v31, v31, v40, v41
v_cvt_pk_fp8_f32 v44, v30, v31
	;;#ASMEND
	;;#ASMSTART
	v_pk_mul_f32 v[28:29], v[28:29], v[42:43]
	;;#ASMEND
	;;#ASMSTART
	v_med3_f32 v28, v28, v40, v41
v_med3_f32 v29, v29, v40, v41
v_cvt_pk_fp8_f32 v30, v28, v29
	;;#ASMEND
	;; [unrolled: 8-line block ×6, first 2 shown]
	;;#ASMSTART
	v_pk_mul_f32 v[18:19], v[18:19], v[42:43]
	;;#ASMEND
	s_addc_u32 s7, s17, s7
	v_perm_b32 v28, v30, v44, s44
	;;#ASMSTART
	v_med3_f32 v18, v18, v40, v41
v_med3_f32 v19, v19, v40, v41
v_cvt_pk_fp8_f32 v20, v18, v19
	;;#ASMEND
	;;#ASMSTART
	v_pk_mul_f32 v[16:17], v[16:17], v[42:43]
	;;#ASMEND
	s_and_b32 s37, s7, 0xffff
	s_mov_b32 s39, s31
	v_perm_b32 v28, v28, v30, s45
	v_perm_b32 v29, v29, v26, s46
	;; [unrolled: 1-line block ×3, first 2 shown]
	;;#ASMSTART
	v_med3_f32 v16, v16, v40, v41
v_med3_f32 v17, v17, v40, v41
v_cvt_pk_fp8_f32 v18, v16, v17
	;;#ASMEND
	v_perm_b32 v31, v20, v18, s46
	buffer_store_dwordx4 v[28:31], v36, s[36:39], 0 offen
	;;#ASMSTART
	s_nop 0
	;;#ASMEND
	s_branch .LBB92_22
.LBB92_35:
	s_endpgm
	.section	.rodata,"a",@progbits
	.p2align	6, 0x0
	.amdhsa_kernel _ZN5aiter36smooth_per_token_scaled_quant_kernelIDF16_DB8_Li512ELi16ELb0ELb1ELb1ELi1024EEEvPT0_PfPT_S4_PiS7_iiPKiiiiiiiii
		.amdhsa_group_segment_fixed_size 4128
		.amdhsa_private_segment_fixed_size 0
		.amdhsa_kernarg_size 96
		.amdhsa_user_sgpr_count 6
		.amdhsa_user_sgpr_private_segment_buffer 1
		.amdhsa_user_sgpr_dispatch_ptr 0
		.amdhsa_user_sgpr_queue_ptr 0
		.amdhsa_user_sgpr_kernarg_segment_ptr 1
		.amdhsa_user_sgpr_dispatch_id 0
		.amdhsa_user_sgpr_flat_scratch_init 0
		.amdhsa_user_sgpr_kernarg_preload_length 0
		.amdhsa_user_sgpr_kernarg_preload_offset 0
		.amdhsa_user_sgpr_private_segment_size 0
		.amdhsa_uses_dynamic_stack 0
		.amdhsa_system_sgpr_private_segment_wavefront_offset 0
		.amdhsa_system_sgpr_workgroup_id_x 1
		.amdhsa_system_sgpr_workgroup_id_y 0
		.amdhsa_system_sgpr_workgroup_id_z 0
		.amdhsa_system_sgpr_workgroup_info 0
		.amdhsa_system_vgpr_workitem_id 0
		.amdhsa_next_free_vgpr 50
		.amdhsa_next_free_sgpr 47
		.amdhsa_accum_offset 52
		.amdhsa_reserve_vcc 1
		.amdhsa_reserve_flat_scratch 0
		.amdhsa_float_round_mode_32 0
		.amdhsa_float_round_mode_16_64 0
		.amdhsa_float_denorm_mode_32 3
		.amdhsa_float_denorm_mode_16_64 3
		.amdhsa_dx10_clamp 1
		.amdhsa_ieee_mode 1
		.amdhsa_fp16_overflow 0
		.amdhsa_tg_split 0
		.amdhsa_exception_fp_ieee_invalid_op 0
		.amdhsa_exception_fp_denorm_src 0
		.amdhsa_exception_fp_ieee_div_zero 0
		.amdhsa_exception_fp_ieee_overflow 0
		.amdhsa_exception_fp_ieee_underflow 0
		.amdhsa_exception_fp_ieee_inexact 0
		.amdhsa_exception_int_div_zero 0
	.end_amdhsa_kernel
	.section	.text._ZN5aiter36smooth_per_token_scaled_quant_kernelIDF16_DB8_Li512ELi16ELb0ELb1ELb1ELi1024EEEvPT0_PfPT_S4_PiS7_iiPKiiiiiiiii,"axG",@progbits,_ZN5aiter36smooth_per_token_scaled_quant_kernelIDF16_DB8_Li512ELi16ELb0ELb1ELb1ELi1024EEEvPT0_PfPT_S4_PiS7_iiPKiiiiiiiii,comdat
.Lfunc_end92:
	.size	_ZN5aiter36smooth_per_token_scaled_quant_kernelIDF16_DB8_Li512ELi16ELb0ELb1ELb1ELi1024EEEvPT0_PfPT_S4_PiS7_iiPKiiiiiiiii, .Lfunc_end92-_ZN5aiter36smooth_per_token_scaled_quant_kernelIDF16_DB8_Li512ELi16ELb0ELb1ELb1ELi1024EEEvPT0_PfPT_S4_PiS7_iiPKiiiiiiiii
                                        ; -- End function
	.section	.AMDGPU.csdata,"",@progbits
; Kernel info:
; codeLenInByte = 3204
; NumSgprs: 51
; NumVgprs: 50
; NumAgprs: 0
; TotalNumVgprs: 50
; ScratchSize: 0
; MemoryBound: 0
; FloatMode: 240
; IeeeMode: 1
; LDSByteSize: 4128 bytes/workgroup (compile time only)
; SGPRBlocks: 6
; VGPRBlocks: 6
; NumSGPRsForWavesPerEU: 51
; NumVGPRsForWavesPerEU: 50
; AccumOffset: 52
; Occupancy: 8
; WaveLimiterHint : 0
; COMPUTE_PGM_RSRC2:SCRATCH_EN: 0
; COMPUTE_PGM_RSRC2:USER_SGPR: 6
; COMPUTE_PGM_RSRC2:TRAP_HANDLER: 0
; COMPUTE_PGM_RSRC2:TGID_X_EN: 1
; COMPUTE_PGM_RSRC2:TGID_Y_EN: 0
; COMPUTE_PGM_RSRC2:TGID_Z_EN: 0
; COMPUTE_PGM_RSRC2:TIDIG_COMP_CNT: 0
; COMPUTE_PGM_RSRC3_GFX90A:ACCUM_OFFSET: 12
; COMPUTE_PGM_RSRC3_GFX90A:TG_SPLIT: 0
	.section	.text._ZN5aiter36smooth_per_token_scaled_quant_kernelItDB8_Li512ELi16ELb0ELb1ELb1ELi1024EEEvPT0_PfPT_S4_PiS7_iiPKiiiiiiiii,"axG",@progbits,_ZN5aiter36smooth_per_token_scaled_quant_kernelItDB8_Li512ELi16ELb0ELb1ELb1ELi1024EEEvPT0_PfPT_S4_PiS7_iiPKiiiiiiiii,comdat
	.protected	_ZN5aiter36smooth_per_token_scaled_quant_kernelItDB8_Li512ELi16ELb0ELb1ELb1ELi1024EEEvPT0_PfPT_S4_PiS7_iiPKiiiiiiiii ; -- Begin function _ZN5aiter36smooth_per_token_scaled_quant_kernelItDB8_Li512ELi16ELb0ELb1ELb1ELi1024EEEvPT0_PfPT_S4_PiS7_iiPKiiiiiiiii
	.globl	_ZN5aiter36smooth_per_token_scaled_quant_kernelItDB8_Li512ELi16ELb0ELb1ELb1ELi1024EEEvPT0_PfPT_S4_PiS7_iiPKiiiiiiiii
	.p2align	8
	.type	_ZN5aiter36smooth_per_token_scaled_quant_kernelItDB8_Li512ELi16ELb0ELb1ELb1ELi1024EEEvPT0_PfPT_S4_PiS7_iiPKiiiiiiiii,@function
_ZN5aiter36smooth_per_token_scaled_quant_kernelItDB8_Li512ELi16ELb0ELb1ELb1ELi1024EEEvPT0_PfPT_S4_PiS7_iiPKiiiiiiiii: ; @_ZN5aiter36smooth_per_token_scaled_quant_kernelItDB8_Li512ELi16ELb0ELb1ELb1ELi1024EEEvPT0_PfPT_S4_PiS7_iiPKiiiiiiiii
; %bb.0:
	s_load_dwordx2 s[16:17], s[4:5], 0x38
	s_load_dwordx2 s[0:1], s[4:5], 0x28
	s_load_dwordx8 s[8:15], s[4:5], 0x40
	s_mov_b64 s[2:3], 0
	s_waitcnt lgkmcnt(0)
	s_cmp_lg_u64 s[16:17], 0
	s_cbranch_scc0 .LBB93_11
; %bb.1:
	s_load_dword s7, s[16:17], 0x0
	s_waitcnt lgkmcnt(0)
	s_mul_i32 s7, s7, s8
	s_andn2_b64 vcc, exec, s[2:3]
	s_cbranch_vccnz .LBB93_3
.LBB93_2:
	s_mul_i32 s7, s10, s9
.LBB93_3:
	s_load_dwordx2 s[8:9], s[4:5], 0x30
	s_lshl_b32 s2, s15, 2
	v_and_b32_e32 v1, 0x3c0, v0
	v_lshlrev_b32_e32 v1, 2, v1
	v_lshlrev_b32_e32 v2, 2, v0
	s_waitcnt lgkmcnt(0)
	s_abs_i32 s15, s8
	v_cvt_f32_u32_e32 v3, s15
	v_readfirstlane_b32 s16, v1
	v_add_u32_e32 v1, 0x800, v1
	s_and_b32 s1, s1, 0xffff
	v_rcp_iflag_f32_e32 v3, v3
	s_mov_b32 s3, 0x20000
	;;#ASMSTART
	s_mov_b32 m0 s16
	buffer_load_dword v2, s[0:3], 0 offen offset:0 lds
	
	;;#ASMEND
	v_readfirstlane_b32 s18, v1
	v_add_u32_e32 v1, 0x800, v2
	v_mul_f32_e32 v2, 0x4f7ffffe, v3
	v_cvt_u32_f32_e32 v2, v2
	s_sub_i32 s19, 0, s15
	s_abs_i32 s17, s7
	s_xor_b32 s16, s7, s8
	v_readfirstlane_b32 s20, v2
	s_mul_i32 s19, s19, s20
	s_mul_hi_u32 s19, s20, s19
	s_add_i32 s20, s20, s19
	s_mul_hi_u32 s19, s17, s20
	s_mul_i32 s20, s19, s15
	s_sub_i32 s17, s17, s20
	s_ashr_i32 s16, s16, 31
	s_add_i32 s20, s19, 1
	s_sub_i32 s21, s17, s15
	s_cmp_ge_u32 s17, s15
	s_cselect_b32 s19, s20, s19
	s_cselect_b32 s17, s21, s17
	s_add_i32 s20, s19, 1
	s_cmp_ge_u32 s17, s15
	s_cselect_b32 s15, s20, s19
	s_xor_b32 s15, s15, s16
	s_sub_i32 s15, s15, s16
	s_mul_i32 s8, s15, s8
	s_sub_i32 s8, s7, s8
	s_cmp_lt_u32 s6, s8
	;;#ASMSTART
	s_mov_b32 m0 s18
	buffer_load_dword v1, s[0:3], 0 offen offset:0 lds
	
	;;#ASMEND
	s_cselect_b64 s[16:17], -1, 0
	s_add_i32 s7, s15, 1
	s_cmp_ge_u32 s6, s8
	s_cbranch_scc0 .LBB93_5
; %bb.4:
	s_sub_i32 s1, s6, s8
	s_mul_i32 s0, s8, s7
	s_mul_i32 s1, s1, s15
	s_add_i32 s34, s1, s0
	s_cbranch_execz .LBB93_6
	s_branch .LBB93_7
.LBB93_5:
                                        ; implicit-def: $sgpr34
.LBB93_6:
	s_mul_i32 s34, s7, s6
.LBB93_7:
	v_cndmask_b32_e64 v1, 0, 1, s[16:17]
	v_readfirstlane_b32 s0, v1
	s_add_i32 s8, s15, s0
	s_cmp_lt_i32 s8, 1
	s_cbranch_scc1 .LBB93_35
; %bb.8:
	s_load_dwordx2 s[0:1], s[4:5], 0x20
	s_ashr_i32 s35, s34, 31
	s_lshl_b64 s[2:3], s[34:35], 2
	v_and_b32_e32 v1, 63, v0
	s_mov_b32 s27, 0x20000
	s_waitcnt lgkmcnt(0)
	s_add_u32 s24, s0, s2
	s_addc_u32 s0, s1, s3
	s_lshl_b32 s26, s8, 2
	s_and_b32 s25, s0, 0xffff
	v_lshlrev_b32_e32 v38, 2, v1
	buffer_load_dword v2, v38, s[24:27], 0 offen
	s_abs_i32 s40, s10
	v_cmp_eq_u32_e64 s[0:1], 63, v1
	v_cvt_f32_u32_e32 v1, s40
	s_add_i32 s2, s9, 15
	s_load_dwordx8 s[16:23], s[4:5], 0x0
	s_ashr_i32 s4, s2, 31
	v_rcp_iflag_f32_e32 v1, v1
	s_waitcnt vmcnt(0) lgkmcnt(0)
	s_barrier
	v_mul_f32_e32 v1, 0x4f7ffffe, v1
	v_cvt_u32_f32_e32 v1, v1
	s_add_i32 s3, s9, 3
	s_lshr_b32 s4, s4, 28
	s_ashr_i32 s5, s3, 31
	s_add_i32 s2, s2, s4
	s_sub_i32 s4, 0, s40
	v_readfirstlane_b32 s41, v1
	s_lshr_b32 s5, s5, 30
	s_mul_i32 s4, s4, s41
	s_add_i32 s3, s3, s5
	s_mul_hi_u32 s4, s41, s4
	v_lshrrev_b32_e32 v3, 4, v0
	v_mov_b32_e32 v4, 0x1000
	v_and_b32_e32 v5, 7, v0
	s_lshl_b32 s6, s9, 1
	s_lshl_b32 s30, s9, 2
	s_ashr_i32 s33, s10, 31
	s_ashr_i32 s2, s2, 4
	s_and_b32 s38, s3, -4
	s_add_i32 s41, s41, s4
	s_mov_b32 s15, s9
	v_lshlrev_b32_e32 v32, 5, v0
	v_lshlrev_b32_e32 v33, 6, v0
	v_cmp_eq_u32_e32 vcc, 0, v0
	v_and_or_b32 v34, v3, 60, v4
	v_lshl_or_b32 v35, v5, 2, v4
	v_cmp_gt_u32_e64 s[2:3], s2, v0
	v_lshlrev_b32_e32 v36, 4, v0
	v_lshlrev_b32_e32 v2, 2, v2
	ds_read_b32 v37, v2
	s_waitcnt lgkmcnt(0)
	v_readlane_b32 s28, v37, 0
	s_cmp_lt_i32 s28, 0
	s_cbranch_scc1 .LBB93_12
; %bb.9:
	s_abs_i32 s4, s34
	s_mul_hi_u32 s5, s4, s41
	s_mul_i32 s27, s5, s40
	s_sub_i32 s4, s4, s27
	s_xor_b32 s7, s35, s33
	s_add_i32 s27, s5, 1
	s_sub_i32 s29, s4, s40
	s_cmp_ge_u32 s4, s40
	s_cselect_b32 s5, s27, s5
	s_cselect_b32 s4, s29, s4
	s_add_i32 s27, s5, 1
	s_cmp_ge_u32 s4, s40
	s_cselect_b32 s4, s27, s5
	s_xor_b32 s4, s4, s7
	s_sub_i32 s27, s4, s7
	s_mul_i32 s4, s27, s10
	s_sub_i32 s36, s34, s4
	s_mul_i32 s4, s36, s12
	s_mul_i32 s5, s27, s11
	s_add_i32 s35, s4, s5
	s_cmp_eq_u32 s35, -1
	s_cbranch_scc1 .LBB93_13
; %bb.10:
	s_mul_hi_i32 s5, s35, s15
	s_mul_i32 s4, s35, s15
	s_lshl_b64 s[4:5], s[4:5], 1
	s_add_u32 s4, s20, s4
	s_addc_u32 s5, s21, s5
	s_and_b32 s5, s5, 0xffff
	s_mov_b32 s7, 0x20000
	buffer_load_dwordx4 v[6:9], v32, s[4:7], 0 offen
	buffer_load_dwordx4 v[14:17], v32, s[4:7], 16 offen
	s_waitcnt vmcnt(1)
	v_cvt_f32_u32_sdwa v1, v6 dst_sel:DWORD dst_unused:UNUSED_PAD src0_sel:WORD_1
	v_cvt_f32_u32_sdwa v0, v6 dst_sel:DWORD dst_unused:UNUSED_PAD src0_sel:WORD_0
	v_cvt_f32_u32_sdwa v3, v7 dst_sel:DWORD dst_unused:UNUSED_PAD src0_sel:WORD_1
	v_cvt_f32_u32_sdwa v2, v7 dst_sel:DWORD dst_unused:UNUSED_PAD src0_sel:WORD_0
	;; [unrolled: 2-line block ×4, first 2 shown]
	s_waitcnt vmcnt(0)
	v_cvt_f32_u32_sdwa v9, v14 dst_sel:DWORD dst_unused:UNUSED_PAD src0_sel:WORD_1
	v_cvt_f32_u32_sdwa v8, v14 dst_sel:DWORD dst_unused:UNUSED_PAD src0_sel:WORD_0
	v_cvt_f32_u32_sdwa v11, v15 dst_sel:DWORD dst_unused:UNUSED_PAD src0_sel:WORD_1
	v_cvt_f32_u32_sdwa v10, v15 dst_sel:DWORD dst_unused:UNUSED_PAD src0_sel:WORD_0
	;; [unrolled: 2-line block ×4, first 2 shown]
	s_branch .LBB93_14
.LBB93_11:
                                        ; implicit-def: $sgpr7
	s_branch .LBB93_2
.LBB93_12:
	s_mov_b32 s35, -1
                                        ; implicit-def: $vgpr0_vgpr1_vgpr2_vgpr3_vgpr4_vgpr5_vgpr6_vgpr7_vgpr8_vgpr9_vgpr10_vgpr11_vgpr12_vgpr13_vgpr14_vgpr15
	s_cmp_eq_u32 s8, 1
	s_mov_b32 s42, 1
	s_cbranch_scc0 .LBB93_21
	s_branch .LBB93_35
.LBB93_13:
                                        ; implicit-def: $vgpr0_vgpr1_vgpr2_vgpr3_vgpr4_vgpr5_vgpr6_vgpr7_vgpr8_vgpr9_vgpr10_vgpr11_vgpr12_vgpr13_vgpr14_vgpr15
.LBB93_14:
	s_mul_i32 s4, s28, s9
	s_ashr_i32 s5, s4, 31
	s_lshl_b64 s[4:5], s[4:5], 2
	s_add_u32 s28, s22, s4
	s_addc_u32 s4, s23, s5
	s_and_b32 s29, s4, 0xffff
	s_mov_b32 s31, 0x20000
	buffer_load_dwordx4 v[16:19], v33, s[28:31], 0 offen
	buffer_load_dwordx4 v[20:23], v33, s[28:31], 16 offen
	;; [unrolled: 1-line block ×4, first 2 shown]
	s_mov_b32 s4, 0x2edbe6ff
	s_waitcnt vmcnt(3)
	v_pk_mul_f32 v[30:31], v[0:1], v[16:17]
	v_pk_mul_f32 v[28:29], v[2:3], v[18:19]
	v_max3_f32 v39, |v30|, s4, |v31|
	s_waitcnt vmcnt(2)
	v_pk_mul_f32 v[26:27], v[4:5], v[20:21]
	v_max3_f32 v39, v39, |v28|, |v29|
	v_pk_mul_f32 v[24:25], v[6:7], v[22:23]
	v_max3_f32 v39, v39, |v26|, |v27|
	s_waitcnt vmcnt(1)
	v_pk_mul_f32 v[22:23], v[8:9], v[40:41]
	v_max3_f32 v39, v39, |v24|, |v25|
	v_pk_mul_f32 v[20:21], v[10:11], v[42:43]
	v_max3_f32 v39, v39, |v22|, |v23|
	;; [unrolled: 5-line block ×3, first 2 shown]
	v_max3_f32 v39, v39, |v16|, |v17|
	s_nop 1
	v_mov_b32_dpp v40, v39 quad_perm:[1,0,3,2] row_mask:0xf bank_mask:0xf
	v_cmp_gt_f32_e64 s[4:5], v39, v40
	v_cndmask_b32_e64 v39, v40, v39, s[4:5]
	s_nop 1
	v_mov_b32_dpp v40, v39 quad_perm:[2,3,0,1] row_mask:0xf bank_mask:0xf
	v_cmp_gt_f32_e64 s[4:5], v39, v40
	v_cndmask_b32_e64 v39, v40, v39, s[4:5]
	s_nop 1
	v_mov_b32_dpp v40, v39 row_half_mirror row_mask:0xf bank_mask:0xf
	v_cmp_gt_f32_e64 s[4:5], v39, v40
	v_cndmask_b32_e64 v39, v40, v39, s[4:5]
	s_nop 1
	v_mov_b32_dpp v40, v39 row_mirror row_mask:0xf bank_mask:0xf
	v_cmp_gt_f32_e64 s[4:5], v39, v40
	v_cndmask_b32_e64 v39, v40, v39, s[4:5]
	s_nop 1
	v_mov_b32_dpp v40, v39 row_bcast:15 row_mask:0xf bank_mask:0xf
	v_cmp_gt_f32_e64 s[4:5], v39, v40
	v_cndmask_b32_e64 v39, v40, v39, s[4:5]
	s_nop 1
	v_mov_b32_dpp v40, v39 row_bcast:31 row_mask:0xf bank_mask:0xf
	s_and_saveexec_b64 s[28:29], s[0:1]
	s_cbranch_execz .LBB93_16
; %bb.15:
	v_cmp_gt_f32_e64 s[4:5], v39, v40
	v_cndmask_b32_e64 v39, v40, v39, s[4:5]
	ds_write_b32 v34, v39
.LBB93_16:
	s_or_b64 exec, exec, s[28:29]
	s_waitcnt lgkmcnt(0)
	s_barrier
	ds_read_b32 v39, v35
	s_mul_i32 s27, s27, s13
	s_waitcnt lgkmcnt(0)
	v_mov_b32_dpp v40, v39 quad_perm:[1,0,3,2] row_mask:0xf bank_mask:0xf
	v_cmp_gt_f32_e64 s[4:5], v39, v40
	v_cndmask_b32_e64 v39, v40, v39, s[4:5]
	s_nop 1
	v_mov_b32_dpp v40, v39 quad_perm:[2,3,0,1] row_mask:0xf bank_mask:0xf
	v_cmp_gt_f32_e64 s[4:5], v39, v40
	v_cndmask_b32_e64 v39, v40, v39, s[4:5]
	s_nop 1
	v_mov_b32_dpp v40, v39 row_half_mirror row_mask:0xf bank_mask:0xf
	v_cmp_gt_f32_e64 s[4:5], v39, v40
	v_cndmask_b32_e64 v39, v40, v39, s[4:5]
	s_mul_i32 s4, s36, s14
	v_mul_f32_e32 v39, 0x3b124925, v39
	s_add_i32 s28, s4, s27
	s_and_saveexec_b64 s[4:5], vcc
	s_cbranch_execz .LBB93_18
; %bb.17:
	s_ashr_i32 s29, s28, 31
	s_lshl_b64 s[36:37], s[28:29], 2
	s_add_u32 s36, s18, s36
	s_addc_u32 s37, s19, s37
	v_mov_b32_e32 v40, 0
	global_store_dword v40, v39, s[36:37]
.LBB93_18:
	s_or_b64 exec, exec, s[4:5]
	s_and_saveexec_b64 s[4:5], s[2:3]
	s_cbranch_execz .LBB93_20
; %bb.19:
	v_rcp_f32_e32 v40, v39
	v_mov_b32_e32 v39, 0xc3e00000
	v_mov_b32_e32 v42, 0x43e00000
	s_mul_i32 s27, s28, s15
	v_mov_b32_e32 v41, v40
	;;#ASMSTART
	v_pk_mul_f32 v[30:31], v[30:31], v[40:41]
	;;#ASMEND
	;;#ASMSTART
	v_med3_f32 v30, v30, v39, v42
v_med3_f32 v31, v31, v39, v42
v_cvt_pk_fp8_f32 v43, v30, v31
	;;#ASMEND
	;;#ASMSTART
	v_pk_mul_f32 v[28:29], v[28:29], v[40:41]
	;;#ASMEND
	;;#ASMSTART
	v_med3_f32 v28, v28, v39, v42
v_med3_f32 v29, v29, v39, v42
v_cvt_pk_fp8_f32 v30, v28, v29
	;;#ASMEND
	;;#ASMSTART
	v_pk_mul_f32 v[26:27], v[26:27], v[40:41]
	;;#ASMEND
	s_mul_hi_i32 s7, s28, s15
	s_add_u32 s36, s16, s27
	;;#ASMSTART
	v_med3_f32 v26, v26, v39, v42
v_med3_f32 v27, v27, v39, v42
v_cvt_pk_fp8_f32 v29, v26, v27
	;;#ASMEND
	;;#ASMSTART
	v_pk_mul_f32 v[24:25], v[24:25], v[40:41]
	;;#ASMEND
	s_addc_u32 s7, s17, s7
	;;#ASMSTART
	v_med3_f32 v24, v24, v39, v42
v_med3_f32 v25, v25, v39, v42
v_cvt_pk_fp8_f32 v26, v24, v25
	;;#ASMEND
	;;#ASMSTART
	v_pk_mul_f32 v[22:23], v[22:23], v[40:41]
	;;#ASMEND
	s_and_b32 s37, s7, 0xffff
	s_mov_b32 s7, 0x5040100
	;;#ASMSTART
	v_med3_f32 v22, v22, v39, v42
v_med3_f32 v23, v23, v39, v42
v_cvt_pk_fp8_f32 v24, v22, v23
	;;#ASMEND
	;;#ASMSTART
	v_pk_mul_f32 v[20:21], v[20:21], v[40:41]
	;;#ASMEND
	v_perm_b32 v28, v30, v43, s7
	s_mov_b32 s7, 0x1060504
	;;#ASMSTART
	v_med3_f32 v20, v20, v39, v42
v_med3_f32 v21, v21, v39, v42
v_cvt_pk_fp8_f32 v22, v20, v21
	;;#ASMEND
	;;#ASMSTART
	v_pk_mul_f32 v[18:19], v[18:19], v[40:41]
	;;#ASMEND
	v_perm_b32 v28, v28, v30, s7
	s_mov_b32 s7, 0x1000504
	;;#ASMSTART
	v_med3_f32 v18, v18, v39, v42
v_med3_f32 v19, v19, v39, v42
v_cvt_pk_fp8_f32 v20, v18, v19
	;;#ASMEND
	;;#ASMSTART
	v_pk_mul_f32 v[16:17], v[16:17], v[40:41]
	;;#ASMEND
	s_mov_b32 s39, 0x20000
	v_perm_b32 v29, v29, v26, s7
	v_perm_b32 v30, v24, v22, s7
	;;#ASMSTART
	v_med3_f32 v16, v16, v39, v42
v_med3_f32 v17, v17, v39, v42
v_cvt_pk_fp8_f32 v18, v16, v17
	;;#ASMEND
	v_perm_b32 v31, v20, v18, s7
	buffer_store_dwordx4 v[28:31], v36, s[36:39], 0 offen
	;;#ASMSTART
	s_nop 0
	;;#ASMEND
.LBB93_20:
	s_or_b64 exec, exec, s[4:5]
	s_cmp_eq_u32 s8, 1
	s_mov_b32 s42, 1
	s_cbranch_scc1 .LBB93_35
.LBB93_21:
	v_add_u32_e32 v38, 4, v38
	s_mov_b32 s31, 0x20000
	s_mov_b32 s43, 0x2edbe6ff
	v_mov_b32_e32 v39, 0
	v_mov_b32_e32 v40, 0xc3e00000
	;; [unrolled: 1-line block ×3, first 2 shown]
	s_mov_b32 s44, 0x5040100
	s_mov_b32 s45, 0x1060504
	;; [unrolled: 1-line block ×3, first 2 shown]
	s_branch .LBB93_24
.LBB93_22:                              ;   in Loop: Header=BB93_24 Depth=1
	s_or_b64 exec, exec, s[4:5]
.LBB93_23:                              ;   in Loop: Header=BB93_24 Depth=1
	s_add_i32 s42, s42, 1
	s_cmp_eq_u32 s8, s42
	v_add_u32_e32 v38, 4, v38
	s_cbranch_scc1 .LBB93_35
.LBB93_24:                              ; =>This Inner Loop Header: Depth=1
	s_and_b32 s4, s42, 63
	s_cmp_lg_u32 s4, 0
	s_cbranch_scc1 .LBB93_26
; %bb.25:                               ;   in Loop: Header=BB93_24 Depth=1
	s_mov_b32 s27, s31
	buffer_load_dword v16, v38, s[24:27], 0 offen
	s_waitcnt vmcnt(0)
	v_lshlrev_b32_e32 v16, 2, v16
	ds_read_b32 v37, v16
.LBB93_26:                              ;   in Loop: Header=BB93_24 Depth=1
	s_waitcnt lgkmcnt(0)
	v_readlane_b32 s28, v37, s4
	s_cmp_lt_i32 s28, 0
	s_cbranch_scc1 .LBB93_23
; %bb.27:                               ;   in Loop: Header=BB93_24 Depth=1
	s_add_i32 s4, s34, s42
	s_abs_i32 s7, s4
	s_mul_hi_u32 s27, s7, s41
	s_mul_i32 s29, s27, s40
	s_ashr_i32 s5, s4, 31
	s_sub_i32 s7, s7, s29
	s_xor_b32 s5, s5, s33
	s_add_i32 s29, s27, 1
	s_sub_i32 s36, s7, s40
	s_cmp_ge_u32 s7, s40
	s_cselect_b32 s27, s29, s27
	s_cselect_b32 s7, s36, s7
	s_add_i32 s29, s27, 1
	s_cmp_ge_u32 s7, s40
	s_cselect_b32 s7, s29, s27
	s_xor_b32 s7, s7, s5
	s_sub_i32 s27, s7, s5
	s_mul_i32 s5, s27, s10
	s_sub_i32 s36, s4, s5
	s_mul_i32 s29, s36, s12
	s_mul_i32 s4, s27, s11
	s_add_i32 s29, s29, s4
	s_cmp_eq_u32 s29, s35
	s_cbranch_scc1 .LBB93_29
; %bb.28:                               ;   in Loop: Header=BB93_24 Depth=1
	s_mul_hi_i32 s5, s29, s15
	s_mul_i32 s4, s29, s15
	s_lshl_b64 s[4:5], s[4:5], 1
	s_add_u32 s4, s20, s4
	s_addc_u32 s5, s21, s5
	s_and_b32 s5, s5, 0xffff
	s_mov_b32 s7, s31
	buffer_load_dwordx4 v[6:9], v32, s[4:7], 0 offen
	buffer_load_dwordx4 v[14:17], v32, s[4:7], 16 offen
	s_mov_b32 s35, s29
	s_waitcnt vmcnt(1)
	v_cvt_f32_u32_sdwa v1, v6 dst_sel:DWORD dst_unused:UNUSED_PAD src0_sel:WORD_1
	v_cvt_f32_u32_sdwa v0, v6 dst_sel:DWORD dst_unused:UNUSED_PAD src0_sel:WORD_0
	v_cvt_f32_u32_sdwa v3, v7 dst_sel:DWORD dst_unused:UNUSED_PAD src0_sel:WORD_1
	v_cvt_f32_u32_sdwa v2, v7 dst_sel:DWORD dst_unused:UNUSED_PAD src0_sel:WORD_0
	;; [unrolled: 2-line block ×4, first 2 shown]
	s_waitcnt vmcnt(0)
	v_cvt_f32_u32_sdwa v9, v14 dst_sel:DWORD dst_unused:UNUSED_PAD src0_sel:WORD_1
	v_cvt_f32_u32_sdwa v8, v14 dst_sel:DWORD dst_unused:UNUSED_PAD src0_sel:WORD_0
	v_cvt_f32_u32_sdwa v11, v15 dst_sel:DWORD dst_unused:UNUSED_PAD src0_sel:WORD_1
	v_cvt_f32_u32_sdwa v10, v15 dst_sel:DWORD dst_unused:UNUSED_PAD src0_sel:WORD_0
	;; [unrolled: 2-line block ×4, first 2 shown]
.LBB93_29:                              ;   in Loop: Header=BB93_24 Depth=1
	s_mul_i32 s4, s28, s9
	s_ashr_i32 s5, s4, 31
	s_lshl_b64 s[4:5], s[4:5], 2
	s_add_u32 s28, s22, s4
	s_addc_u32 s4, s23, s5
	s_and_b32 s29, s4, 0xffff
	buffer_load_dwordx4 v[16:19], v33, s[28:31], 0 offen
	buffer_load_dwordx4 v[20:23], v33, s[28:31], 16 offen
	;; [unrolled: 1-line block ×4, first 2 shown]
	s_waitcnt vmcnt(3)
	v_pk_mul_f32 v[30:31], v[0:1], v[16:17]
	v_pk_mul_f32 v[28:29], v[2:3], v[18:19]
	s_waitcnt vmcnt(2)
	v_pk_mul_f32 v[24:25], v[6:7], v[22:23]
	s_waitcnt vmcnt(1)
	v_pk_mul_f32 v[22:23], v[8:9], v[42:43]
	v_max3_f32 v42, |v30|, s43, |v31|
	v_pk_mul_f32 v[26:27], v[4:5], v[20:21]
	v_max3_f32 v42, v42, |v28|, |v29|
	v_max3_f32 v42, v42, |v26|, |v27|
	;; [unrolled: 1-line block ×3, first 2 shown]
	v_pk_mul_f32 v[20:21], v[10:11], v[44:45]
	v_max3_f32 v42, v42, |v22|, |v23|
	s_waitcnt vmcnt(0)
	v_pk_mul_f32 v[18:19], v[12:13], v[46:47]
	v_max3_f32 v42, v42, |v20|, |v21|
	v_pk_mul_f32 v[16:17], v[14:15], v[48:49]
	v_max3_f32 v42, v42, |v18|, |v19|
	v_max3_f32 v42, v42, |v16|, |v17|
	s_nop 1
	v_mov_b32_dpp v43, v42 quad_perm:[1,0,3,2] row_mask:0xf bank_mask:0xf
	v_cmp_gt_f32_e64 s[4:5], v42, v43
	v_cndmask_b32_e64 v42, v43, v42, s[4:5]
	s_nop 1
	v_mov_b32_dpp v43, v42 quad_perm:[2,3,0,1] row_mask:0xf bank_mask:0xf
	v_cmp_gt_f32_e64 s[4:5], v42, v43
	v_cndmask_b32_e64 v42, v43, v42, s[4:5]
	s_nop 1
	v_mov_b32_dpp v43, v42 row_half_mirror row_mask:0xf bank_mask:0xf
	v_cmp_gt_f32_e64 s[4:5], v42, v43
	v_cndmask_b32_e64 v42, v43, v42, s[4:5]
	s_nop 1
	v_mov_b32_dpp v43, v42 row_mirror row_mask:0xf bank_mask:0xf
	v_cmp_gt_f32_e64 s[4:5], v42, v43
	v_cndmask_b32_e64 v42, v43, v42, s[4:5]
	s_nop 1
	v_mov_b32_dpp v43, v42 row_bcast:15 row_mask:0xf bank_mask:0xf
	v_cmp_gt_f32_e64 s[4:5], v42, v43
	v_cndmask_b32_e64 v42, v43, v42, s[4:5]
	s_nop 1
	v_mov_b32_dpp v43, v42 row_bcast:31 row_mask:0xf bank_mask:0xf
	s_and_saveexec_b64 s[28:29], s[0:1]
	s_cbranch_execz .LBB93_31
; %bb.30:                               ;   in Loop: Header=BB93_24 Depth=1
	v_cmp_gt_f32_e64 s[4:5], v42, v43
	v_cndmask_b32_e64 v42, v43, v42, s[4:5]
	ds_write_b32 v34, v42
.LBB93_31:                              ;   in Loop: Header=BB93_24 Depth=1
	s_or_b64 exec, exec, s[28:29]
	s_waitcnt lgkmcnt(0)
	s_barrier
	ds_read_b32 v42, v35
	s_mul_i32 s27, s27, s13
	s_waitcnt lgkmcnt(0)
	v_mov_b32_dpp v43, v42 quad_perm:[1,0,3,2] row_mask:0xf bank_mask:0xf
	v_cmp_gt_f32_e64 s[4:5], v42, v43
	v_cndmask_b32_e64 v42, v43, v42, s[4:5]
	s_nop 1
	v_mov_b32_dpp v43, v42 quad_perm:[2,3,0,1] row_mask:0xf bank_mask:0xf
	v_cmp_gt_f32_e64 s[4:5], v42, v43
	v_cndmask_b32_e64 v42, v43, v42, s[4:5]
	s_nop 1
	v_mov_b32_dpp v43, v42 row_half_mirror row_mask:0xf bank_mask:0xf
	v_cmp_gt_f32_e64 s[4:5], v42, v43
	v_cndmask_b32_e64 v42, v43, v42, s[4:5]
	s_mul_i32 s4, s36, s14
	v_mul_f32_e32 v42, 0x3b124925, v42
	s_add_i32 s28, s4, s27
	s_and_saveexec_b64 s[4:5], vcc
	s_cbranch_execz .LBB93_33
; %bb.32:                               ;   in Loop: Header=BB93_24 Depth=1
	s_ashr_i32 s29, s28, 31
	s_lshl_b64 s[36:37], s[28:29], 2
	s_add_u32 s36, s18, s36
	s_addc_u32 s37, s19, s37
	global_store_dword v39, v42, s[36:37]
.LBB93_33:                              ;   in Loop: Header=BB93_24 Depth=1
	s_or_b64 exec, exec, s[4:5]
	s_and_saveexec_b64 s[4:5], s[2:3]
	s_cbranch_execz .LBB93_22
; %bb.34:                               ;   in Loop: Header=BB93_24 Depth=1
	v_rcp_f32_e32 v42, v42
	s_mul_i32 s27, s28, s15
	s_mul_hi_i32 s7, s28, s15
	s_add_u32 s36, s16, s27
	v_mov_b32_e32 v43, v42
	;;#ASMSTART
	v_pk_mul_f32 v[30:31], v[30:31], v[42:43]
	;;#ASMEND
	;;#ASMSTART
	v_med3_f32 v30, v30, v40, v41
v_med3_f32 v31, v31, v40, v41
v_cvt_pk_fp8_f32 v44, v30, v31
	;;#ASMEND
	;;#ASMSTART
	v_pk_mul_f32 v[28:29], v[28:29], v[42:43]
	;;#ASMEND
	;;#ASMSTART
	v_med3_f32 v28, v28, v40, v41
v_med3_f32 v29, v29, v40, v41
v_cvt_pk_fp8_f32 v30, v28, v29
	;;#ASMEND
	;; [unrolled: 8-line block ×6, first 2 shown]
	;;#ASMSTART
	v_pk_mul_f32 v[18:19], v[18:19], v[42:43]
	;;#ASMEND
	s_addc_u32 s7, s17, s7
	v_perm_b32 v28, v30, v44, s44
	;;#ASMSTART
	v_med3_f32 v18, v18, v40, v41
v_med3_f32 v19, v19, v40, v41
v_cvt_pk_fp8_f32 v20, v18, v19
	;;#ASMEND
	;;#ASMSTART
	v_pk_mul_f32 v[16:17], v[16:17], v[42:43]
	;;#ASMEND
	s_and_b32 s37, s7, 0xffff
	s_mov_b32 s39, s31
	v_perm_b32 v28, v28, v30, s45
	v_perm_b32 v29, v29, v26, s46
	;; [unrolled: 1-line block ×3, first 2 shown]
	;;#ASMSTART
	v_med3_f32 v16, v16, v40, v41
v_med3_f32 v17, v17, v40, v41
v_cvt_pk_fp8_f32 v18, v16, v17
	;;#ASMEND
	v_perm_b32 v31, v20, v18, s46
	buffer_store_dwordx4 v[28:31], v36, s[36:39], 0 offen
	;;#ASMSTART
	s_nop 0
	;;#ASMEND
	s_branch .LBB93_22
.LBB93_35:
	s_endpgm
	.section	.rodata,"a",@progbits
	.p2align	6, 0x0
	.amdhsa_kernel _ZN5aiter36smooth_per_token_scaled_quant_kernelItDB8_Li512ELi16ELb0ELb1ELb1ELi1024EEEvPT0_PfPT_S4_PiS7_iiPKiiiiiiiii
		.amdhsa_group_segment_fixed_size 4128
		.amdhsa_private_segment_fixed_size 0
		.amdhsa_kernarg_size 96
		.amdhsa_user_sgpr_count 6
		.amdhsa_user_sgpr_private_segment_buffer 1
		.amdhsa_user_sgpr_dispatch_ptr 0
		.amdhsa_user_sgpr_queue_ptr 0
		.amdhsa_user_sgpr_kernarg_segment_ptr 1
		.amdhsa_user_sgpr_dispatch_id 0
		.amdhsa_user_sgpr_flat_scratch_init 0
		.amdhsa_user_sgpr_kernarg_preload_length 0
		.amdhsa_user_sgpr_kernarg_preload_offset 0
		.amdhsa_user_sgpr_private_segment_size 0
		.amdhsa_uses_dynamic_stack 0
		.amdhsa_system_sgpr_private_segment_wavefront_offset 0
		.amdhsa_system_sgpr_workgroup_id_x 1
		.amdhsa_system_sgpr_workgroup_id_y 0
		.amdhsa_system_sgpr_workgroup_id_z 0
		.amdhsa_system_sgpr_workgroup_info 0
		.amdhsa_system_vgpr_workitem_id 0
		.amdhsa_next_free_vgpr 50
		.amdhsa_next_free_sgpr 47
		.amdhsa_accum_offset 52
		.amdhsa_reserve_vcc 1
		.amdhsa_reserve_flat_scratch 0
		.amdhsa_float_round_mode_32 0
		.amdhsa_float_round_mode_16_64 0
		.amdhsa_float_denorm_mode_32 3
		.amdhsa_float_denorm_mode_16_64 3
		.amdhsa_dx10_clamp 1
		.amdhsa_ieee_mode 1
		.amdhsa_fp16_overflow 0
		.amdhsa_tg_split 0
		.amdhsa_exception_fp_ieee_invalid_op 0
		.amdhsa_exception_fp_denorm_src 0
		.amdhsa_exception_fp_ieee_div_zero 0
		.amdhsa_exception_fp_ieee_overflow 0
		.amdhsa_exception_fp_ieee_underflow 0
		.amdhsa_exception_fp_ieee_inexact 0
		.amdhsa_exception_int_div_zero 0
	.end_amdhsa_kernel
	.section	.text._ZN5aiter36smooth_per_token_scaled_quant_kernelItDB8_Li512ELi16ELb0ELb1ELb1ELi1024EEEvPT0_PfPT_S4_PiS7_iiPKiiiiiiiii,"axG",@progbits,_ZN5aiter36smooth_per_token_scaled_quant_kernelItDB8_Li512ELi16ELb0ELb1ELb1ELi1024EEEvPT0_PfPT_S4_PiS7_iiPKiiiiiiiii,comdat
.Lfunc_end93:
	.size	_ZN5aiter36smooth_per_token_scaled_quant_kernelItDB8_Li512ELi16ELb0ELb1ELb1ELi1024EEEvPT0_PfPT_S4_PiS7_iiPKiiiiiiiii, .Lfunc_end93-_ZN5aiter36smooth_per_token_scaled_quant_kernelItDB8_Li512ELi16ELb0ELb1ELb1ELi1024EEEvPT0_PfPT_S4_PiS7_iiPKiiiiiiiii
                                        ; -- End function
	.section	.AMDGPU.csdata,"",@progbits
; Kernel info:
; codeLenInByte = 3268
; NumSgprs: 51
; NumVgprs: 50
; NumAgprs: 0
; TotalNumVgprs: 50
; ScratchSize: 0
; MemoryBound: 0
; FloatMode: 240
; IeeeMode: 1
; LDSByteSize: 4128 bytes/workgroup (compile time only)
; SGPRBlocks: 6
; VGPRBlocks: 6
; NumSGPRsForWavesPerEU: 51
; NumVGPRsForWavesPerEU: 50
; AccumOffset: 52
; Occupancy: 8
; WaveLimiterHint : 0
; COMPUTE_PGM_RSRC2:SCRATCH_EN: 0
; COMPUTE_PGM_RSRC2:USER_SGPR: 6
; COMPUTE_PGM_RSRC2:TRAP_HANDLER: 0
; COMPUTE_PGM_RSRC2:TGID_X_EN: 1
; COMPUTE_PGM_RSRC2:TGID_Y_EN: 0
; COMPUTE_PGM_RSRC2:TGID_Z_EN: 0
; COMPUTE_PGM_RSRC2:TIDIG_COMP_CNT: 0
; COMPUTE_PGM_RSRC3_GFX90A:ACCUM_OFFSET: 12
; COMPUTE_PGM_RSRC3_GFX90A:TG_SPLIT: 0
	.section	.text._ZN5aiter36smooth_per_token_scaled_quant_kernelIDF16_DB8_Li512ELi16ELb0ELb1ELb0ELi1024EEEvPT0_PfPT_S4_PiS7_iiPKiiiiiiiii,"axG",@progbits,_ZN5aiter36smooth_per_token_scaled_quant_kernelIDF16_DB8_Li512ELi16ELb0ELb1ELb0ELi1024EEEvPT0_PfPT_S4_PiS7_iiPKiiiiiiiii,comdat
	.protected	_ZN5aiter36smooth_per_token_scaled_quant_kernelIDF16_DB8_Li512ELi16ELb0ELb1ELb0ELi1024EEEvPT0_PfPT_S4_PiS7_iiPKiiiiiiiii ; -- Begin function _ZN5aiter36smooth_per_token_scaled_quant_kernelIDF16_DB8_Li512ELi16ELb0ELb1ELb0ELi1024EEEvPT0_PfPT_S4_PiS7_iiPKiiiiiiiii
	.globl	_ZN5aiter36smooth_per_token_scaled_quant_kernelIDF16_DB8_Li512ELi16ELb0ELb1ELb0ELi1024EEEvPT0_PfPT_S4_PiS7_iiPKiiiiiiiii
	.p2align	8
	.type	_ZN5aiter36smooth_per_token_scaled_quant_kernelIDF16_DB8_Li512ELi16ELb0ELb1ELb0ELi1024EEEvPT0_PfPT_S4_PiS7_iiPKiiiiiiiii,@function
_ZN5aiter36smooth_per_token_scaled_quant_kernelIDF16_DB8_Li512ELi16ELb0ELb1ELb0ELi1024EEEvPT0_PfPT_S4_PiS7_iiPKiiiiiiiii: ; @_ZN5aiter36smooth_per_token_scaled_quant_kernelIDF16_DB8_Li512ELi16ELb0ELb1ELb0ELi1024EEEvPT0_PfPT_S4_PiS7_iiPKiiiiiiiii
; %bb.0:
	s_load_dwordx2 s[2:3], s[4:5], 0x38
	s_load_dwordx8 s[8:15], s[4:5], 0x40
	s_mov_b64 s[0:1], 0
	s_waitcnt lgkmcnt(0)
	s_cmp_lg_u64 s[2:3], 0
	s_cbranch_scc0 .LBB94_24
; %bb.1:
	s_load_dword s2, s[2:3], 0x0
	s_waitcnt lgkmcnt(0)
	s_mul_i32 s2, s2, s8
	s_andn2_b64 vcc, exec, s[0:1]
	s_cbranch_vccnz .LBB94_3
.LBB94_2:
	s_mul_i32 s2, s10, s9
.LBB94_3:
	s_load_dwordx2 s[8:9], s[4:5], 0x30
	s_abs_i32 s1, s2
	s_waitcnt lgkmcnt(0)
	s_abs_i32 s0, s8
	v_cvt_f32_u32_e32 v1, s0
	s_sub_i32 s7, 0, s0
	s_xor_b32 s3, s2, s8
	s_ashr_i32 s3, s3, 31
	v_rcp_iflag_f32_e32 v1, v1
	v_mul_f32_e32 v1, 0x4f7ffffe, v1
	v_cvt_u32_f32_e32 v1, v1
	v_readfirstlane_b32 s15, v1
	s_mul_i32 s7, s7, s15
	s_mul_hi_u32 s7, s15, s7
	s_add_i32 s15, s15, s7
	s_mul_hi_u32 s7, s1, s15
	s_mul_i32 s15, s7, s0
	s_sub_i32 s1, s1, s15
	s_add_i32 s16, s7, 1
	s_sub_i32 s15, s1, s0
	s_cmp_ge_u32 s1, s0
	s_cselect_b32 s7, s16, s7
	s_cselect_b32 s1, s15, s1
	s_add_i32 s15, s7, 1
	s_cmp_ge_u32 s1, s0
	s_cselect_b32 s0, s15, s7
	s_xor_b32 s0, s0, s3
	s_sub_i32 s7, s0, s3
	s_mul_i32 s0, s7, s8
	s_sub_i32 s2, s2, s0
	s_cmp_lt_u32 s6, s2
	s_cselect_b64 s[0:1], -1, 0
	s_add_i32 s8, s7, 1
	s_cmp_ge_u32 s6, s2
	s_cbranch_scc0 .LBB94_5
; %bb.4:
	s_mul_i32 s3, s2, s8
	s_sub_i32 s2, s6, s2
	s_mul_i32 s2, s2, s7
	s_add_i32 s34, s2, s3
	s_cbranch_execz .LBB94_6
	s_branch .LBB94_7
.LBB94_5:
                                        ; implicit-def: $sgpr34
.LBB94_6:
	s_mul_i32 s34, s8, s6
.LBB94_7:
	v_cndmask_b32_e64 v1, 0, 1, s[0:1]
	v_readfirstlane_b32 s0, v1
	s_add_i32 s8, s7, s0
	s_cmp_lt_i32 s8, 1
	s_cbranch_scc1 .LBB94_23
; %bb.8:
	s_load_dwordx2 s[0:1], s[4:5], 0x20
	s_load_dwordx8 s[16:23], s[4:5], 0x0
	s_ashr_i32 s35, s34, 31
	s_lshl_b64 s[2:3], s[34:35], 2
	v_lshrrev_b32_e32 v2, 4, v0
	s_waitcnt lgkmcnt(0)
	s_add_u32 s24, s0, s2
	s_addc_u32 s0, s1, s3
	v_and_b32_e32 v74, 60, v2
	v_and_b32_e32 v2, 7, v0
	s_abs_i32 s35, s10
	v_lshlrev_b32_e32 v75, 2, v2
	v_cvt_f32_u32_e32 v2, s35
	s_add_i32 s2, s9, 15
	s_ashr_i32 s3, s2, 31
	s_lshr_b32 s3, s3, 28
	v_rcp_iflag_f32_e32 v2, v2
	s_add_i32 s4, s9, 3
	s_add_i32 s2, s2, s3
	s_ashr_i32 s5, s4, 31
	v_mul_f32_e32 v2, 0x4f7ffffe, v2
	v_cvt_u32_f32_e32 v2, v2
	v_and_b32_e32 v1, 63, v0
	s_ashr_i32 s2, s2, 4
	s_lshr_b32 s5, s5, 30
	s_and_b32 s25, s0, 0xffff
	v_lshlrev_b32_e32 v72, 5, v0
	v_lshlrev_b32_e32 v73, 6, v0
	v_cmp_eq_u32_e32 vcc, 63, v1
	v_cmp_eq_u32_e64 s[0:1], 0, v0
	v_cmp_gt_u32_e64 s[2:3], s2, v0
	s_add_i32 s4, s4, s5
	v_lshlrev_b32_e32 v76, 4, v0
	v_readfirstlane_b32 s5, v2
	v_lshlrev_b32_e32 v77, 2, v1
                                        ; implicit-def: $vgpr0_vgpr1_vgpr2_vgpr3_vgpr4_vgpr5_vgpr6_vgpr7_vgpr8_vgpr9_vgpr10_vgpr11_vgpr12_vgpr13_vgpr14_vgpr15
                                        ; implicit-def: $vgpr4_vgpr5_vgpr6_vgpr7_vgpr8_vgpr9_vgpr10_vgpr11_vgpr12_vgpr13_vgpr14_vgpr15_vgpr16_vgpr17_vgpr18_vgpr19
	s_and_b32 s38, s4, -4
	s_sub_i32 s4, 0, s35
                                        ; implicit-def: $vgpr10_vgpr11_vgpr12_vgpr13_vgpr14_vgpr15_vgpr16_vgpr17_vgpr18_vgpr19_vgpr20_vgpr21_vgpr22_vgpr23_vgpr24_vgpr25
	s_mul_i32 s4, s4, s5
                                        ; implicit-def: $vgpr18_vgpr19_vgpr20_vgpr21_vgpr22_vgpr23_vgpr24_vgpr25_vgpr26_vgpr27_vgpr28_vgpr29_vgpr30_vgpr31_vgpr32_vgpr33
	s_lshl_b32 s6, s8, 2
	s_mov_b32 s7, 0x20000
	s_mul_hi_u32 s4, s5, s4
                                        ; implicit-def: $vgpr28_vgpr29_vgpr30_vgpr31_vgpr32_vgpr33_vgpr34_vgpr35_vgpr36_vgpr37_vgpr38_vgpr39_vgpr40_vgpr41_vgpr42_vgpr43
	s_mov_b64 s[26:27], s[6:7]
	s_mov_b32 s15, s9
	s_lshl_b32 s30, s9, 1
	s_lshl_b32 s6, s9, 2
	s_mov_b32 s33, 0
	s_ashr_i32 s40, s10, 31
	s_add_i32 s41, s5, s4
	s_mov_b32 s31, -1
	v_mov_b32_e32 v81, 0
	s_mov_b32 s42, 0x2edbe6ff
	v_mov_b32_e32 v78, 0
	v_mov_b32_e32 v79, 0xc3e00000
	;; [unrolled: 1-line block ×3, first 2 shown]
	s_mov_b32 s43, 0x5040100
	s_mov_b32 s44, 0x1060504
	;; [unrolled: 1-line block ×3, first 2 shown]
                                        ; implicit-def: $vgpr40_vgpr41_vgpr42_vgpr43_vgpr44_vgpr45_vgpr46_vgpr47_vgpr48_vgpr49_vgpr50_vgpr51_vgpr52_vgpr53_vgpr54_vgpr55
                                        ; implicit-def: $vgpr70
                                        ; implicit-def: $vgpr54_vgpr55_vgpr56_vgpr57_vgpr58_vgpr59_vgpr60_vgpr61_vgpr62_vgpr63_vgpr64_vgpr65_vgpr66_vgpr67_vgpr68_vgpr69
	s_branch .LBB94_11
.LBB94_9:                               ;   in Loop: Header=BB94_11 Depth=1
	s_or_b64 exec, exec, s[4:5]
.LBB94_10:                              ;   in Loop: Header=BB94_11 Depth=1
	s_add_i32 s33, s33, 1
	s_cmp_eq_u32 s8, s33
	v_add_u32_e32 v77, 4, v77
	s_cbranch_scc1 .LBB94_23
.LBB94_11:                              ; =>This Inner Loop Header: Depth=1
	s_and_b32 s4, s33, 63
	s_cmp_lg_u32 s4, 0
	s_cbranch_scc1 .LBB94_14
; %bb.12:                               ;   in Loop: Header=BB94_11 Depth=1
	buffer_load_dword v81, v77, s[24:27], 0 offen
	s_cmp_lg_u32 s33, 0
	s_waitcnt vmcnt(0)
	s_cbranch_scc1 .LBB94_14
; %bb.13:                               ;   in Loop: Header=BB94_11 Depth=1
	s_barrier
.LBB94_14:                              ;   in Loop: Header=BB94_11 Depth=1
	v_readlane_b32 s4, v81, s4
	s_cmp_lt_i32 s4, 0
	s_cbranch_scc1 .LBB94_10
; %bb.15:                               ;   in Loop: Header=BB94_11 Depth=1
	s_add_i32 s5, s34, s33
	s_abs_i32 s29, s5
	s_mul_hi_u32 s36, s29, s41
	s_mul_i32 s37, s36, s35
	s_ashr_i32 s28, s5, 31
	s_sub_i32 s29, s29, s37
	s_xor_b32 s28, s28, s40
	s_add_i32 s37, s36, 1
	s_sub_i32 s39, s29, s35
	s_cmp_ge_u32 s29, s35
	s_cselect_b32 s36, s37, s36
	s_cselect_b32 s29, s39, s29
	s_add_i32 s37, s36, 1
	s_cmp_ge_u32 s29, s35
	s_cselect_b32 s29, s37, s36
	s_xor_b32 s29, s29, s28
	s_sub_i32 s36, s29, s28
	s_mul_i32 s28, s36, s10
	s_sub_i32 s37, s5, s28
	s_mul_i32 s5, s37, s12
	s_mul_i32 s28, s36, s11
	s_add_i32 s5, s5, s28
	s_cmp_eq_u32 s5, s31
	s_cbranch_scc1 .LBB94_17
; %bb.16:                               ;   in Loop: Header=BB94_11 Depth=1
	s_mul_hi_i32 s29, s5, s15
	s_mul_i32 s28, s5, s15
	s_lshl_b64 s[28:29], s[28:29], 1
	s_add_u32 s28, s20, s28
	s_addc_u32 s29, s21, s29
	s_and_b32 s29, s29, 0xffff
	s_mov_b32 s31, s7
	buffer_load_dwordx4 v[2:5], v72, s[28:31], 0 offen
	buffer_load_dwordx4 v[10:13], v72, s[28:31], 16 offen
	s_mov_b32 s31, s5
	s_waitcnt vmcnt(1)
	v_cvt_f32_f16_e32 v70, v2
	v_cvt_f32_f16_sdwa v71, v2 dst_sel:DWORD dst_unused:UNUSED_PAD src0_sel:WORD_1
	v_cvt_f32_f16_e32 v2, v3
	v_cvt_f32_f16_sdwa v3, v3 dst_sel:DWORD dst_unused:UNUSED_PAD src0_sel:WORD_1
	;; [unrolled: 2-line block ×4, first 2 shown]
	s_waitcnt vmcnt(0)
	v_cvt_f32_f16_e32 v26, v10
	v_cvt_f32_f16_sdwa v27, v10 dst_sel:DWORD dst_unused:UNUSED_PAD src0_sel:WORD_1
	v_cvt_f32_f16_e32 v38, v11
	v_cvt_f32_f16_sdwa v39, v11 dst_sel:DWORD dst_unused:UNUSED_PAD src0_sel:WORD_1
	v_cvt_f32_f16_e32 v52, v12
	v_cvt_f32_f16_sdwa v53, v12 dst_sel:DWORD dst_unused:UNUSED_PAD src0_sel:WORD_1
	v_cvt_f32_f16_e32 v68, v13
	v_cvt_f32_f16_sdwa v69, v13 dst_sel:DWORD dst_unused:UNUSED_PAD src0_sel:WORD_1
.LBB94_17:                              ;   in Loop: Header=BB94_11 Depth=1
	s_mul_i32 s4, s4, s9
	s_ashr_i32 s5, s4, 31
	s_lshl_b64 s[4:5], s[4:5], 2
	s_add_u32 s4, s22, s4
	s_addc_u32 s5, s23, s5
	s_and_b32 s5, s5, 0xffff
	buffer_load_dwordx4 v[4:7], v73, s[4:7], 0 offen
	buffer_load_dwordx4 v[10:13], v73, s[4:7], 16 offen
	s_waitcnt vmcnt(1)
	v_pk_mul_f32 v[20:21], v[70:71], v[4:5]
	v_pk_mul_f32 v[18:19], v[2:3], v[6:7]
	buffer_load_dwordx4 v[4:7], v73, s[4:7], 32 offen
	buffer_load_dwordx4 v[22:25], v73, s[4:7], 48 offen
	s_waitcnt vmcnt(2)
	v_pk_mul_f32 v[14:15], v[8:9], v[10:11]
	v_pk_mul_f32 v[12:13], v[16:17], v[12:13]
	s_waitcnt vmcnt(1)
	v_pk_mul_f32 v[10:11], v[26:27], v[4:5]
	s_waitcnt vmcnt(0)
	v_pk_mul_f32 v[4:5], v[52:53], v[22:23]
	v_max3_f32 v22, |v20|, s42, |v21|
	v_max3_f32 v22, v22, |v18|, |v19|
	v_max3_f32 v22, v22, |v14|, |v15|
	v_max3_f32 v22, v22, |v12|, |v13|
	v_pk_mul_f32 v[6:7], v[38:39], v[6:7]
	v_max3_f32 v22, v22, |v10|, |v11|
	v_max3_f32 v22, v22, |v6|, |v7|
	v_pk_mul_f32 v[0:1], v[68:69], v[24:25]
	v_max3_f32 v22, v22, |v4|, |v5|
	v_max3_f32 v22, v22, |v0|, |v1|
	s_nop 1
	v_mov_b32_dpp v23, v22 quad_perm:[1,0,3,2] row_mask:0xf bank_mask:0xf
	v_cmp_gt_f32_e64 s[4:5], v22, v23
	v_cndmask_b32_e64 v22, v23, v22, s[4:5]
	s_nop 1
	v_mov_b32_dpp v23, v22 quad_perm:[2,3,0,1] row_mask:0xf bank_mask:0xf
	v_cmp_gt_f32_e64 s[4:5], v22, v23
	v_cndmask_b32_e64 v22, v23, v22, s[4:5]
	s_nop 1
	v_mov_b32_dpp v23, v22 row_half_mirror row_mask:0xf bank_mask:0xf
	v_cmp_gt_f32_e64 s[4:5], v22, v23
	v_cndmask_b32_e64 v22, v23, v22, s[4:5]
	s_nop 1
	v_mov_b32_dpp v23, v22 row_mirror row_mask:0xf bank_mask:0xf
	v_cmp_gt_f32_e64 s[4:5], v22, v23
	v_cndmask_b32_e64 v22, v23, v22, s[4:5]
	s_nop 1
	v_mov_b32_dpp v23, v22 row_bcast:15 row_mask:0xf bank_mask:0xf
	v_cmp_gt_f32_e64 s[4:5], v22, v23
	v_cndmask_b32_e64 v22, v23, v22, s[4:5]
	s_nop 1
	v_mov_b32_dpp v23, v22 row_bcast:31 row_mask:0xf bank_mask:0xf
	s_and_saveexec_b64 s[28:29], vcc
	s_cbranch_execz .LBB94_19
; %bb.18:                               ;   in Loop: Header=BB94_11 Depth=1
	v_cmp_gt_f32_e64 s[4:5], v22, v23
	v_cndmask_b32_e64 v22, v23, v22, s[4:5]
	ds_write_b32 v74, v22
.LBB94_19:                              ;   in Loop: Header=BB94_11 Depth=1
	s_or_b64 exec, exec, s[28:29]
	s_waitcnt lgkmcnt(0)
	s_barrier
	ds_read_b32 v22, v75
	s_mul_i32 s36, s36, s13
	s_waitcnt lgkmcnt(0)
	v_mov_b32_dpp v23, v22 quad_perm:[1,0,3,2] row_mask:0xf bank_mask:0xf
	v_cmp_gt_f32_e64 s[4:5], v22, v23
	v_cndmask_b32_e64 v22, v23, v22, s[4:5]
	s_nop 1
	v_mov_b32_dpp v23, v22 quad_perm:[2,3,0,1] row_mask:0xf bank_mask:0xf
	v_cmp_gt_f32_e64 s[4:5], v22, v23
	v_cndmask_b32_e64 v22, v23, v22, s[4:5]
	s_nop 1
	v_mov_b32_dpp v23, v22 row_half_mirror row_mask:0xf bank_mask:0xf
	v_cmp_gt_f32_e64 s[4:5], v22, v23
	v_cndmask_b32_e64 v22, v23, v22, s[4:5]
	s_mul_i32 s4, s37, s14
	v_mul_f32_e32 v22, 0x3b124925, v22
	s_add_i32 s28, s4, s36
	s_and_saveexec_b64 s[4:5], s[0:1]
	s_cbranch_execz .LBB94_21
; %bb.20:                               ;   in Loop: Header=BB94_11 Depth=1
	s_ashr_i32 s29, s28, 31
	s_lshl_b64 s[36:37], s[28:29], 2
	s_add_u32 s36, s18, s36
	s_addc_u32 s37, s19, s37
	global_store_dword v78, v22, s[36:37]
.LBB94_21:                              ;   in Loop: Header=BB94_11 Depth=1
	s_or_b64 exec, exec, s[4:5]
	s_and_saveexec_b64 s[4:5], s[2:3]
	s_cbranch_execz .LBB94_9
; %bb.22:                               ;   in Loop: Header=BB94_11 Depth=1
	v_rcp_f32_e32 v22, v22
	s_mul_hi_i32 s29, s28, s15
	s_mul_i32 s28, s28, s15
	s_add_u32 s36, s16, s28
	v_mov_b32_e32 v23, v22
	;;#ASMSTART
	v_pk_mul_f32 v[20:21], v[20:21], v[22:23]
	;;#ASMEND
	;;#ASMSTART
	v_med3_f32 v20, v20, v79, v80
v_med3_f32 v21, v21, v79, v80
v_cvt_pk_fp8_f32 v24, v20, v21
	;;#ASMEND
	;;#ASMSTART
	v_pk_mul_f32 v[18:19], v[18:19], v[22:23]
	;;#ASMEND
	;;#ASMSTART
	v_med3_f32 v18, v18, v79, v80
v_med3_f32 v19, v19, v79, v80
v_cvt_pk_fp8_f32 v20, v18, v19
	;;#ASMEND
	;; [unrolled: 8-line block ×6, first 2 shown]
	;;#ASMSTART
	v_pk_mul_f32 v[4:5], v[4:5], v[22:23]
	;;#ASMEND
	s_addc_u32 s28, s17, s29
	v_perm_b32 v18, v20, v24, s43
	;;#ASMSTART
	v_med3_f32 v4, v4, v79, v80
v_med3_f32 v5, v5, v79, v80
v_cvt_pk_fp8_f32 v6, v4, v5
	;;#ASMEND
	;;#ASMSTART
	v_pk_mul_f32 v[0:1], v[0:1], v[22:23]
	;;#ASMEND
	s_and_b32 s37, s28, 0xffff
	s_mov_b32 s39, s7
	v_perm_b32 v18, v18, v20, s44
	v_perm_b32 v19, v19, v14, s45
	;; [unrolled: 1-line block ×3, first 2 shown]
	;;#ASMSTART
	v_med3_f32 v0, v0, v79, v80
v_med3_f32 v1, v1, v79, v80
v_cvt_pk_fp8_f32 v4, v0, v1
	;;#ASMEND
	v_perm_b32 v21, v6, v4, s45
	buffer_store_dwordx4 v[18:21], v76, s[36:39], 0 offen
	;;#ASMSTART
	s_nop 0
	;;#ASMEND
	s_branch .LBB94_9
.LBB94_23:
	s_endpgm
.LBB94_24:
                                        ; implicit-def: $sgpr2
	s_branch .LBB94_2
	.section	.rodata,"a",@progbits
	.p2align	6, 0x0
	.amdhsa_kernel _ZN5aiter36smooth_per_token_scaled_quant_kernelIDF16_DB8_Li512ELi16ELb0ELb1ELb0ELi1024EEEvPT0_PfPT_S4_PiS7_iiPKiiiiiiiii
		.amdhsa_group_segment_fixed_size 32
		.amdhsa_private_segment_fixed_size 0
		.amdhsa_kernarg_size 96
		.amdhsa_user_sgpr_count 6
		.amdhsa_user_sgpr_private_segment_buffer 1
		.amdhsa_user_sgpr_dispatch_ptr 0
		.amdhsa_user_sgpr_queue_ptr 0
		.amdhsa_user_sgpr_kernarg_segment_ptr 1
		.amdhsa_user_sgpr_dispatch_id 0
		.amdhsa_user_sgpr_flat_scratch_init 0
		.amdhsa_user_sgpr_kernarg_preload_length 0
		.amdhsa_user_sgpr_kernarg_preload_offset 0
		.amdhsa_user_sgpr_private_segment_size 0
		.amdhsa_uses_dynamic_stack 0
		.amdhsa_system_sgpr_private_segment_wavefront_offset 0
		.amdhsa_system_sgpr_workgroup_id_x 1
		.amdhsa_system_sgpr_workgroup_id_y 0
		.amdhsa_system_sgpr_workgroup_id_z 0
		.amdhsa_system_sgpr_workgroup_info 0
		.amdhsa_system_vgpr_workitem_id 0
		.amdhsa_next_free_vgpr 82
		.amdhsa_next_free_sgpr 46
		.amdhsa_accum_offset 84
		.amdhsa_reserve_vcc 1
		.amdhsa_reserve_flat_scratch 0
		.amdhsa_float_round_mode_32 0
		.amdhsa_float_round_mode_16_64 0
		.amdhsa_float_denorm_mode_32 3
		.amdhsa_float_denorm_mode_16_64 3
		.amdhsa_dx10_clamp 1
		.amdhsa_ieee_mode 1
		.amdhsa_fp16_overflow 0
		.amdhsa_tg_split 0
		.amdhsa_exception_fp_ieee_invalid_op 0
		.amdhsa_exception_fp_denorm_src 0
		.amdhsa_exception_fp_ieee_div_zero 0
		.amdhsa_exception_fp_ieee_overflow 0
		.amdhsa_exception_fp_ieee_underflow 0
		.amdhsa_exception_fp_ieee_inexact 0
		.amdhsa_exception_int_div_zero 0
	.end_amdhsa_kernel
	.section	.text._ZN5aiter36smooth_per_token_scaled_quant_kernelIDF16_DB8_Li512ELi16ELb0ELb1ELb0ELi1024EEEvPT0_PfPT_S4_PiS7_iiPKiiiiiiiii,"axG",@progbits,_ZN5aiter36smooth_per_token_scaled_quant_kernelIDF16_DB8_Li512ELi16ELb0ELb1ELb0ELi1024EEEvPT0_PfPT_S4_PiS7_iiPKiiiiiiiii,comdat
.Lfunc_end94:
	.size	_ZN5aiter36smooth_per_token_scaled_quant_kernelIDF16_DB8_Li512ELi16ELb0ELb1ELb0ELi1024EEEvPT0_PfPT_S4_PiS7_iiPKiiiiiiiii, .Lfunc_end94-_ZN5aiter36smooth_per_token_scaled_quant_kernelIDF16_DB8_Li512ELi16ELb0ELb1ELb0ELi1024EEEvPT0_PfPT_S4_PiS7_iiPKiiiiiiiii
                                        ; -- End function
	.section	.AMDGPU.csdata,"",@progbits
; Kernel info:
; codeLenInByte = 1784
; NumSgprs: 50
; NumVgprs: 82
; NumAgprs: 0
; TotalNumVgprs: 82
; ScratchSize: 0
; MemoryBound: 0
; FloatMode: 240
; IeeeMode: 1
; LDSByteSize: 32 bytes/workgroup (compile time only)
; SGPRBlocks: 6
; VGPRBlocks: 10
; NumSGPRsForWavesPerEU: 50
; NumVGPRsForWavesPerEU: 82
; AccumOffset: 84
; Occupancy: 5
; WaveLimiterHint : 0
; COMPUTE_PGM_RSRC2:SCRATCH_EN: 0
; COMPUTE_PGM_RSRC2:USER_SGPR: 6
; COMPUTE_PGM_RSRC2:TRAP_HANDLER: 0
; COMPUTE_PGM_RSRC2:TGID_X_EN: 1
; COMPUTE_PGM_RSRC2:TGID_Y_EN: 0
; COMPUTE_PGM_RSRC2:TGID_Z_EN: 0
; COMPUTE_PGM_RSRC2:TIDIG_COMP_CNT: 0
; COMPUTE_PGM_RSRC3_GFX90A:ACCUM_OFFSET: 20
; COMPUTE_PGM_RSRC3_GFX90A:TG_SPLIT: 0
	.section	.text._ZN5aiter36smooth_per_token_scaled_quant_kernelItDB8_Li512ELi16ELb0ELb1ELb0ELi1024EEEvPT0_PfPT_S4_PiS7_iiPKiiiiiiiii,"axG",@progbits,_ZN5aiter36smooth_per_token_scaled_quant_kernelItDB8_Li512ELi16ELb0ELb1ELb0ELi1024EEEvPT0_PfPT_S4_PiS7_iiPKiiiiiiiii,comdat
	.protected	_ZN5aiter36smooth_per_token_scaled_quant_kernelItDB8_Li512ELi16ELb0ELb1ELb0ELi1024EEEvPT0_PfPT_S4_PiS7_iiPKiiiiiiiii ; -- Begin function _ZN5aiter36smooth_per_token_scaled_quant_kernelItDB8_Li512ELi16ELb0ELb1ELb0ELi1024EEEvPT0_PfPT_S4_PiS7_iiPKiiiiiiiii
	.globl	_ZN5aiter36smooth_per_token_scaled_quant_kernelItDB8_Li512ELi16ELb0ELb1ELb0ELi1024EEEvPT0_PfPT_S4_PiS7_iiPKiiiiiiiii
	.p2align	8
	.type	_ZN5aiter36smooth_per_token_scaled_quant_kernelItDB8_Li512ELi16ELb0ELb1ELb0ELi1024EEEvPT0_PfPT_S4_PiS7_iiPKiiiiiiiii,@function
_ZN5aiter36smooth_per_token_scaled_quant_kernelItDB8_Li512ELi16ELb0ELb1ELb0ELi1024EEEvPT0_PfPT_S4_PiS7_iiPKiiiiiiiii: ; @_ZN5aiter36smooth_per_token_scaled_quant_kernelItDB8_Li512ELi16ELb0ELb1ELb0ELi1024EEEvPT0_PfPT_S4_PiS7_iiPKiiiiiiiii
; %bb.0:
	s_load_dwordx2 s[2:3], s[4:5], 0x38
	s_load_dwordx8 s[8:15], s[4:5], 0x40
	s_mov_b64 s[0:1], 0
	s_waitcnt lgkmcnt(0)
	s_cmp_lg_u64 s[2:3], 0
	s_cbranch_scc0 .LBB95_24
; %bb.1:
	s_load_dword s2, s[2:3], 0x0
	s_waitcnt lgkmcnt(0)
	s_mul_i32 s2, s2, s8
	s_andn2_b64 vcc, exec, s[0:1]
	s_cbranch_vccnz .LBB95_3
.LBB95_2:
	s_mul_i32 s2, s10, s9
.LBB95_3:
	s_load_dwordx2 s[8:9], s[4:5], 0x30
	s_abs_i32 s1, s2
	s_waitcnt lgkmcnt(0)
	s_abs_i32 s0, s8
	v_cvt_f32_u32_e32 v1, s0
	s_sub_i32 s7, 0, s0
	s_xor_b32 s3, s2, s8
	s_ashr_i32 s3, s3, 31
	v_rcp_iflag_f32_e32 v1, v1
	v_mul_f32_e32 v1, 0x4f7ffffe, v1
	v_cvt_u32_f32_e32 v1, v1
	v_readfirstlane_b32 s15, v1
	s_mul_i32 s7, s7, s15
	s_mul_hi_u32 s7, s15, s7
	s_add_i32 s15, s15, s7
	s_mul_hi_u32 s7, s1, s15
	s_mul_i32 s15, s7, s0
	s_sub_i32 s1, s1, s15
	s_add_i32 s16, s7, 1
	s_sub_i32 s15, s1, s0
	s_cmp_ge_u32 s1, s0
	s_cselect_b32 s7, s16, s7
	s_cselect_b32 s1, s15, s1
	s_add_i32 s15, s7, 1
	s_cmp_ge_u32 s1, s0
	s_cselect_b32 s0, s15, s7
	s_xor_b32 s0, s0, s3
	s_sub_i32 s7, s0, s3
	s_mul_i32 s0, s7, s8
	s_sub_i32 s2, s2, s0
	s_cmp_lt_u32 s6, s2
	s_cselect_b64 s[0:1], -1, 0
	s_add_i32 s8, s7, 1
	s_cmp_ge_u32 s6, s2
	s_cbranch_scc0 .LBB95_5
; %bb.4:
	s_mul_i32 s3, s2, s8
	s_sub_i32 s2, s6, s2
	s_mul_i32 s2, s2, s7
	s_add_i32 s34, s2, s3
	s_cbranch_execz .LBB95_6
	s_branch .LBB95_7
.LBB95_5:
                                        ; implicit-def: $sgpr34
.LBB95_6:
	s_mul_i32 s34, s8, s6
.LBB95_7:
	v_cndmask_b32_e64 v1, 0, 1, s[0:1]
	v_readfirstlane_b32 s0, v1
	s_add_i32 s8, s7, s0
	s_cmp_lt_i32 s8, 1
	s_cbranch_scc1 .LBB95_23
; %bb.8:
	s_load_dwordx2 s[0:1], s[4:5], 0x20
	s_load_dwordx8 s[16:23], s[4:5], 0x0
	s_ashr_i32 s35, s34, 31
	s_lshl_b64 s[2:3], s[34:35], 2
	v_lshrrev_b32_e32 v2, 4, v0
	s_waitcnt lgkmcnt(0)
	s_add_u32 s24, s0, s2
	s_addc_u32 s0, s1, s3
	v_and_b32_e32 v74, 60, v2
	v_and_b32_e32 v2, 7, v0
	s_abs_i32 s35, s10
	v_lshlrev_b32_e32 v75, 2, v2
	v_cvt_f32_u32_e32 v2, s35
	s_add_i32 s2, s9, 15
	s_ashr_i32 s3, s2, 31
	s_lshr_b32 s3, s3, 28
	v_rcp_iflag_f32_e32 v2, v2
	s_add_i32 s4, s9, 3
	s_add_i32 s2, s2, s3
	s_ashr_i32 s5, s4, 31
	v_mul_f32_e32 v2, 0x4f7ffffe, v2
	v_cvt_u32_f32_e32 v2, v2
	v_and_b32_e32 v1, 63, v0
	s_ashr_i32 s2, s2, 4
	s_lshr_b32 s5, s5, 30
	s_and_b32 s25, s0, 0xffff
	v_lshlrev_b32_e32 v72, 5, v0
	v_lshlrev_b32_e32 v73, 6, v0
	v_cmp_eq_u32_e32 vcc, 63, v1
	v_cmp_eq_u32_e64 s[0:1], 0, v0
	v_cmp_gt_u32_e64 s[2:3], s2, v0
	s_add_i32 s4, s4, s5
	v_lshlrev_b32_e32 v76, 4, v0
	v_readfirstlane_b32 s5, v2
	v_lshlrev_b32_e32 v77, 2, v1
                                        ; implicit-def: $vgpr0_vgpr1_vgpr2_vgpr3_vgpr4_vgpr5_vgpr6_vgpr7_vgpr8_vgpr9_vgpr10_vgpr11_vgpr12_vgpr13_vgpr14_vgpr15
                                        ; implicit-def: $vgpr4_vgpr5_vgpr6_vgpr7_vgpr8_vgpr9_vgpr10_vgpr11_vgpr12_vgpr13_vgpr14_vgpr15_vgpr16_vgpr17_vgpr18_vgpr19
	s_and_b32 s38, s4, -4
	s_sub_i32 s4, 0, s35
                                        ; implicit-def: $vgpr10_vgpr11_vgpr12_vgpr13_vgpr14_vgpr15_vgpr16_vgpr17_vgpr18_vgpr19_vgpr20_vgpr21_vgpr22_vgpr23_vgpr24_vgpr25
	s_mul_i32 s4, s4, s5
                                        ; implicit-def: $vgpr18_vgpr19_vgpr20_vgpr21_vgpr22_vgpr23_vgpr24_vgpr25_vgpr26_vgpr27_vgpr28_vgpr29_vgpr30_vgpr31_vgpr32_vgpr33
	s_lshl_b32 s6, s8, 2
	s_mov_b32 s7, 0x20000
	s_mul_hi_u32 s4, s5, s4
                                        ; implicit-def: $vgpr28_vgpr29_vgpr30_vgpr31_vgpr32_vgpr33_vgpr34_vgpr35_vgpr36_vgpr37_vgpr38_vgpr39_vgpr40_vgpr41_vgpr42_vgpr43
	s_mov_b64 s[26:27], s[6:7]
	s_mov_b32 s15, s9
	s_lshl_b32 s30, s9, 1
	s_lshl_b32 s6, s9, 2
	s_mov_b32 s33, 0
	s_ashr_i32 s40, s10, 31
	s_add_i32 s41, s5, s4
	s_mov_b32 s31, -1
	v_mov_b32_e32 v81, 0
	s_mov_b32 s42, 0x2edbe6ff
	v_mov_b32_e32 v78, 0
	v_mov_b32_e32 v79, 0xc3e00000
	;; [unrolled: 1-line block ×3, first 2 shown]
	s_mov_b32 s43, 0x5040100
	s_mov_b32 s44, 0x1060504
	;; [unrolled: 1-line block ×3, first 2 shown]
                                        ; implicit-def: $vgpr40_vgpr41_vgpr42_vgpr43_vgpr44_vgpr45_vgpr46_vgpr47_vgpr48_vgpr49_vgpr50_vgpr51_vgpr52_vgpr53_vgpr54_vgpr55
                                        ; implicit-def: $vgpr70
                                        ; implicit-def: $vgpr54_vgpr55_vgpr56_vgpr57_vgpr58_vgpr59_vgpr60_vgpr61_vgpr62_vgpr63_vgpr64_vgpr65_vgpr66_vgpr67_vgpr68_vgpr69
	s_branch .LBB95_11
.LBB95_9:                               ;   in Loop: Header=BB95_11 Depth=1
	s_or_b64 exec, exec, s[4:5]
.LBB95_10:                              ;   in Loop: Header=BB95_11 Depth=1
	s_add_i32 s33, s33, 1
	s_cmp_eq_u32 s8, s33
	v_add_u32_e32 v77, 4, v77
	s_cbranch_scc1 .LBB95_23
.LBB95_11:                              ; =>This Inner Loop Header: Depth=1
	s_and_b32 s4, s33, 63
	s_cmp_lg_u32 s4, 0
	s_cbranch_scc1 .LBB95_14
; %bb.12:                               ;   in Loop: Header=BB95_11 Depth=1
	buffer_load_dword v81, v77, s[24:27], 0 offen
	s_cmp_lg_u32 s33, 0
	s_waitcnt vmcnt(0)
	s_cbranch_scc1 .LBB95_14
; %bb.13:                               ;   in Loop: Header=BB95_11 Depth=1
	s_barrier
.LBB95_14:                              ;   in Loop: Header=BB95_11 Depth=1
	v_readlane_b32 s4, v81, s4
	s_cmp_lt_i32 s4, 0
	s_cbranch_scc1 .LBB95_10
; %bb.15:                               ;   in Loop: Header=BB95_11 Depth=1
	s_add_i32 s5, s34, s33
	s_abs_i32 s29, s5
	s_mul_hi_u32 s36, s29, s41
	s_mul_i32 s37, s36, s35
	s_ashr_i32 s28, s5, 31
	s_sub_i32 s29, s29, s37
	s_xor_b32 s28, s28, s40
	s_add_i32 s37, s36, 1
	s_sub_i32 s39, s29, s35
	s_cmp_ge_u32 s29, s35
	s_cselect_b32 s36, s37, s36
	s_cselect_b32 s29, s39, s29
	s_add_i32 s37, s36, 1
	s_cmp_ge_u32 s29, s35
	s_cselect_b32 s29, s37, s36
	s_xor_b32 s29, s29, s28
	s_sub_i32 s36, s29, s28
	s_mul_i32 s28, s36, s10
	s_sub_i32 s37, s5, s28
	s_mul_i32 s5, s37, s12
	s_mul_i32 s28, s36, s11
	s_add_i32 s5, s5, s28
	s_cmp_eq_u32 s5, s31
	s_cbranch_scc1 .LBB95_17
; %bb.16:                               ;   in Loop: Header=BB95_11 Depth=1
	s_mul_hi_i32 s29, s5, s15
	s_mul_i32 s28, s5, s15
	s_lshl_b64 s[28:29], s[28:29], 1
	s_add_u32 s28, s20, s28
	s_addc_u32 s29, s21, s29
	s_and_b32 s29, s29, 0xffff
	s_mov_b32 s31, s7
	buffer_load_dwordx4 v[4:7], v72, s[28:31], 0 offen
	buffer_load_dwordx4 v[10:13], v72, s[28:31], 16 offen
	s_mov_b32 s31, s5
	s_waitcnt vmcnt(1)
	v_cvt_f32_u32_sdwa v71, v4 dst_sel:DWORD dst_unused:UNUSED_PAD src0_sel:WORD_1
	v_cvt_f32_u32_sdwa v70, v4 dst_sel:DWORD dst_unused:UNUSED_PAD src0_sel:WORD_0
	v_cvt_f32_u32_sdwa v3, v5 dst_sel:DWORD dst_unused:UNUSED_PAD src0_sel:WORD_1
	v_cvt_f32_u32_sdwa v2, v5 dst_sel:DWORD dst_unused:UNUSED_PAD src0_sel:WORD_0
	;; [unrolled: 2-line block ×4, first 2 shown]
	s_waitcnt vmcnt(0)
	v_cvt_f32_u32_sdwa v27, v10 dst_sel:DWORD dst_unused:UNUSED_PAD src0_sel:WORD_1
	v_cvt_f32_u32_sdwa v26, v10 dst_sel:DWORD dst_unused:UNUSED_PAD src0_sel:WORD_0
	v_cvt_f32_u32_sdwa v39, v11 dst_sel:DWORD dst_unused:UNUSED_PAD src0_sel:WORD_1
	v_cvt_f32_u32_sdwa v38, v11 dst_sel:DWORD dst_unused:UNUSED_PAD src0_sel:WORD_0
	;; [unrolled: 2-line block ×4, first 2 shown]
.LBB95_17:                              ;   in Loop: Header=BB95_11 Depth=1
	s_mul_i32 s4, s4, s9
	s_ashr_i32 s5, s4, 31
	s_lshl_b64 s[4:5], s[4:5], 2
	s_add_u32 s4, s22, s4
	s_addc_u32 s5, s23, s5
	s_and_b32 s5, s5, 0xffff
	buffer_load_dwordx4 v[4:7], v73, s[4:7], 0 offen
	buffer_load_dwordx4 v[10:13], v73, s[4:7], 16 offen
	s_waitcnt vmcnt(1)
	v_pk_mul_f32 v[20:21], v[70:71], v[4:5]
	v_pk_mul_f32 v[18:19], v[2:3], v[6:7]
	buffer_load_dwordx4 v[4:7], v73, s[4:7], 32 offen
	buffer_load_dwordx4 v[22:25], v73, s[4:7], 48 offen
	s_waitcnt vmcnt(2)
	v_pk_mul_f32 v[14:15], v[8:9], v[10:11]
	v_pk_mul_f32 v[12:13], v[16:17], v[12:13]
	s_waitcnt vmcnt(1)
	v_pk_mul_f32 v[10:11], v[26:27], v[4:5]
	s_waitcnt vmcnt(0)
	v_pk_mul_f32 v[4:5], v[52:53], v[22:23]
	v_max3_f32 v22, |v20|, s42, |v21|
	v_max3_f32 v22, v22, |v18|, |v19|
	v_max3_f32 v22, v22, |v14|, |v15|
	;; [unrolled: 1-line block ×3, first 2 shown]
	v_pk_mul_f32 v[6:7], v[38:39], v[6:7]
	v_max3_f32 v22, v22, |v10|, |v11|
	v_max3_f32 v22, v22, |v6|, |v7|
	v_pk_mul_f32 v[0:1], v[68:69], v[24:25]
	v_max3_f32 v22, v22, |v4|, |v5|
	v_max3_f32 v22, v22, |v0|, |v1|
	s_nop 1
	v_mov_b32_dpp v23, v22 quad_perm:[1,0,3,2] row_mask:0xf bank_mask:0xf
	v_cmp_gt_f32_e64 s[4:5], v22, v23
	v_cndmask_b32_e64 v22, v23, v22, s[4:5]
	s_nop 1
	v_mov_b32_dpp v23, v22 quad_perm:[2,3,0,1] row_mask:0xf bank_mask:0xf
	v_cmp_gt_f32_e64 s[4:5], v22, v23
	v_cndmask_b32_e64 v22, v23, v22, s[4:5]
	s_nop 1
	v_mov_b32_dpp v23, v22 row_half_mirror row_mask:0xf bank_mask:0xf
	v_cmp_gt_f32_e64 s[4:5], v22, v23
	v_cndmask_b32_e64 v22, v23, v22, s[4:5]
	s_nop 1
	v_mov_b32_dpp v23, v22 row_mirror row_mask:0xf bank_mask:0xf
	v_cmp_gt_f32_e64 s[4:5], v22, v23
	v_cndmask_b32_e64 v22, v23, v22, s[4:5]
	s_nop 1
	v_mov_b32_dpp v23, v22 row_bcast:15 row_mask:0xf bank_mask:0xf
	v_cmp_gt_f32_e64 s[4:5], v22, v23
	v_cndmask_b32_e64 v22, v23, v22, s[4:5]
	s_nop 1
	v_mov_b32_dpp v23, v22 row_bcast:31 row_mask:0xf bank_mask:0xf
	s_and_saveexec_b64 s[28:29], vcc
	s_cbranch_execz .LBB95_19
; %bb.18:                               ;   in Loop: Header=BB95_11 Depth=1
	v_cmp_gt_f32_e64 s[4:5], v22, v23
	v_cndmask_b32_e64 v22, v23, v22, s[4:5]
	ds_write_b32 v74, v22
.LBB95_19:                              ;   in Loop: Header=BB95_11 Depth=1
	s_or_b64 exec, exec, s[28:29]
	s_waitcnt lgkmcnt(0)
	s_barrier
	ds_read_b32 v22, v75
	s_mul_i32 s36, s36, s13
	s_waitcnt lgkmcnt(0)
	v_mov_b32_dpp v23, v22 quad_perm:[1,0,3,2] row_mask:0xf bank_mask:0xf
	v_cmp_gt_f32_e64 s[4:5], v22, v23
	v_cndmask_b32_e64 v22, v23, v22, s[4:5]
	s_nop 1
	v_mov_b32_dpp v23, v22 quad_perm:[2,3,0,1] row_mask:0xf bank_mask:0xf
	v_cmp_gt_f32_e64 s[4:5], v22, v23
	v_cndmask_b32_e64 v22, v23, v22, s[4:5]
	s_nop 1
	v_mov_b32_dpp v23, v22 row_half_mirror row_mask:0xf bank_mask:0xf
	v_cmp_gt_f32_e64 s[4:5], v22, v23
	v_cndmask_b32_e64 v22, v23, v22, s[4:5]
	s_mul_i32 s4, s37, s14
	v_mul_f32_e32 v22, 0x3b124925, v22
	s_add_i32 s28, s4, s36
	s_and_saveexec_b64 s[4:5], s[0:1]
	s_cbranch_execz .LBB95_21
; %bb.20:                               ;   in Loop: Header=BB95_11 Depth=1
	s_ashr_i32 s29, s28, 31
	s_lshl_b64 s[36:37], s[28:29], 2
	s_add_u32 s36, s18, s36
	s_addc_u32 s37, s19, s37
	global_store_dword v78, v22, s[36:37]
.LBB95_21:                              ;   in Loop: Header=BB95_11 Depth=1
	s_or_b64 exec, exec, s[4:5]
	s_and_saveexec_b64 s[4:5], s[2:3]
	s_cbranch_execz .LBB95_9
; %bb.22:                               ;   in Loop: Header=BB95_11 Depth=1
	v_rcp_f32_e32 v22, v22
	s_mul_hi_i32 s29, s28, s15
	s_mul_i32 s28, s28, s15
	s_add_u32 s36, s16, s28
	v_mov_b32_e32 v23, v22
	;;#ASMSTART
	v_pk_mul_f32 v[20:21], v[20:21], v[22:23]
	;;#ASMEND
	;;#ASMSTART
	v_med3_f32 v20, v20, v79, v80
v_med3_f32 v21, v21, v79, v80
v_cvt_pk_fp8_f32 v24, v20, v21
	;;#ASMEND
	;;#ASMSTART
	v_pk_mul_f32 v[18:19], v[18:19], v[22:23]
	;;#ASMEND
	;;#ASMSTART
	v_med3_f32 v18, v18, v79, v80
v_med3_f32 v19, v19, v79, v80
v_cvt_pk_fp8_f32 v20, v18, v19
	;;#ASMEND
	;;#ASMSTART
	v_pk_mul_f32 v[14:15], v[14:15], v[22:23]
	;;#ASMEND
	;;#ASMSTART
	v_med3_f32 v14, v14, v79, v80
v_med3_f32 v15, v15, v79, v80
v_cvt_pk_fp8_f32 v19, v14, v15
	;;#ASMEND
	;;#ASMSTART
	v_pk_mul_f32 v[12:13], v[12:13], v[22:23]
	;;#ASMEND
	;;#ASMSTART
	v_med3_f32 v12, v12, v79, v80
v_med3_f32 v13, v13, v79, v80
v_cvt_pk_fp8_f32 v14, v12, v13
	;;#ASMEND
	;;#ASMSTART
	v_pk_mul_f32 v[10:11], v[10:11], v[22:23]
	;;#ASMEND
	;;#ASMSTART
	v_med3_f32 v10, v10, v79, v80
v_med3_f32 v11, v11, v79, v80
v_cvt_pk_fp8_f32 v12, v10, v11
	;;#ASMEND
	;;#ASMSTART
	v_pk_mul_f32 v[6:7], v[6:7], v[22:23]
	;;#ASMEND
	;;#ASMSTART
	v_med3_f32 v6, v6, v79, v80
v_med3_f32 v7, v7, v79, v80
v_cvt_pk_fp8_f32 v10, v6, v7
	;;#ASMEND
	;;#ASMSTART
	v_pk_mul_f32 v[4:5], v[4:5], v[22:23]
	;;#ASMEND
	s_addc_u32 s28, s17, s29
	v_perm_b32 v18, v20, v24, s43
	;;#ASMSTART
	v_med3_f32 v4, v4, v79, v80
v_med3_f32 v5, v5, v79, v80
v_cvt_pk_fp8_f32 v6, v4, v5
	;;#ASMEND
	;;#ASMSTART
	v_pk_mul_f32 v[0:1], v[0:1], v[22:23]
	;;#ASMEND
	s_and_b32 s37, s28, 0xffff
	s_mov_b32 s39, s7
	v_perm_b32 v18, v18, v20, s44
	v_perm_b32 v19, v19, v14, s45
	;; [unrolled: 1-line block ×3, first 2 shown]
	;;#ASMSTART
	v_med3_f32 v0, v0, v79, v80
v_med3_f32 v1, v1, v79, v80
v_cvt_pk_fp8_f32 v4, v0, v1
	;;#ASMEND
	v_perm_b32 v21, v6, v4, s45
	buffer_store_dwordx4 v[18:21], v76, s[36:39], 0 offen
	;;#ASMSTART
	s_nop 0
	;;#ASMEND
	s_branch .LBB95_9
.LBB95_23:
	s_endpgm
.LBB95_24:
                                        ; implicit-def: $sgpr2
	s_branch .LBB95_2
	.section	.rodata,"a",@progbits
	.p2align	6, 0x0
	.amdhsa_kernel _ZN5aiter36smooth_per_token_scaled_quant_kernelItDB8_Li512ELi16ELb0ELb1ELb0ELi1024EEEvPT0_PfPT_S4_PiS7_iiPKiiiiiiiii
		.amdhsa_group_segment_fixed_size 32
		.amdhsa_private_segment_fixed_size 0
		.amdhsa_kernarg_size 96
		.amdhsa_user_sgpr_count 6
		.amdhsa_user_sgpr_private_segment_buffer 1
		.amdhsa_user_sgpr_dispatch_ptr 0
		.amdhsa_user_sgpr_queue_ptr 0
		.amdhsa_user_sgpr_kernarg_segment_ptr 1
		.amdhsa_user_sgpr_dispatch_id 0
		.amdhsa_user_sgpr_flat_scratch_init 0
		.amdhsa_user_sgpr_kernarg_preload_length 0
		.amdhsa_user_sgpr_kernarg_preload_offset 0
		.amdhsa_user_sgpr_private_segment_size 0
		.amdhsa_uses_dynamic_stack 0
		.amdhsa_system_sgpr_private_segment_wavefront_offset 0
		.amdhsa_system_sgpr_workgroup_id_x 1
		.amdhsa_system_sgpr_workgroup_id_y 0
		.amdhsa_system_sgpr_workgroup_id_z 0
		.amdhsa_system_sgpr_workgroup_info 0
		.amdhsa_system_vgpr_workitem_id 0
		.amdhsa_next_free_vgpr 82
		.amdhsa_next_free_sgpr 46
		.amdhsa_accum_offset 84
		.amdhsa_reserve_vcc 1
		.amdhsa_reserve_flat_scratch 0
		.amdhsa_float_round_mode_32 0
		.amdhsa_float_round_mode_16_64 0
		.amdhsa_float_denorm_mode_32 3
		.amdhsa_float_denorm_mode_16_64 3
		.amdhsa_dx10_clamp 1
		.amdhsa_ieee_mode 1
		.amdhsa_fp16_overflow 0
		.amdhsa_tg_split 0
		.amdhsa_exception_fp_ieee_invalid_op 0
		.amdhsa_exception_fp_denorm_src 0
		.amdhsa_exception_fp_ieee_div_zero 0
		.amdhsa_exception_fp_ieee_overflow 0
		.amdhsa_exception_fp_ieee_underflow 0
		.amdhsa_exception_fp_ieee_inexact 0
		.amdhsa_exception_int_div_zero 0
	.end_amdhsa_kernel
	.section	.text._ZN5aiter36smooth_per_token_scaled_quant_kernelItDB8_Li512ELi16ELb0ELb1ELb0ELi1024EEEvPT0_PfPT_S4_PiS7_iiPKiiiiiiiii,"axG",@progbits,_ZN5aiter36smooth_per_token_scaled_quant_kernelItDB8_Li512ELi16ELb0ELb1ELb0ELi1024EEEvPT0_PfPT_S4_PiS7_iiPKiiiiiiiii,comdat
.Lfunc_end95:
	.size	_ZN5aiter36smooth_per_token_scaled_quant_kernelItDB8_Li512ELi16ELb0ELb1ELb0ELi1024EEEvPT0_PfPT_S4_PiS7_iiPKiiiiiiiii, .Lfunc_end95-_ZN5aiter36smooth_per_token_scaled_quant_kernelItDB8_Li512ELi16ELb0ELb1ELb0ELi1024EEEvPT0_PfPT_S4_PiS7_iiPKiiiiiiiii
                                        ; -- End function
	.section	.AMDGPU.csdata,"",@progbits
; Kernel info:
; codeLenInByte = 1816
; NumSgprs: 50
; NumVgprs: 82
; NumAgprs: 0
; TotalNumVgprs: 82
; ScratchSize: 0
; MemoryBound: 0
; FloatMode: 240
; IeeeMode: 1
; LDSByteSize: 32 bytes/workgroup (compile time only)
; SGPRBlocks: 6
; VGPRBlocks: 10
; NumSGPRsForWavesPerEU: 50
; NumVGPRsForWavesPerEU: 82
; AccumOffset: 84
; Occupancy: 5
; WaveLimiterHint : 0
; COMPUTE_PGM_RSRC2:SCRATCH_EN: 0
; COMPUTE_PGM_RSRC2:USER_SGPR: 6
; COMPUTE_PGM_RSRC2:TRAP_HANDLER: 0
; COMPUTE_PGM_RSRC2:TGID_X_EN: 1
; COMPUTE_PGM_RSRC2:TGID_Y_EN: 0
; COMPUTE_PGM_RSRC2:TGID_Z_EN: 0
; COMPUTE_PGM_RSRC2:TIDIG_COMP_CNT: 0
; COMPUTE_PGM_RSRC3_GFX90A:ACCUM_OFFSET: 20
; COMPUTE_PGM_RSRC3_GFX90A:TG_SPLIT: 0
	.section	.text._ZN5aiter36smooth_per_token_scaled_quant_kernelIDF16_DB8_Li512ELi16ELb0ELb0ELb0ELi1024EEEvPT0_PfPT_S4_PiS7_iiPKiiiiiiiii,"axG",@progbits,_ZN5aiter36smooth_per_token_scaled_quant_kernelIDF16_DB8_Li512ELi16ELb0ELb0ELb0ELi1024EEEvPT0_PfPT_S4_PiS7_iiPKiiiiiiiii,comdat
	.protected	_ZN5aiter36smooth_per_token_scaled_quant_kernelIDF16_DB8_Li512ELi16ELb0ELb0ELb0ELi1024EEEvPT0_PfPT_S4_PiS7_iiPKiiiiiiiii ; -- Begin function _ZN5aiter36smooth_per_token_scaled_quant_kernelIDF16_DB8_Li512ELi16ELb0ELb0ELb0ELi1024EEEvPT0_PfPT_S4_PiS7_iiPKiiiiiiiii
	.globl	_ZN5aiter36smooth_per_token_scaled_quant_kernelIDF16_DB8_Li512ELi16ELb0ELb0ELb0ELi1024EEEvPT0_PfPT_S4_PiS7_iiPKiiiiiiiii
	.p2align	8
	.type	_ZN5aiter36smooth_per_token_scaled_quant_kernelIDF16_DB8_Li512ELi16ELb0ELb0ELb0ELi1024EEEvPT0_PfPT_S4_PiS7_iiPKiiiiiiiii,@function
_ZN5aiter36smooth_per_token_scaled_quant_kernelIDF16_DB8_Li512ELi16ELb0ELb0ELb0ELi1024EEEvPT0_PfPT_S4_PiS7_iiPKiiiiiiiii: ; @_ZN5aiter36smooth_per_token_scaled_quant_kernelIDF16_DB8_Li512ELi16ELb0ELb0ELb0ELi1024EEEvPT0_PfPT_S4_PiS7_iiPKiiiiiiiii
; %bb.0:
	s_load_dwordx2 s[2:3], s[4:5], 0x38
	s_load_dwordx8 s[8:15], s[4:5], 0x40
	s_mov_b64 s[0:1], 0
	s_waitcnt lgkmcnt(0)
	s_cmp_lg_u64 s[2:3], 0
	s_cbranch_scc0 .LBB96_19
; %bb.1:
	s_load_dword s2, s[2:3], 0x0
	s_waitcnt lgkmcnt(0)
	s_mul_i32 s2, s2, s8
	s_andn2_b64 vcc, exec, s[0:1]
	s_cbranch_vccnz .LBB96_3
.LBB96_2:
	s_mul_i32 s2, s10, s9
.LBB96_3:
	s_load_dwordx2 s[8:9], s[4:5], 0x30
	s_abs_i32 s1, s2
	s_waitcnt lgkmcnt(0)
	s_abs_i32 s0, s8
	v_cvt_f32_u32_e32 v1, s0
	s_sub_i32 s7, 0, s0
	s_xor_b32 s3, s2, s8
	s_ashr_i32 s3, s3, 31
	v_rcp_iflag_f32_e32 v1, v1
	v_mul_f32_e32 v1, 0x4f7ffffe, v1
	v_cvt_u32_f32_e32 v1, v1
	v_readfirstlane_b32 s15, v1
	s_mul_i32 s7, s7, s15
	s_mul_hi_u32 s7, s15, s7
	s_add_i32 s15, s15, s7
	s_mul_hi_u32 s7, s1, s15
	s_mul_i32 s15, s7, s0
	s_sub_i32 s1, s1, s15
	s_add_i32 s16, s7, 1
	s_sub_i32 s15, s1, s0
	s_cmp_ge_u32 s1, s0
	s_cselect_b32 s7, s16, s7
	s_cselect_b32 s1, s15, s1
	s_add_i32 s15, s7, 1
	s_cmp_ge_u32 s1, s0
	s_cselect_b32 s0, s15, s7
	s_xor_b32 s0, s0, s3
	s_sub_i32 s7, s0, s3
	s_mul_i32 s0, s7, s8
	s_sub_i32 s2, s2, s0
	s_cmp_lt_u32 s6, s2
	s_cselect_b64 s[0:1], -1, 0
	s_add_i32 s8, s7, 1
	s_cmp_ge_u32 s6, s2
	s_cbranch_scc0 .LBB96_5
; %bb.4:
	s_mul_i32 s3, s2, s8
	s_sub_i32 s2, s6, s2
	s_mul_i32 s2, s2, s7
	s_add_i32 s15, s2, s3
	s_cbranch_execz .LBB96_6
	s_branch .LBB96_7
.LBB96_5:
                                        ; implicit-def: $sgpr15
.LBB96_6:
	s_mul_i32 s15, s8, s6
.LBB96_7:
	v_cndmask_b32_e64 v1, 0, 1, s[0:1]
	v_readfirstlane_b32 s0, v1
	s_add_i32 s33, s7, s0
	s_cmp_lt_i32 s33, 1
	s_cbranch_scc1 .LBB96_18
; %bb.8:
	v_and_b32_e32 v1, 63, v0
	v_cmp_eq_u32_e32 vcc, 63, v1
	v_lshrrev_b32_e32 v1, 4, v0
	v_and_b32_e32 v74, 60, v1
	v_and_b32_e32 v1, 7, v0
	s_abs_i32 s35, s10
	v_lshlrev_b32_e32 v75, 2, v1
	v_cvt_f32_u32_e32 v1, s35
	s_add_i32 s2, s9, 15
	s_ashr_i32 s3, s2, 31
	s_load_dwordx8 s[16:23], s[4:5], 0x0
	v_rcp_iflag_f32_e32 v1, v1
	s_lshr_b32 s3, s3, 28
	s_add_i32 s4, s9, 3
	s_add_i32 s2, s2, s3
	v_mul_f32_e32 v1, 0x4f7ffffe, v1
	v_cvt_u32_f32_e32 v1, v1
	s_ashr_i32 s5, s4, 31
	s_ashr_i32 s2, s2, 4
	s_lshr_b32 s5, s5, 30
	v_lshlrev_b32_e32 v72, 5, v0
	v_lshlrev_b32_e32 v73, 6, v0
	v_cmp_eq_u32_e64 s[0:1], 0, v0
	v_cmp_gt_u32_e64 s[2:3], s2, v0
	s_add_i32 s4, s4, s5
	v_lshlrev_b32_e32 v76, 4, v0
	v_readfirstlane_b32 s5, v1
                                        ; implicit-def: $vgpr0_vgpr1_vgpr2_vgpr3_vgpr4_vgpr5_vgpr6_vgpr7_vgpr8_vgpr9_vgpr10_vgpr11_vgpr12_vgpr13_vgpr14_vgpr15
                                        ; implicit-def: $vgpr4_vgpr5_vgpr6_vgpr7_vgpr8_vgpr9_vgpr10_vgpr11_vgpr12_vgpr13_vgpr14_vgpr15_vgpr16_vgpr17_vgpr18_vgpr19
	s_and_b32 s30, s4, -4
	s_sub_i32 s4, 0, s35
                                        ; implicit-def: $vgpr10_vgpr11_vgpr12_vgpr13_vgpr14_vgpr15_vgpr16_vgpr17_vgpr18_vgpr19_vgpr20_vgpr21_vgpr22_vgpr23_vgpr24_vgpr25
	s_mul_i32 s4, s4, s5
                                        ; implicit-def: $vgpr18_vgpr19_vgpr20_vgpr21_vgpr22_vgpr23_vgpr24_vgpr25_vgpr26_vgpr27_vgpr28_vgpr29_vgpr30_vgpr31_vgpr32_vgpr33
	s_mov_b32 s7, 0x20000
	s_waitcnt lgkmcnt(0)
	s_and_b32 s23, s23, 0xffff
	s_mul_hi_u32 s4, s5, s4
                                        ; implicit-def: $vgpr28_vgpr29_vgpr30_vgpr31_vgpr32_vgpr33_vgpr34_vgpr35_vgpr36_vgpr37_vgpr38_vgpr39_vgpr40_vgpr41_vgpr42_vgpr43
	s_mov_b32 s34, s9
	s_lshl_b32 s6, s9, 1
	s_lshl_b32 s26, s9, 2
	s_mov_b32 s27, s7
	s_ashr_i32 s36, s10, 31
	s_add_i32 s37, s5, s4
	s_mov_b32 s40, -1
	s_mov_b32 s24, s22
	s_mov_b32 s25, s23
	;; [unrolled: 1-line block ×3, first 2 shown]
	v_mov_b32_e32 v77, 0
	v_mov_b32_e32 v78, 0xc3e00000
	;; [unrolled: 1-line block ×3, first 2 shown]
	s_mov_b32 s23, 0x5040100
	s_mov_b32 s38, 0x1060504
	;; [unrolled: 1-line block ×3, first 2 shown]
                                        ; implicit-def: $vgpr40_vgpr41_vgpr42_vgpr43_vgpr44_vgpr45_vgpr46_vgpr47_vgpr48_vgpr49_vgpr50_vgpr51_vgpr52_vgpr53_vgpr54_vgpr55
                                        ; implicit-def: $vgpr70
                                        ; implicit-def: $vgpr54_vgpr55_vgpr56_vgpr57_vgpr58_vgpr59_vgpr60_vgpr61_vgpr62_vgpr63_vgpr64_vgpr65_vgpr66_vgpr67_vgpr68_vgpr69
	s_branch .LBB96_10
.LBB96_9:                               ;   in Loop: Header=BB96_10 Depth=1
	s_or_b64 exec, exec, s[4:5]
	s_add_i32 s33, s33, -1
	s_add_i32 s15, s15, 1
	s_cmp_eq_u32 s33, 0
	s_cbranch_scc1 .LBB96_18
.LBB96_10:                              ; =>This Inner Loop Header: Depth=1
	s_abs_i32 s5, s15
	s_mul_hi_u32 s8, s5, s37
	s_mul_i32 s9, s8, s35
	s_ashr_i32 s4, s15, 31
	s_sub_i32 s5, s5, s9
	s_xor_b32 s4, s4, s36
	s_add_i32 s9, s8, 1
	s_sub_i32 s28, s5, s35
	s_cmp_ge_u32 s5, s35
	s_cselect_b32 s8, s9, s8
	s_cselect_b32 s5, s28, s5
	s_add_i32 s9, s8, 1
	s_cmp_ge_u32 s5, s35
	s_cselect_b32 s5, s9, s8
	s_xor_b32 s5, s5, s4
	s_sub_i32 s28, s5, s4
	s_mul_i32 s4, s28, s10
	s_sub_i32 s29, s15, s4
	s_mul_i32 s8, s29, s12
	s_mul_i32 s4, s28, s11
	s_add_i32 s8, s8, s4
	s_cmp_eq_u32 s8, s40
	s_cbranch_scc1 .LBB96_12
; %bb.11:                               ;   in Loop: Header=BB96_10 Depth=1
	s_mul_hi_i32 s5, s8, s34
	s_mul_i32 s4, s8, s34
	s_lshl_b64 s[4:5], s[4:5], 1
	s_add_u32 s4, s20, s4
	s_addc_u32 s5, s21, s5
	s_and_b32 s5, s5, 0xffff
	buffer_load_dwordx4 v[2:5], v72, s[4:7], 0 offen
	buffer_load_dwordx4 v[10:13], v72, s[4:7], 16 offen
	s_mov_b32 s40, s8
	s_waitcnt vmcnt(1)
	v_cvt_f32_f16_e32 v70, v2
	v_cvt_f32_f16_sdwa v71, v2 dst_sel:DWORD dst_unused:UNUSED_PAD src0_sel:WORD_1
	v_cvt_f32_f16_e32 v2, v3
	v_cvt_f32_f16_sdwa v3, v3 dst_sel:DWORD dst_unused:UNUSED_PAD src0_sel:WORD_1
	;; [unrolled: 2-line block ×4, first 2 shown]
	s_waitcnt vmcnt(0)
	v_cvt_f32_f16_e32 v26, v10
	v_cvt_f32_f16_sdwa v27, v10 dst_sel:DWORD dst_unused:UNUSED_PAD src0_sel:WORD_1
	v_cvt_f32_f16_e32 v38, v11
	v_cvt_f32_f16_sdwa v39, v11 dst_sel:DWORD dst_unused:UNUSED_PAD src0_sel:WORD_1
	;; [unrolled: 2-line block ×4, first 2 shown]
.LBB96_12:                              ;   in Loop: Header=BB96_10 Depth=1
	buffer_load_dwordx4 v[4:7], v73, s[24:27], 0 offen
	buffer_load_dwordx4 v[10:13], v73, s[24:27], 16 offen
	s_waitcnt vmcnt(1)
	v_pk_mul_f32 v[20:21], v[70:71], v[4:5]
	v_pk_mul_f32 v[18:19], v[2:3], v[6:7]
	buffer_load_dwordx4 v[4:7], v73, s[24:27], 32 offen
	buffer_load_dwordx4 v[22:25], v73, s[24:27], 48 offen
	s_waitcnt vmcnt(2)
	v_pk_mul_f32 v[14:15], v[8:9], v[10:11]
	v_pk_mul_f32 v[12:13], v[16:17], v[12:13]
	s_waitcnt vmcnt(1)
	v_pk_mul_f32 v[10:11], v[26:27], v[4:5]
	s_waitcnt vmcnt(0)
	v_pk_mul_f32 v[4:5], v[52:53], v[22:23]
	v_max3_f32 v22, |v20|, s22, |v21|
	v_max3_f32 v22, v22, |v18|, |v19|
	v_max3_f32 v22, v22, |v14|, |v15|
	;; [unrolled: 1-line block ×3, first 2 shown]
	v_pk_mul_f32 v[6:7], v[38:39], v[6:7]
	v_max3_f32 v22, v22, |v10|, |v11|
	v_max3_f32 v22, v22, |v6|, |v7|
	v_pk_mul_f32 v[0:1], v[68:69], v[24:25]
	v_max3_f32 v22, v22, |v4|, |v5|
	v_max3_f32 v22, v22, |v0|, |v1|
	s_nop 1
	v_mov_b32_dpp v23, v22 quad_perm:[1,0,3,2] row_mask:0xf bank_mask:0xf
	v_cmp_gt_f32_e64 s[4:5], v22, v23
	v_cndmask_b32_e64 v22, v23, v22, s[4:5]
	s_nop 1
	v_mov_b32_dpp v23, v22 quad_perm:[2,3,0,1] row_mask:0xf bank_mask:0xf
	v_cmp_gt_f32_e64 s[4:5], v22, v23
	v_cndmask_b32_e64 v22, v23, v22, s[4:5]
	s_nop 1
	v_mov_b32_dpp v23, v22 row_half_mirror row_mask:0xf bank_mask:0xf
	v_cmp_gt_f32_e64 s[4:5], v22, v23
	v_cndmask_b32_e64 v22, v23, v22, s[4:5]
	s_nop 1
	v_mov_b32_dpp v23, v22 row_mirror row_mask:0xf bank_mask:0xf
	v_cmp_gt_f32_e64 s[4:5], v22, v23
	v_cndmask_b32_e64 v22, v23, v22, s[4:5]
	s_nop 1
	v_mov_b32_dpp v23, v22 row_bcast:15 row_mask:0xf bank_mask:0xf
	v_cmp_gt_f32_e64 s[4:5], v22, v23
	v_cndmask_b32_e64 v22, v23, v22, s[4:5]
	s_nop 1
	v_mov_b32_dpp v23, v22 row_bcast:31 row_mask:0xf bank_mask:0xf
	s_and_saveexec_b64 s[8:9], vcc
	s_cbranch_execz .LBB96_14
; %bb.13:                               ;   in Loop: Header=BB96_10 Depth=1
	v_cmp_gt_f32_e64 s[4:5], v22, v23
	v_cndmask_b32_e64 v22, v23, v22, s[4:5]
	ds_write_b32 v74, v22
.LBB96_14:                              ;   in Loop: Header=BB96_10 Depth=1
	s_or_b64 exec, exec, s[8:9]
	s_waitcnt lgkmcnt(0)
	s_barrier
	ds_read_b32 v22, v75
	s_mul_i32 s28, s28, s13
	s_waitcnt lgkmcnt(0)
	v_mov_b32_dpp v23, v22 quad_perm:[1,0,3,2] row_mask:0xf bank_mask:0xf
	v_cmp_gt_f32_e64 s[4:5], v22, v23
	v_cndmask_b32_e64 v22, v23, v22, s[4:5]
	s_nop 1
	v_mov_b32_dpp v23, v22 quad_perm:[2,3,0,1] row_mask:0xf bank_mask:0xf
	v_cmp_gt_f32_e64 s[4:5], v22, v23
	v_cndmask_b32_e64 v22, v23, v22, s[4:5]
	s_nop 1
	v_mov_b32_dpp v23, v22 row_half_mirror row_mask:0xf bank_mask:0xf
	v_cmp_gt_f32_e64 s[4:5], v22, v23
	v_cndmask_b32_e64 v22, v23, v22, s[4:5]
	s_mul_i32 s4, s29, s14
	v_mul_f32_e32 v22, 0x3b124925, v22
	s_add_i32 s8, s4, s28
	s_and_saveexec_b64 s[4:5], s[0:1]
	s_cbranch_execz .LBB96_16
; %bb.15:                               ;   in Loop: Header=BB96_10 Depth=1
	s_ashr_i32 s9, s8, 31
	s_lshl_b64 s[28:29], s[8:9], 2
	s_add_u32 s28, s18, s28
	s_addc_u32 s29, s19, s29
	global_store_dword v77, v22, s[28:29]
.LBB96_16:                              ;   in Loop: Header=BB96_10 Depth=1
	s_or_b64 exec, exec, s[4:5]
	s_and_saveexec_b64 s[4:5], s[2:3]
	s_cbranch_execz .LBB96_9
; %bb.17:                               ;   in Loop: Header=BB96_10 Depth=1
	v_rcp_f32_e32 v22, v22
	s_mul_hi_i32 s9, s8, s34
	s_mul_i32 s8, s8, s34
	s_add_u32 s28, s16, s8
	v_mov_b32_e32 v23, v22
	;;#ASMSTART
	v_pk_mul_f32 v[20:21], v[20:21], v[22:23]
	;;#ASMEND
	;;#ASMSTART
	v_med3_f32 v20, v20, v78, v79
v_med3_f32 v21, v21, v78, v79
v_cvt_pk_fp8_f32 v24, v20, v21
	;;#ASMEND
	;;#ASMSTART
	v_pk_mul_f32 v[18:19], v[18:19], v[22:23]
	;;#ASMEND
	;;#ASMSTART
	v_med3_f32 v18, v18, v78, v79
v_med3_f32 v19, v19, v78, v79
v_cvt_pk_fp8_f32 v20, v18, v19
	;;#ASMEND
	;; [unrolled: 8-line block ×6, first 2 shown]
	;;#ASMSTART
	v_pk_mul_f32 v[4:5], v[4:5], v[22:23]
	;;#ASMEND
	s_addc_u32 s8, s17, s9
	v_perm_b32 v18, v20, v24, s23
	;;#ASMSTART
	v_med3_f32 v4, v4, v78, v79
v_med3_f32 v5, v5, v78, v79
v_cvt_pk_fp8_f32 v6, v4, v5
	;;#ASMEND
	;;#ASMSTART
	v_pk_mul_f32 v[0:1], v[0:1], v[22:23]
	;;#ASMEND
	s_and_b32 s29, s8, 0xffff
	s_mov_b32 s31, s7
	v_perm_b32 v18, v18, v20, s38
	v_perm_b32 v19, v19, v14, s39
	;; [unrolled: 1-line block ×3, first 2 shown]
	;;#ASMSTART
	v_med3_f32 v0, v0, v78, v79
v_med3_f32 v1, v1, v78, v79
v_cvt_pk_fp8_f32 v4, v0, v1
	;;#ASMEND
	v_perm_b32 v21, v6, v4, s39
	buffer_store_dwordx4 v[18:21], v76, s[28:31], 0 offen
	;;#ASMSTART
	s_nop 0
	;;#ASMEND
	s_branch .LBB96_9
.LBB96_18:
	s_endpgm
.LBB96_19:
                                        ; implicit-def: $sgpr2
	s_branch .LBB96_2
	.section	.rodata,"a",@progbits
	.p2align	6, 0x0
	.amdhsa_kernel _ZN5aiter36smooth_per_token_scaled_quant_kernelIDF16_DB8_Li512ELi16ELb0ELb0ELb0ELi1024EEEvPT0_PfPT_S4_PiS7_iiPKiiiiiiiii
		.amdhsa_group_segment_fixed_size 32
		.amdhsa_private_segment_fixed_size 0
		.amdhsa_kernarg_size 96
		.amdhsa_user_sgpr_count 6
		.amdhsa_user_sgpr_private_segment_buffer 1
		.amdhsa_user_sgpr_dispatch_ptr 0
		.amdhsa_user_sgpr_queue_ptr 0
		.amdhsa_user_sgpr_kernarg_segment_ptr 1
		.amdhsa_user_sgpr_dispatch_id 0
		.amdhsa_user_sgpr_flat_scratch_init 0
		.amdhsa_user_sgpr_kernarg_preload_length 0
		.amdhsa_user_sgpr_kernarg_preload_offset 0
		.amdhsa_user_sgpr_private_segment_size 0
		.amdhsa_uses_dynamic_stack 0
		.amdhsa_system_sgpr_private_segment_wavefront_offset 0
		.amdhsa_system_sgpr_workgroup_id_x 1
		.amdhsa_system_sgpr_workgroup_id_y 0
		.amdhsa_system_sgpr_workgroup_id_z 0
		.amdhsa_system_sgpr_workgroup_info 0
		.amdhsa_system_vgpr_workitem_id 0
		.amdhsa_next_free_vgpr 80
		.amdhsa_next_free_sgpr 41
		.amdhsa_accum_offset 80
		.amdhsa_reserve_vcc 1
		.amdhsa_reserve_flat_scratch 0
		.amdhsa_float_round_mode_32 0
		.amdhsa_float_round_mode_16_64 0
		.amdhsa_float_denorm_mode_32 3
		.amdhsa_float_denorm_mode_16_64 3
		.amdhsa_dx10_clamp 1
		.amdhsa_ieee_mode 1
		.amdhsa_fp16_overflow 0
		.amdhsa_tg_split 0
		.amdhsa_exception_fp_ieee_invalid_op 0
		.amdhsa_exception_fp_denorm_src 0
		.amdhsa_exception_fp_ieee_div_zero 0
		.amdhsa_exception_fp_ieee_overflow 0
		.amdhsa_exception_fp_ieee_underflow 0
		.amdhsa_exception_fp_ieee_inexact 0
		.amdhsa_exception_int_div_zero 0
	.end_amdhsa_kernel
	.section	.text._ZN5aiter36smooth_per_token_scaled_quant_kernelIDF16_DB8_Li512ELi16ELb0ELb0ELb0ELi1024EEEvPT0_PfPT_S4_PiS7_iiPKiiiiiiiii,"axG",@progbits,_ZN5aiter36smooth_per_token_scaled_quant_kernelIDF16_DB8_Li512ELi16ELb0ELb0ELb0ELi1024EEEvPT0_PfPT_S4_PiS7_iiPKiiiiiiiii,comdat
.Lfunc_end96:
	.size	_ZN5aiter36smooth_per_token_scaled_quant_kernelIDF16_DB8_Li512ELi16ELb0ELb0ELb0ELi1024EEEvPT0_PfPT_S4_PiS7_iiPKiiiiiiiii, .Lfunc_end96-_ZN5aiter36smooth_per_token_scaled_quant_kernelIDF16_DB8_Li512ELi16ELb0ELb0ELb0ELi1024EEEvPT0_PfPT_S4_PiS7_iiPKiiiiiiiii
                                        ; -- End function
	.section	.AMDGPU.csdata,"",@progbits
; Kernel info:
; codeLenInByte = 1664
; NumSgprs: 45
; NumVgprs: 80
; NumAgprs: 0
; TotalNumVgprs: 80
; ScratchSize: 0
; MemoryBound: 0
; FloatMode: 240
; IeeeMode: 1
; LDSByteSize: 32 bytes/workgroup (compile time only)
; SGPRBlocks: 5
; VGPRBlocks: 9
; NumSGPRsForWavesPerEU: 45
; NumVGPRsForWavesPerEU: 80
; AccumOffset: 80
; Occupancy: 6
; WaveLimiterHint : 0
; COMPUTE_PGM_RSRC2:SCRATCH_EN: 0
; COMPUTE_PGM_RSRC2:USER_SGPR: 6
; COMPUTE_PGM_RSRC2:TRAP_HANDLER: 0
; COMPUTE_PGM_RSRC2:TGID_X_EN: 1
; COMPUTE_PGM_RSRC2:TGID_Y_EN: 0
; COMPUTE_PGM_RSRC2:TGID_Z_EN: 0
; COMPUTE_PGM_RSRC2:TIDIG_COMP_CNT: 0
; COMPUTE_PGM_RSRC3_GFX90A:ACCUM_OFFSET: 19
; COMPUTE_PGM_RSRC3_GFX90A:TG_SPLIT: 0
	.section	.text._ZN5aiter36smooth_per_token_scaled_quant_kernelItDB8_Li512ELi16ELb0ELb0ELb0ELi1024EEEvPT0_PfPT_S4_PiS7_iiPKiiiiiiiii,"axG",@progbits,_ZN5aiter36smooth_per_token_scaled_quant_kernelItDB8_Li512ELi16ELb0ELb0ELb0ELi1024EEEvPT0_PfPT_S4_PiS7_iiPKiiiiiiiii,comdat
	.protected	_ZN5aiter36smooth_per_token_scaled_quant_kernelItDB8_Li512ELi16ELb0ELb0ELb0ELi1024EEEvPT0_PfPT_S4_PiS7_iiPKiiiiiiiii ; -- Begin function _ZN5aiter36smooth_per_token_scaled_quant_kernelItDB8_Li512ELi16ELb0ELb0ELb0ELi1024EEEvPT0_PfPT_S4_PiS7_iiPKiiiiiiiii
	.globl	_ZN5aiter36smooth_per_token_scaled_quant_kernelItDB8_Li512ELi16ELb0ELb0ELb0ELi1024EEEvPT0_PfPT_S4_PiS7_iiPKiiiiiiiii
	.p2align	8
	.type	_ZN5aiter36smooth_per_token_scaled_quant_kernelItDB8_Li512ELi16ELb0ELb0ELb0ELi1024EEEvPT0_PfPT_S4_PiS7_iiPKiiiiiiiii,@function
_ZN5aiter36smooth_per_token_scaled_quant_kernelItDB8_Li512ELi16ELb0ELb0ELb0ELi1024EEEvPT0_PfPT_S4_PiS7_iiPKiiiiiiiii: ; @_ZN5aiter36smooth_per_token_scaled_quant_kernelItDB8_Li512ELi16ELb0ELb0ELb0ELi1024EEEvPT0_PfPT_S4_PiS7_iiPKiiiiiiiii
; %bb.0:
	s_load_dwordx2 s[2:3], s[4:5], 0x38
	s_load_dwordx8 s[8:15], s[4:5], 0x40
	s_mov_b64 s[0:1], 0
	s_waitcnt lgkmcnt(0)
	s_cmp_lg_u64 s[2:3], 0
	s_cbranch_scc0 .LBB97_19
; %bb.1:
	s_load_dword s2, s[2:3], 0x0
	s_waitcnt lgkmcnt(0)
	s_mul_i32 s2, s2, s8
	s_andn2_b64 vcc, exec, s[0:1]
	s_cbranch_vccnz .LBB97_3
.LBB97_2:
	s_mul_i32 s2, s10, s9
.LBB97_3:
	s_load_dwordx2 s[8:9], s[4:5], 0x30
	s_abs_i32 s1, s2
	s_waitcnt lgkmcnt(0)
	s_abs_i32 s0, s8
	v_cvt_f32_u32_e32 v1, s0
	s_sub_i32 s7, 0, s0
	s_xor_b32 s3, s2, s8
	s_ashr_i32 s3, s3, 31
	v_rcp_iflag_f32_e32 v1, v1
	v_mul_f32_e32 v1, 0x4f7ffffe, v1
	v_cvt_u32_f32_e32 v1, v1
	v_readfirstlane_b32 s15, v1
	s_mul_i32 s7, s7, s15
	s_mul_hi_u32 s7, s15, s7
	s_add_i32 s15, s15, s7
	s_mul_hi_u32 s7, s1, s15
	s_mul_i32 s15, s7, s0
	s_sub_i32 s1, s1, s15
	s_add_i32 s16, s7, 1
	s_sub_i32 s15, s1, s0
	s_cmp_ge_u32 s1, s0
	s_cselect_b32 s7, s16, s7
	s_cselect_b32 s1, s15, s1
	s_add_i32 s15, s7, 1
	s_cmp_ge_u32 s1, s0
	s_cselect_b32 s0, s15, s7
	s_xor_b32 s0, s0, s3
	s_sub_i32 s7, s0, s3
	s_mul_i32 s0, s7, s8
	s_sub_i32 s2, s2, s0
	s_cmp_lt_u32 s6, s2
	s_cselect_b64 s[0:1], -1, 0
	s_add_i32 s8, s7, 1
	s_cmp_ge_u32 s6, s2
	s_cbranch_scc0 .LBB97_5
; %bb.4:
	s_mul_i32 s3, s2, s8
	s_sub_i32 s2, s6, s2
	s_mul_i32 s2, s2, s7
	s_add_i32 s15, s2, s3
	s_cbranch_execz .LBB97_6
	s_branch .LBB97_7
.LBB97_5:
                                        ; implicit-def: $sgpr15
.LBB97_6:
	s_mul_i32 s15, s8, s6
.LBB97_7:
	v_cndmask_b32_e64 v1, 0, 1, s[0:1]
	v_readfirstlane_b32 s0, v1
	s_add_i32 s33, s7, s0
	s_cmp_lt_i32 s33, 1
	s_cbranch_scc1 .LBB97_18
; %bb.8:
	v_and_b32_e32 v1, 63, v0
	v_cmp_eq_u32_e32 vcc, 63, v1
	v_lshrrev_b32_e32 v1, 4, v0
	v_and_b32_e32 v74, 60, v1
	v_and_b32_e32 v1, 7, v0
	s_abs_i32 s35, s10
	v_lshlrev_b32_e32 v75, 2, v1
	v_cvt_f32_u32_e32 v1, s35
	s_add_i32 s2, s9, 15
	s_ashr_i32 s3, s2, 31
	s_load_dwordx8 s[16:23], s[4:5], 0x0
	v_rcp_iflag_f32_e32 v1, v1
	s_lshr_b32 s3, s3, 28
	s_add_i32 s4, s9, 3
	s_add_i32 s2, s2, s3
	v_mul_f32_e32 v1, 0x4f7ffffe, v1
	v_cvt_u32_f32_e32 v1, v1
	s_ashr_i32 s5, s4, 31
	s_ashr_i32 s2, s2, 4
	s_lshr_b32 s5, s5, 30
	v_lshlrev_b32_e32 v72, 5, v0
	v_lshlrev_b32_e32 v73, 6, v0
	v_cmp_eq_u32_e64 s[0:1], 0, v0
	v_cmp_gt_u32_e64 s[2:3], s2, v0
	s_add_i32 s4, s4, s5
	v_lshlrev_b32_e32 v76, 4, v0
	v_readfirstlane_b32 s5, v1
                                        ; implicit-def: $vgpr0_vgpr1_vgpr2_vgpr3_vgpr4_vgpr5_vgpr6_vgpr7_vgpr8_vgpr9_vgpr10_vgpr11_vgpr12_vgpr13_vgpr14_vgpr15
                                        ; implicit-def: $vgpr4_vgpr5_vgpr6_vgpr7_vgpr8_vgpr9_vgpr10_vgpr11_vgpr12_vgpr13_vgpr14_vgpr15_vgpr16_vgpr17_vgpr18_vgpr19
	s_and_b32 s30, s4, -4
	s_sub_i32 s4, 0, s35
                                        ; implicit-def: $vgpr10_vgpr11_vgpr12_vgpr13_vgpr14_vgpr15_vgpr16_vgpr17_vgpr18_vgpr19_vgpr20_vgpr21_vgpr22_vgpr23_vgpr24_vgpr25
	s_mul_i32 s4, s4, s5
                                        ; implicit-def: $vgpr18_vgpr19_vgpr20_vgpr21_vgpr22_vgpr23_vgpr24_vgpr25_vgpr26_vgpr27_vgpr28_vgpr29_vgpr30_vgpr31_vgpr32_vgpr33
	s_mov_b32 s7, 0x20000
	s_waitcnt lgkmcnt(0)
	s_and_b32 s23, s23, 0xffff
	s_mul_hi_u32 s4, s5, s4
                                        ; implicit-def: $vgpr28_vgpr29_vgpr30_vgpr31_vgpr32_vgpr33_vgpr34_vgpr35_vgpr36_vgpr37_vgpr38_vgpr39_vgpr40_vgpr41_vgpr42_vgpr43
	s_mov_b32 s34, s9
	s_lshl_b32 s6, s9, 1
	s_lshl_b32 s26, s9, 2
	s_mov_b32 s27, s7
	s_ashr_i32 s36, s10, 31
	s_add_i32 s37, s5, s4
	s_mov_b32 s40, -1
	s_mov_b32 s24, s22
	s_mov_b32 s25, s23
	;; [unrolled: 1-line block ×3, first 2 shown]
	v_mov_b32_e32 v77, 0
	v_mov_b32_e32 v78, 0xc3e00000
	;; [unrolled: 1-line block ×3, first 2 shown]
	s_mov_b32 s23, 0x5040100
	s_mov_b32 s38, 0x1060504
	;; [unrolled: 1-line block ×3, first 2 shown]
                                        ; implicit-def: $vgpr40_vgpr41_vgpr42_vgpr43_vgpr44_vgpr45_vgpr46_vgpr47_vgpr48_vgpr49_vgpr50_vgpr51_vgpr52_vgpr53_vgpr54_vgpr55
                                        ; implicit-def: $vgpr70
                                        ; implicit-def: $vgpr54_vgpr55_vgpr56_vgpr57_vgpr58_vgpr59_vgpr60_vgpr61_vgpr62_vgpr63_vgpr64_vgpr65_vgpr66_vgpr67_vgpr68_vgpr69
	s_branch .LBB97_10
.LBB97_9:                               ;   in Loop: Header=BB97_10 Depth=1
	s_or_b64 exec, exec, s[4:5]
	s_add_i32 s33, s33, -1
	s_add_i32 s15, s15, 1
	s_cmp_eq_u32 s33, 0
	s_cbranch_scc1 .LBB97_18
.LBB97_10:                              ; =>This Inner Loop Header: Depth=1
	s_abs_i32 s5, s15
	s_mul_hi_u32 s8, s5, s37
	s_mul_i32 s9, s8, s35
	s_ashr_i32 s4, s15, 31
	s_sub_i32 s5, s5, s9
	s_xor_b32 s4, s4, s36
	s_add_i32 s9, s8, 1
	s_sub_i32 s28, s5, s35
	s_cmp_ge_u32 s5, s35
	s_cselect_b32 s8, s9, s8
	s_cselect_b32 s5, s28, s5
	s_add_i32 s9, s8, 1
	s_cmp_ge_u32 s5, s35
	s_cselect_b32 s5, s9, s8
	s_xor_b32 s5, s5, s4
	s_sub_i32 s28, s5, s4
	s_mul_i32 s4, s28, s10
	s_sub_i32 s29, s15, s4
	s_mul_i32 s8, s29, s12
	s_mul_i32 s4, s28, s11
	s_add_i32 s8, s8, s4
	s_cmp_eq_u32 s8, s40
	s_cbranch_scc1 .LBB97_12
; %bb.11:                               ;   in Loop: Header=BB97_10 Depth=1
	s_mul_hi_i32 s5, s8, s34
	s_mul_i32 s4, s8, s34
	s_lshl_b64 s[4:5], s[4:5], 1
	s_add_u32 s4, s20, s4
	s_addc_u32 s5, s21, s5
	s_and_b32 s5, s5, 0xffff
	buffer_load_dwordx4 v[4:7], v72, s[4:7], 0 offen
	buffer_load_dwordx4 v[10:13], v72, s[4:7], 16 offen
	s_mov_b32 s40, s8
	s_waitcnt vmcnt(1)
	v_cvt_f32_u32_sdwa v71, v4 dst_sel:DWORD dst_unused:UNUSED_PAD src0_sel:WORD_1
	v_cvt_f32_u32_sdwa v70, v4 dst_sel:DWORD dst_unused:UNUSED_PAD src0_sel:WORD_0
	v_cvt_f32_u32_sdwa v3, v5 dst_sel:DWORD dst_unused:UNUSED_PAD src0_sel:WORD_1
	v_cvt_f32_u32_sdwa v2, v5 dst_sel:DWORD dst_unused:UNUSED_PAD src0_sel:WORD_0
	;; [unrolled: 2-line block ×4, first 2 shown]
	s_waitcnt vmcnt(0)
	v_cvt_f32_u32_sdwa v27, v10 dst_sel:DWORD dst_unused:UNUSED_PAD src0_sel:WORD_1
	v_cvt_f32_u32_sdwa v26, v10 dst_sel:DWORD dst_unused:UNUSED_PAD src0_sel:WORD_0
	v_cvt_f32_u32_sdwa v39, v11 dst_sel:DWORD dst_unused:UNUSED_PAD src0_sel:WORD_1
	v_cvt_f32_u32_sdwa v38, v11 dst_sel:DWORD dst_unused:UNUSED_PAD src0_sel:WORD_0
	;; [unrolled: 2-line block ×4, first 2 shown]
.LBB97_12:                              ;   in Loop: Header=BB97_10 Depth=1
	buffer_load_dwordx4 v[4:7], v73, s[24:27], 0 offen
	buffer_load_dwordx4 v[10:13], v73, s[24:27], 16 offen
	s_waitcnt vmcnt(1)
	v_pk_mul_f32 v[20:21], v[70:71], v[4:5]
	v_pk_mul_f32 v[18:19], v[2:3], v[6:7]
	buffer_load_dwordx4 v[4:7], v73, s[24:27], 32 offen
	buffer_load_dwordx4 v[22:25], v73, s[24:27], 48 offen
	s_waitcnt vmcnt(2)
	v_pk_mul_f32 v[14:15], v[8:9], v[10:11]
	v_pk_mul_f32 v[12:13], v[16:17], v[12:13]
	s_waitcnt vmcnt(1)
	v_pk_mul_f32 v[10:11], v[26:27], v[4:5]
	s_waitcnt vmcnt(0)
	v_pk_mul_f32 v[4:5], v[52:53], v[22:23]
	v_max3_f32 v22, |v20|, s22, |v21|
	v_max3_f32 v22, v22, |v18|, |v19|
	v_max3_f32 v22, v22, |v14|, |v15|
	;; [unrolled: 1-line block ×3, first 2 shown]
	v_pk_mul_f32 v[6:7], v[38:39], v[6:7]
	v_max3_f32 v22, v22, |v10|, |v11|
	v_max3_f32 v22, v22, |v6|, |v7|
	v_pk_mul_f32 v[0:1], v[68:69], v[24:25]
	v_max3_f32 v22, v22, |v4|, |v5|
	v_max3_f32 v22, v22, |v0|, |v1|
	s_nop 1
	v_mov_b32_dpp v23, v22 quad_perm:[1,0,3,2] row_mask:0xf bank_mask:0xf
	v_cmp_gt_f32_e64 s[4:5], v22, v23
	v_cndmask_b32_e64 v22, v23, v22, s[4:5]
	s_nop 1
	v_mov_b32_dpp v23, v22 quad_perm:[2,3,0,1] row_mask:0xf bank_mask:0xf
	v_cmp_gt_f32_e64 s[4:5], v22, v23
	v_cndmask_b32_e64 v22, v23, v22, s[4:5]
	s_nop 1
	v_mov_b32_dpp v23, v22 row_half_mirror row_mask:0xf bank_mask:0xf
	v_cmp_gt_f32_e64 s[4:5], v22, v23
	v_cndmask_b32_e64 v22, v23, v22, s[4:5]
	s_nop 1
	v_mov_b32_dpp v23, v22 row_mirror row_mask:0xf bank_mask:0xf
	v_cmp_gt_f32_e64 s[4:5], v22, v23
	v_cndmask_b32_e64 v22, v23, v22, s[4:5]
	s_nop 1
	v_mov_b32_dpp v23, v22 row_bcast:15 row_mask:0xf bank_mask:0xf
	v_cmp_gt_f32_e64 s[4:5], v22, v23
	v_cndmask_b32_e64 v22, v23, v22, s[4:5]
	s_nop 1
	v_mov_b32_dpp v23, v22 row_bcast:31 row_mask:0xf bank_mask:0xf
	s_and_saveexec_b64 s[8:9], vcc
	s_cbranch_execz .LBB97_14
; %bb.13:                               ;   in Loop: Header=BB97_10 Depth=1
	v_cmp_gt_f32_e64 s[4:5], v22, v23
	v_cndmask_b32_e64 v22, v23, v22, s[4:5]
	ds_write_b32 v74, v22
.LBB97_14:                              ;   in Loop: Header=BB97_10 Depth=1
	s_or_b64 exec, exec, s[8:9]
	s_waitcnt lgkmcnt(0)
	s_barrier
	ds_read_b32 v22, v75
	s_mul_i32 s28, s28, s13
	s_waitcnt lgkmcnt(0)
	v_mov_b32_dpp v23, v22 quad_perm:[1,0,3,2] row_mask:0xf bank_mask:0xf
	v_cmp_gt_f32_e64 s[4:5], v22, v23
	v_cndmask_b32_e64 v22, v23, v22, s[4:5]
	s_nop 1
	v_mov_b32_dpp v23, v22 quad_perm:[2,3,0,1] row_mask:0xf bank_mask:0xf
	v_cmp_gt_f32_e64 s[4:5], v22, v23
	v_cndmask_b32_e64 v22, v23, v22, s[4:5]
	s_nop 1
	v_mov_b32_dpp v23, v22 row_half_mirror row_mask:0xf bank_mask:0xf
	v_cmp_gt_f32_e64 s[4:5], v22, v23
	v_cndmask_b32_e64 v22, v23, v22, s[4:5]
	s_mul_i32 s4, s29, s14
	v_mul_f32_e32 v22, 0x3b124925, v22
	s_add_i32 s8, s4, s28
	s_and_saveexec_b64 s[4:5], s[0:1]
	s_cbranch_execz .LBB97_16
; %bb.15:                               ;   in Loop: Header=BB97_10 Depth=1
	s_ashr_i32 s9, s8, 31
	s_lshl_b64 s[28:29], s[8:9], 2
	s_add_u32 s28, s18, s28
	s_addc_u32 s29, s19, s29
	global_store_dword v77, v22, s[28:29]
.LBB97_16:                              ;   in Loop: Header=BB97_10 Depth=1
	s_or_b64 exec, exec, s[4:5]
	s_and_saveexec_b64 s[4:5], s[2:3]
	s_cbranch_execz .LBB97_9
; %bb.17:                               ;   in Loop: Header=BB97_10 Depth=1
	v_rcp_f32_e32 v22, v22
	s_mul_hi_i32 s9, s8, s34
	s_mul_i32 s8, s8, s34
	s_add_u32 s28, s16, s8
	v_mov_b32_e32 v23, v22
	;;#ASMSTART
	v_pk_mul_f32 v[20:21], v[20:21], v[22:23]
	;;#ASMEND
	;;#ASMSTART
	v_med3_f32 v20, v20, v78, v79
v_med3_f32 v21, v21, v78, v79
v_cvt_pk_fp8_f32 v24, v20, v21
	;;#ASMEND
	;;#ASMSTART
	v_pk_mul_f32 v[18:19], v[18:19], v[22:23]
	;;#ASMEND
	;;#ASMSTART
	v_med3_f32 v18, v18, v78, v79
v_med3_f32 v19, v19, v78, v79
v_cvt_pk_fp8_f32 v20, v18, v19
	;;#ASMEND
	;; [unrolled: 8-line block ×6, first 2 shown]
	;;#ASMSTART
	v_pk_mul_f32 v[4:5], v[4:5], v[22:23]
	;;#ASMEND
	s_addc_u32 s8, s17, s9
	v_perm_b32 v18, v20, v24, s23
	;;#ASMSTART
	v_med3_f32 v4, v4, v78, v79
v_med3_f32 v5, v5, v78, v79
v_cvt_pk_fp8_f32 v6, v4, v5
	;;#ASMEND
	;;#ASMSTART
	v_pk_mul_f32 v[0:1], v[0:1], v[22:23]
	;;#ASMEND
	s_and_b32 s29, s8, 0xffff
	s_mov_b32 s31, s7
	v_perm_b32 v18, v18, v20, s38
	v_perm_b32 v19, v19, v14, s39
	;; [unrolled: 1-line block ×3, first 2 shown]
	;;#ASMSTART
	v_med3_f32 v0, v0, v78, v79
v_med3_f32 v1, v1, v78, v79
v_cvt_pk_fp8_f32 v4, v0, v1
	;;#ASMEND
	v_perm_b32 v21, v6, v4, s39
	buffer_store_dwordx4 v[18:21], v76, s[28:31], 0 offen
	;;#ASMSTART
	s_nop 0
	;;#ASMEND
	s_branch .LBB97_9
.LBB97_18:
	s_endpgm
.LBB97_19:
                                        ; implicit-def: $sgpr2
	s_branch .LBB97_2
	.section	.rodata,"a",@progbits
	.p2align	6, 0x0
	.amdhsa_kernel _ZN5aiter36smooth_per_token_scaled_quant_kernelItDB8_Li512ELi16ELb0ELb0ELb0ELi1024EEEvPT0_PfPT_S4_PiS7_iiPKiiiiiiiii
		.amdhsa_group_segment_fixed_size 32
		.amdhsa_private_segment_fixed_size 0
		.amdhsa_kernarg_size 96
		.amdhsa_user_sgpr_count 6
		.amdhsa_user_sgpr_private_segment_buffer 1
		.amdhsa_user_sgpr_dispatch_ptr 0
		.amdhsa_user_sgpr_queue_ptr 0
		.amdhsa_user_sgpr_kernarg_segment_ptr 1
		.amdhsa_user_sgpr_dispatch_id 0
		.amdhsa_user_sgpr_flat_scratch_init 0
		.amdhsa_user_sgpr_kernarg_preload_length 0
		.amdhsa_user_sgpr_kernarg_preload_offset 0
		.amdhsa_user_sgpr_private_segment_size 0
		.amdhsa_uses_dynamic_stack 0
		.amdhsa_system_sgpr_private_segment_wavefront_offset 0
		.amdhsa_system_sgpr_workgroup_id_x 1
		.amdhsa_system_sgpr_workgroup_id_y 0
		.amdhsa_system_sgpr_workgroup_id_z 0
		.amdhsa_system_sgpr_workgroup_info 0
		.amdhsa_system_vgpr_workitem_id 0
		.amdhsa_next_free_vgpr 80
		.amdhsa_next_free_sgpr 41
		.amdhsa_accum_offset 80
		.amdhsa_reserve_vcc 1
		.amdhsa_reserve_flat_scratch 0
		.amdhsa_float_round_mode_32 0
		.amdhsa_float_round_mode_16_64 0
		.amdhsa_float_denorm_mode_32 3
		.amdhsa_float_denorm_mode_16_64 3
		.amdhsa_dx10_clamp 1
		.amdhsa_ieee_mode 1
		.amdhsa_fp16_overflow 0
		.amdhsa_tg_split 0
		.amdhsa_exception_fp_ieee_invalid_op 0
		.amdhsa_exception_fp_denorm_src 0
		.amdhsa_exception_fp_ieee_div_zero 0
		.amdhsa_exception_fp_ieee_overflow 0
		.amdhsa_exception_fp_ieee_underflow 0
		.amdhsa_exception_fp_ieee_inexact 0
		.amdhsa_exception_int_div_zero 0
	.end_amdhsa_kernel
	.section	.text._ZN5aiter36smooth_per_token_scaled_quant_kernelItDB8_Li512ELi16ELb0ELb0ELb0ELi1024EEEvPT0_PfPT_S4_PiS7_iiPKiiiiiiiii,"axG",@progbits,_ZN5aiter36smooth_per_token_scaled_quant_kernelItDB8_Li512ELi16ELb0ELb0ELb0ELi1024EEEvPT0_PfPT_S4_PiS7_iiPKiiiiiiiii,comdat
.Lfunc_end97:
	.size	_ZN5aiter36smooth_per_token_scaled_quant_kernelItDB8_Li512ELi16ELb0ELb0ELb0ELi1024EEEvPT0_PfPT_S4_PiS7_iiPKiiiiiiiii, .Lfunc_end97-_ZN5aiter36smooth_per_token_scaled_quant_kernelItDB8_Li512ELi16ELb0ELb0ELb0ELi1024EEEvPT0_PfPT_S4_PiS7_iiPKiiiiiiiii
                                        ; -- End function
	.section	.AMDGPU.csdata,"",@progbits
; Kernel info:
; codeLenInByte = 1696
; NumSgprs: 45
; NumVgprs: 80
; NumAgprs: 0
; TotalNumVgprs: 80
; ScratchSize: 0
; MemoryBound: 0
; FloatMode: 240
; IeeeMode: 1
; LDSByteSize: 32 bytes/workgroup (compile time only)
; SGPRBlocks: 5
; VGPRBlocks: 9
; NumSGPRsForWavesPerEU: 45
; NumVGPRsForWavesPerEU: 80
; AccumOffset: 80
; Occupancy: 6
; WaveLimiterHint : 0
; COMPUTE_PGM_RSRC2:SCRATCH_EN: 0
; COMPUTE_PGM_RSRC2:USER_SGPR: 6
; COMPUTE_PGM_RSRC2:TRAP_HANDLER: 0
; COMPUTE_PGM_RSRC2:TGID_X_EN: 1
; COMPUTE_PGM_RSRC2:TGID_Y_EN: 0
; COMPUTE_PGM_RSRC2:TGID_Z_EN: 0
; COMPUTE_PGM_RSRC2:TIDIG_COMP_CNT: 0
; COMPUTE_PGM_RSRC3_GFX90A:ACCUM_OFFSET: 19
; COMPUTE_PGM_RSRC3_GFX90A:TG_SPLIT: 0
	.section	.text._ZN5aiter36smooth_per_token_scaled_quant_kernelIDF16_aLi256ELi8ELb1ELb1ELb1ELi1024EEEvPT0_PfPT_S3_PiS6_iiPKiiiiiiiii,"axG",@progbits,_ZN5aiter36smooth_per_token_scaled_quant_kernelIDF16_aLi256ELi8ELb1ELb1ELb1ELi1024EEEvPT0_PfPT_S3_PiS6_iiPKiiiiiiiii,comdat
	.protected	_ZN5aiter36smooth_per_token_scaled_quant_kernelIDF16_aLi256ELi8ELb1ELb1ELb1ELi1024EEEvPT0_PfPT_S3_PiS6_iiPKiiiiiiiii ; -- Begin function _ZN5aiter36smooth_per_token_scaled_quant_kernelIDF16_aLi256ELi8ELb1ELb1ELb1ELi1024EEEvPT0_PfPT_S3_PiS6_iiPKiiiiiiiii
	.globl	_ZN5aiter36smooth_per_token_scaled_quant_kernelIDF16_aLi256ELi8ELb1ELb1ELb1ELi1024EEEvPT0_PfPT_S3_PiS6_iiPKiiiiiiiii
	.p2align	8
	.type	_ZN5aiter36smooth_per_token_scaled_quant_kernelIDF16_aLi256ELi8ELb1ELb1ELb1ELi1024EEEvPT0_PfPT_S3_PiS6_iiPKiiiiiiiii,@function
_ZN5aiter36smooth_per_token_scaled_quant_kernelIDF16_aLi256ELi8ELb1ELb1ELb1ELi1024EEEvPT0_PfPT_S3_PiS6_iiPKiiiiiiiii: ; @_ZN5aiter36smooth_per_token_scaled_quant_kernelIDF16_aLi256ELi8ELb1ELb1ELb1ELi1024EEEvPT0_PfPT_S3_PiS6_iiPKiiiiiiiii
; %bb.0:
	s_load_dwordx2 s[16:17], s[4:5], 0x38
	s_load_dwordx2 s[0:1], s[4:5], 0x28
	s_load_dwordx8 s[8:15], s[4:5], 0x40
	s_mov_b64 s[2:3], 0
	s_waitcnt lgkmcnt(0)
	s_cmp_lg_u64 s[16:17], 0
	s_cbranch_scc0 .LBB98_11
; %bb.1:
	s_load_dword s7, s[16:17], 0x0
	s_waitcnt lgkmcnt(0)
	s_mul_i32 s7, s7, s8
	s_andn2_b64 vcc, exec, s[2:3]
	s_cbranch_vccnz .LBB98_3
.LBB98_2:
	s_mul_i32 s7, s10, s9
.LBB98_3:
	s_load_dwordx2 s[34:35], s[4:5], 0x30
	v_and_b32_e32 v1, 0x3c0, v0
	v_lshlrev_b32_e32 v1, 2, v1
	v_lshlrev_b32_e32 v2, 2, v0
	v_readfirstlane_b32 s8, v1
	v_add_u32_e32 v3, 0x400, v1
	s_lshl_b32 s2, s15, 2
	s_and_b32 s1, s1, 0xffff
	s_mov_b32 s3, 0x20000
	;;#ASMSTART
	s_mov_b32 m0 s8
	buffer_load_dword v2, s[0:3], 0 offen offset:0 lds
	
	;;#ASMEND
	v_readfirstlane_b32 s8, v3
	v_add_u32_e32 v3, 0x400, v2
	;;#ASMSTART
	s_mov_b32 m0 s8
	buffer_load_dword v3, s[0:3], 0 offen offset:0 lds
	
	;;#ASMEND
	v_add_u32_e32 v3, 0x800, v1
	s_waitcnt lgkmcnt(0)
	s_abs_i32 s15, s34
	v_readfirstlane_b32 s8, v3
	v_cvt_f32_u32_e32 v3, s15
	v_add_u32_e32 v1, 0xc00, v1
	v_add_u32_e32 v4, 0x800, v2
	v_readfirstlane_b32 s18, v1
	v_rcp_iflag_f32_e32 v3, v3
	v_add_u32_e32 v1, 0xc00, v2
	s_sub_i32 s17, 0, s15
	s_abs_i32 s16, s7
	v_mul_f32_e32 v2, 0x4f7ffffe, v3
	v_cvt_u32_f32_e32 v2, v2
	;;#ASMSTART
	s_mov_b32 m0 s8
	buffer_load_dword v4, s[0:3], 0 offen offset:0 lds
	
	;;#ASMEND
	s_xor_b32 s8, s7, s34
	s_ashr_i32 s8, s8, 31
	v_readfirstlane_b32 s19, v2
	s_mul_i32 s17, s17, s19
	s_mul_hi_u32 s17, s19, s17
	s_add_i32 s19, s19, s17
	s_mul_hi_u32 s17, s16, s19
	s_mul_i32 s19, s17, s15
	s_sub_i32 s16, s16, s19
	s_add_i32 s19, s17, 1
	s_sub_i32 s20, s16, s15
	s_cmp_ge_u32 s16, s15
	s_cselect_b32 s17, s19, s17
	s_cselect_b32 s16, s20, s16
	s_add_i32 s19, s17, 1
	s_cmp_ge_u32 s16, s15
	s_cselect_b32 s15, s19, s17
	s_xor_b32 s15, s15, s8
	s_sub_i32 s8, s15, s8
	s_mul_i32 s15, s8, s34
	s_sub_i32 s15, s7, s15
	s_cmp_lt_u32 s6, s15
	;;#ASMSTART
	s_mov_b32 m0 s18
	buffer_load_dword v1, s[0:3], 0 offen offset:0 lds
	
	;;#ASMEND
	s_cselect_b64 s[16:17], -1, 0
	s_add_i32 s7, s8, 1
	s_cmp_ge_u32 s6, s15
	s_cbranch_scc0 .LBB98_5
; %bb.4:
	s_sub_i32 s1, s6, s15
	s_mul_i32 s0, s15, s7
	s_mul_i32 s1, s1, s8
	s_add_i32 s40, s1, s0
	s_cbranch_execz .LBB98_6
	s_branch .LBB98_7
.LBB98_5:
                                        ; implicit-def: $sgpr40
.LBB98_6:
	s_mul_i32 s40, s7, s6
.LBB98_7:
	v_cndmask_b32_e64 v1, 0, 1, s[16:17]
	v_readfirstlane_b32 s0, v1
	s_add_i32 s8, s8, s0
	s_cmp_lt_i32 s8, 1
	s_cbranch_scc1 .LBB98_35
; %bb.8:
	s_load_dwordx2 s[0:1], s[4:5], 0x20
	s_ashr_i32 s41, s40, 31
	s_lshl_b64 s[2:3], s[40:41], 2
	v_and_b32_e32 v1, 63, v0
	s_mov_b32 s27, 0x20000
	s_waitcnt lgkmcnt(0)
	s_add_u32 s24, s0, s2
	s_addc_u32 s0, s1, s3
	s_lshl_b32 s26, s8, 2
	s_and_b32 s25, s0, 0xffff
	v_lshlrev_b32_e32 v22, 2, v1
	buffer_load_dword v2, v22, s[24:27], 0 offen
	s_abs_i32 s34, s10
	v_cmp_eq_u32_e64 s[0:1], 63, v1
	v_cvt_f32_u32_e32 v1, s34
	s_add_i32 s2, s35, 7
	s_load_dwordx8 s[16:23], s[4:5], 0x0
	s_ashr_i32 s4, s2, 31
	v_rcp_iflag_f32_e32 v1, v1
	s_waitcnt vmcnt(0) lgkmcnt(0)
	s_barrier
	v_mul_f32_e32 v1, 0x4f7ffffe, v1
	v_cvt_u32_f32_e32 v1, v1
	s_add_i32 s3, s35, 3
	s_lshr_b32 s4, s4, 29
	s_ashr_i32 s5, s3, 31
	s_add_i32 s2, s2, s4
	s_sub_i32 s4, 0, s34
	v_readfirstlane_b32 s42, v1
	s_lshr_b32 s5, s5, 30
	s_mul_i32 s4, s4, s42
	s_add_i32 s3, s3, s5
	s_mul_hi_u32 s4, s42, s4
	v_lshrrev_b32_e32 v3, 4, v0
	v_mov_b32_e32 v4, 0x1000
	v_and_b32_e32 v5, 3, v0
	s_lshl_b32 s6, s35, 1
	s_lshl_b32 s30, s35, 2
	s_ashr_i32 s33, s10, 31
	s_ashr_i32 s2, s2, 3
	s_and_b32 s38, s3, -4
	s_add_i32 s42, s42, s4
	s_mov_b32 s15, s35
	v_lshlrev_b32_e32 v16, 4, v0
	v_lshlrev_b32_e32 v17, 5, v0
	v_cmp_eq_u32_e32 vcc, 0, v0
	v_and_or_b32 v18, v3, 60, v4
	v_lshl_or_b32 v19, v5, 2, v4
	v_cmp_gt_u32_e64 s[2:3], s2, v0
	v_lshlrev_b32_e32 v20, 3, v0
	v_lshlrev_b32_e32 v2, 2, v2
	ds_read_b32 v21, v2
	s_waitcnt lgkmcnt(0)
	v_readlane_b32 s28, v21, 0
	s_cmp_lt_i32 s28, 0
	s_cbranch_scc1 .LBB98_12
; %bb.9:
	s_abs_i32 s27, s40
	s_mul_hi_u32 s4, s27, s42
	s_mul_i32 s7, s4, s34
	s_sub_i32 s7, s27, s7
	s_xor_b32 s5, s41, s33
	s_add_i32 s29, s4, 1
	s_sub_i32 s31, s7, s34
	s_cmp_ge_u32 s7, s34
	s_cselect_b32 s4, s29, s4
	s_cselect_b32 s7, s31, s7
	s_add_i32 s29, s4, 1
	s_cmp_ge_u32 s7, s34
	s_cselect_b32 s4, s29, s4
	s_xor_b32 s4, s4, s5
	s_sub_i32 s4, s4, s5
	s_mul_i32 s5, s4, s10
	s_sub_i32 s5, s40, s5
	s_mul_i32 s5, s5, s12
	s_mul_i32 s4, s4, s11
	s_add_i32 s43, s5, s4
	s_cmp_eq_u32 s43, -1
	s_cbranch_scc1 .LBB98_13
; %bb.10:
	s_mul_hi_i32 s5, s43, s15
	s_mul_i32 s4, s43, s15
	s_lshl_b64 s[4:5], s[4:5], 1
	s_add_u32 s4, s20, s4
	s_addc_u32 s5, s21, s5
	s_and_b32 s5, s5, 0xffff
	s_mov_b32 s7, 0x20000
	buffer_load_dwordx4 v[4:7], v16, s[4:7], 0 offen
	s_waitcnt vmcnt(0)
	v_cvt_f32_f16_e32 v0, v4
	v_cvt_f32_f16_sdwa v1, v4 dst_sel:DWORD dst_unused:UNUSED_PAD src0_sel:WORD_1
	v_cvt_f32_f16_e32 v2, v5
	v_cvt_f32_f16_sdwa v3, v5 dst_sel:DWORD dst_unused:UNUSED_PAD src0_sel:WORD_1
	;; [unrolled: 2-line block ×4, first 2 shown]
	s_branch .LBB98_14
.LBB98_11:
                                        ; implicit-def: $sgpr7
	s_branch .LBB98_2
.LBB98_12:
	s_mov_b32 s43, -1
                                        ; implicit-def: $vgpr0_vgpr1_vgpr2_vgpr3_vgpr4_vgpr5_vgpr6_vgpr7
	s_cmp_eq_u32 s8, 1
	s_mov_b32 s41, 1
	s_cbranch_scc0 .LBB98_21
	s_branch .LBB98_35
.LBB98_13:
                                        ; implicit-def: $vgpr0_vgpr1_vgpr2_vgpr3_vgpr4_vgpr5_vgpr6_vgpr7
.LBB98_14:
	s_mul_i32 s4, s28, s35
	s_ashr_i32 s5, s4, 31
	s_lshl_b64 s[4:5], s[4:5], 2
	s_add_u32 s28, s22, s4
	s_addc_u32 s4, s23, s5
	s_and_b32 s29, s4, 0xffff
	s_mov_b32 s31, 0x20000
	buffer_load_dwordx4 v[8:11], v17, s[28:31], 0 offen
	buffer_load_dwordx4 v[12:15], v17, s[28:31], 16 offen
	s_mov_b32 s4, 0x2edbe6ff
	s_waitcnt vmcnt(1)
	v_pk_mul_f32 v[8:9], v[0:1], v[8:9]
	v_pk_mul_f32 v[10:11], v[2:3], v[10:11]
	v_max3_f32 v23, |v8|, s4, |v9|
	s_waitcnt vmcnt(0)
	v_pk_mul_f32 v[12:13], v[4:5], v[12:13]
	v_max3_f32 v23, v23, |v10|, |v11|
	v_pk_mul_f32 v[14:15], v[6:7], v[14:15]
	v_max3_f32 v23, v23, |v12|, |v13|
	v_max3_f32 v23, v23, |v14|, |v15|
	s_nop 1
	v_mov_b32_dpp v24, v23 quad_perm:[1,0,3,2] row_mask:0xf bank_mask:0xf
	v_cmp_gt_f32_e64 s[4:5], v23, v24
	v_cndmask_b32_e64 v23, v24, v23, s[4:5]
	s_nop 1
	v_mov_b32_dpp v24, v23 quad_perm:[2,3,0,1] row_mask:0xf bank_mask:0xf
	v_cmp_gt_f32_e64 s[4:5], v23, v24
	v_cndmask_b32_e64 v23, v24, v23, s[4:5]
	s_nop 1
	v_mov_b32_dpp v24, v23 row_half_mirror row_mask:0xf bank_mask:0xf
	v_cmp_gt_f32_e64 s[4:5], v23, v24
	v_cndmask_b32_e64 v23, v24, v23, s[4:5]
	s_nop 1
	v_mov_b32_dpp v24, v23 row_mirror row_mask:0xf bank_mask:0xf
	v_cmp_gt_f32_e64 s[4:5], v23, v24
	v_cndmask_b32_e64 v23, v24, v23, s[4:5]
	s_nop 1
	v_mov_b32_dpp v24, v23 row_bcast:15 row_mask:0xf bank_mask:0xf
	v_cmp_gt_f32_e64 s[4:5], v23, v24
	v_cndmask_b32_e64 v23, v24, v23, s[4:5]
	s_nop 1
	v_mov_b32_dpp v24, v23 row_bcast:31 row_mask:0xf bank_mask:0xf
	s_and_saveexec_b64 s[28:29], s[0:1]
	s_cbranch_execz .LBB98_16
; %bb.15:
	v_cmp_gt_f32_e64 s[4:5], v23, v24
	v_cndmask_b32_e64 v23, v24, v23, s[4:5]
	ds_write_b32 v18, v23
.LBB98_16:
	s_or_b64 exec, exec, s[28:29]
	s_waitcnt lgkmcnt(0)
	s_barrier
	ds_read_b32 v23, v19
	s_abs_i32 s7, s9
	v_cvt_f32_u32_e32 v25, s7
	s_waitcnt lgkmcnt(0)
	v_mov_b32_dpp v24, v23 quad_perm:[1,0,3,2] row_mask:0xf bank_mask:0xf
	v_cmp_gt_f32_e64 s[4:5], v23, v24
	v_rcp_iflag_f32_e32 v25, v25
	v_cndmask_b32_e64 v23, v24, v23, s[4:5]
	s_nop 1
	v_mov_b32_dpp v24, v23 quad_perm:[2,3,0,1] row_mask:0xf bank_mask:0xf
	v_cmp_gt_f32_e64 s[4:5], v23, v24
	v_cndmask_b32_e64 v23, v24, v23, s[4:5]
	v_mul_f32_e32 v24, 0x4f7ffffe, v25
	v_cvt_u32_f32_e32 v24, v24
	s_sub_i32 s5, 0, s7
	s_ashr_i32 s4, s9, 31
	s_xor_b32 s4, s41, s4
	v_readfirstlane_b32 s28, v24
	s_mul_i32 s5, s5, s28
	s_mul_hi_u32 s5, s28, s5
	s_add_i32 s28, s28, s5
	s_mul_hi_u32 s5, s27, s28
	s_mul_i32 s28, s5, s7
	s_sub_i32 s27, s27, s28
	s_add_i32 s28, s5, 1
	s_sub_i32 s29, s27, s7
	s_cmp_ge_u32 s27, s7
	s_cselect_b32 s5, s28, s5
	s_cselect_b32 s27, s29, s27
	s_add_i32 s28, s5, 1
	s_cmp_ge_u32 s27, s7
	s_cselect_b32 s5, s28, s5
	s_xor_b32 s5, s5, s4
	s_sub_i32 s4, s5, s4
	s_mul_i32 s5, s4, s9
	s_sub_i32 s5, s40, s5
	s_mul_i32 s5, s5, s14
	s_mul_i32 s4, s4, s13
	v_mul_f32_e32 v23, 0x3c010204, v23
	s_add_i32 s28, s5, s4
	s_and_saveexec_b64 s[4:5], vcc
	s_cbranch_execz .LBB98_18
; %bb.17:
	s_ashr_i32 s29, s28, 31
	s_lshl_b64 s[36:37], s[28:29], 2
	s_add_u32 s36, s18, s36
	s_addc_u32 s37, s19, s37
	v_mov_b32_e32 v24, 0
	global_store_dword v24, v23, s[36:37]
.LBB98_18:
	s_or_b64 exec, exec, s[4:5]
	s_and_saveexec_b64 s[4:5], s[2:3]
	s_cbranch_execz .LBB98_20
; %bb.19:
	v_rcp_f32_e32 v24, v23
	s_mul_i32 s27, s28, s15
	s_mul_hi_i32 s7, s28, s15
	s_add_u32 s36, s16, s27
	v_mov_b32_e32 v25, v24
	;;#ASMSTART
	v_pk_mul_f32 v[8:9], v[8:9], v[24:25]
	;;#ASMEND
	v_cvt_i32_f32_e32 v23, v8
	v_cvt_i32_f32_sdwa v26, v9 dst_sel:BYTE_1 dst_unused:UNUSED_PAD src0_sel:DWORD
	;;#ASMSTART
	v_pk_mul_f32 v[8:9], v[10:11], v[24:25]
	;;#ASMEND
	v_cvt_i32_f32_e32 v10, v8
	v_cvt_i32_f32_sdwa v11, v9 dst_sel:BYTE_1 dst_unused:UNUSED_PAD src0_sel:DWORD
	;; [unrolled: 5-line block ×4, first 2 shown]
	v_or_b32_sdwa v8, v23, v26 dst_sel:DWORD dst_unused:UNUSED_PAD src0_sel:BYTE_0 src1_sel:DWORD
	v_or_b32_sdwa v10, v10, v11 dst_sel:WORD_1 dst_unused:UNUSED_PAD src0_sel:BYTE_0 src1_sel:DWORD
	s_addc_u32 s7, s17, s7
	v_or_b32_sdwa v8, v8, v10 dst_sel:DWORD dst_unused:UNUSED_PAD src0_sel:WORD_0 src1_sel:DWORD
	v_or_b32_sdwa v10, v12, v13 dst_sel:DWORD dst_unused:UNUSED_PAD src0_sel:BYTE_0 src1_sel:DWORD
	v_or_b32_sdwa v9, v14, v9 dst_sel:WORD_1 dst_unused:UNUSED_PAD src0_sel:BYTE_0 src1_sel:DWORD
	s_and_b32 s37, s7, 0xffff
	s_mov_b32 s39, 0x20000
	v_or_b32_sdwa v9, v10, v9 dst_sel:DWORD dst_unused:UNUSED_PAD src0_sel:WORD_0 src1_sel:DWORD
	buffer_store_dwordx2 v[8:9], v20, s[36:39], 0 offen
	;;#ASMSTART
	s_nop 0
	;;#ASMEND
.LBB98_20:
	s_or_b64 exec, exec, s[4:5]
	s_cmp_eq_u32 s8, 1
	s_mov_b32 s41, 1
	s_cbranch_scc1 .LBB98_35
.LBB98_21:
	s_abs_i32 s44, s9
	v_cvt_f32_u32_e32 v8, s44
	s_sub_i32 s4, 0, s44
	s_ashr_i32 s45, s9, 31
	v_add_u32_e32 v22, 4, v22
	v_rcp_iflag_f32_e32 v8, v8
	s_mov_b32 s31, 0x20000
	s_mov_b32 s46, 0x2edbe6ff
	v_mov_b32_e32 v23, 0
	v_mul_f32_e32 v8, 0x4f7ffffe, v8
	v_cvt_u32_f32_e32 v8, v8
	v_readfirstlane_b32 s5, v8
	s_mul_i32 s4, s4, s5
	s_mul_hi_u32 s4, s5, s4
	s_add_i32 s47, s5, s4
	s_branch .LBB98_24
.LBB98_22:                              ;   in Loop: Header=BB98_24 Depth=1
	s_or_b64 exec, exec, s[4:5]
.LBB98_23:                              ;   in Loop: Header=BB98_24 Depth=1
	s_add_i32 s41, s41, 1
	s_cmp_eq_u32 s8, s41
	v_add_u32_e32 v22, 4, v22
	s_cbranch_scc1 .LBB98_35
.LBB98_24:                              ; =>This Inner Loop Header: Depth=1
	s_and_b32 s4, s41, 63
	s_cmp_lg_u32 s4, 0
	s_cbranch_scc1 .LBB98_26
; %bb.25:                               ;   in Loop: Header=BB98_24 Depth=1
	s_mov_b32 s27, s31
	buffer_load_dword v8, v22, s[24:27], 0 offen
	s_waitcnt vmcnt(0)
	v_lshlrev_b32_e32 v8, 2, v8
	ds_read_b32 v21, v8
.LBB98_26:                              ;   in Loop: Header=BB98_24 Depth=1
	s_waitcnt lgkmcnt(0)
	v_readlane_b32 s28, v21, s4
	s_cmp_lt_i32 s28, 0
	s_cbranch_scc1 .LBB98_23
; %bb.27:                               ;   in Loop: Header=BB98_24 Depth=1
	s_add_i32 s27, s40, s41
	s_abs_i32 s36, s27
	s_mul_hi_u32 s5, s36, s42
	s_mul_i32 s7, s5, s34
	s_ashr_i32 s37, s27, 31
	s_sub_i32 s7, s36, s7
	s_xor_b32 s4, s37, s33
	s_add_i32 s29, s5, 1
	s_sub_i32 s39, s7, s34
	s_cmp_ge_u32 s7, s34
	s_cselect_b32 s5, s29, s5
	s_cselect_b32 s7, s39, s7
	s_add_i32 s29, s5, 1
	s_cmp_ge_u32 s7, s34
	s_cselect_b32 s5, s29, s5
	s_xor_b32 s5, s5, s4
	s_sub_i32 s4, s5, s4
	s_mul_i32 s5, s4, s10
	s_sub_i32 s5, s27, s5
	s_mul_i32 s29, s5, s12
	s_mul_i32 s4, s4, s11
	s_add_i32 s29, s29, s4
	s_cmp_eq_u32 s29, s43
	s_cbranch_scc1 .LBB98_29
; %bb.28:                               ;   in Loop: Header=BB98_24 Depth=1
	s_mul_hi_i32 s5, s29, s15
	s_mul_i32 s4, s29, s15
	s_lshl_b64 s[4:5], s[4:5], 1
	s_add_u32 s4, s20, s4
	s_addc_u32 s5, s21, s5
	s_and_b32 s5, s5, 0xffff
	s_mov_b32 s7, s31
	buffer_load_dwordx4 v[4:7], v16, s[4:7], 0 offen
	s_mov_b32 s43, s29
	s_waitcnt vmcnt(0)
	v_cvt_f32_f16_e32 v0, v4
	v_cvt_f32_f16_sdwa v1, v4 dst_sel:DWORD dst_unused:UNUSED_PAD src0_sel:WORD_1
	v_cvt_f32_f16_e32 v2, v5
	v_cvt_f32_f16_sdwa v3, v5 dst_sel:DWORD dst_unused:UNUSED_PAD src0_sel:WORD_1
	v_cvt_f32_f16_e32 v4, v6
	v_cvt_f32_f16_sdwa v5, v6 dst_sel:DWORD dst_unused:UNUSED_PAD src0_sel:WORD_1
	v_cvt_f32_f16_e32 v6, v7
	v_cvt_f32_f16_sdwa v7, v7 dst_sel:DWORD dst_unused:UNUSED_PAD src0_sel:WORD_1
.LBB98_29:                              ;   in Loop: Header=BB98_24 Depth=1
	s_mul_i32 s4, s28, s35
	s_ashr_i32 s5, s4, 31
	s_lshl_b64 s[4:5], s[4:5], 2
	s_add_u32 s28, s22, s4
	s_addc_u32 s4, s23, s5
	s_and_b32 s29, s4, 0xffff
	buffer_load_dwordx4 v[8:11], v17, s[28:31], 0 offen
	buffer_load_dwordx4 v[12:15], v17, s[28:31], 16 offen
	s_waitcnt vmcnt(1)
	v_pk_mul_f32 v[8:9], v[0:1], v[8:9]
	v_pk_mul_f32 v[10:11], v[2:3], v[10:11]
	v_max3_f32 v24, |v8|, s46, |v9|
	s_waitcnt vmcnt(0)
	v_pk_mul_f32 v[12:13], v[4:5], v[12:13]
	v_max3_f32 v24, v24, |v10|, |v11|
	v_pk_mul_f32 v[14:15], v[6:7], v[14:15]
	v_max3_f32 v24, v24, |v12|, |v13|
	v_max3_f32 v24, v24, |v14|, |v15|
	s_nop 1
	v_mov_b32_dpp v25, v24 quad_perm:[1,0,3,2] row_mask:0xf bank_mask:0xf
	v_cmp_gt_f32_e64 s[4:5], v24, v25
	v_cndmask_b32_e64 v24, v25, v24, s[4:5]
	s_nop 1
	v_mov_b32_dpp v25, v24 quad_perm:[2,3,0,1] row_mask:0xf bank_mask:0xf
	v_cmp_gt_f32_e64 s[4:5], v24, v25
	v_cndmask_b32_e64 v24, v25, v24, s[4:5]
	s_nop 1
	v_mov_b32_dpp v25, v24 row_half_mirror row_mask:0xf bank_mask:0xf
	v_cmp_gt_f32_e64 s[4:5], v24, v25
	v_cndmask_b32_e64 v24, v25, v24, s[4:5]
	s_nop 1
	v_mov_b32_dpp v25, v24 row_mirror row_mask:0xf bank_mask:0xf
	v_cmp_gt_f32_e64 s[4:5], v24, v25
	v_cndmask_b32_e64 v24, v25, v24, s[4:5]
	s_nop 1
	v_mov_b32_dpp v25, v24 row_bcast:15 row_mask:0xf bank_mask:0xf
	v_cmp_gt_f32_e64 s[4:5], v24, v25
	v_cndmask_b32_e64 v24, v25, v24, s[4:5]
	s_nop 1
	v_mov_b32_dpp v25, v24 row_bcast:31 row_mask:0xf bank_mask:0xf
	s_and_saveexec_b64 s[28:29], s[0:1]
	s_cbranch_execz .LBB98_31
; %bb.30:                               ;   in Loop: Header=BB98_24 Depth=1
	v_cmp_gt_f32_e64 s[4:5], v24, v25
	v_cndmask_b32_e64 v24, v25, v24, s[4:5]
	ds_write_b32 v18, v24
.LBB98_31:                              ;   in Loop: Header=BB98_24 Depth=1
	s_or_b64 exec, exec, s[28:29]
	s_waitcnt lgkmcnt(0)
	s_barrier
	ds_read_b32 v24, v19
	s_waitcnt lgkmcnt(0)
	s_nop 0
	v_mov_b32_dpp v25, v24 quad_perm:[1,0,3,2] row_mask:0xf bank_mask:0xf
	v_cmp_gt_f32_e64 s[4:5], v24, v25
	v_cndmask_b32_e64 v24, v25, v24, s[4:5]
	s_nop 1
	v_mov_b32_dpp v25, v24 quad_perm:[2,3,0,1] row_mask:0xf bank_mask:0xf
	v_cmp_gt_f32_e64 s[4:5], v24, v25
	v_cndmask_b32_e64 v24, v25, v24, s[4:5]
	s_mul_hi_u32 s5, s36, s47
	s_mul_i32 s7, s5, s44
	s_sub_i32 s7, s36, s7
	s_xor_b32 s4, s37, s45
	s_add_i32 s28, s5, 1
	s_sub_i32 s29, s7, s44
	s_cmp_ge_u32 s7, s44
	s_cselect_b32 s5, s28, s5
	s_cselect_b32 s7, s29, s7
	s_add_i32 s28, s5, 1
	s_cmp_ge_u32 s7, s44
	s_cselect_b32 s5, s28, s5
	s_xor_b32 s5, s5, s4
	s_sub_i32 s4, s5, s4
	s_mul_i32 s5, s4, s9
	s_sub_i32 s5, s27, s5
	s_mul_i32 s5, s5, s14
	s_mul_i32 s4, s4, s13
	v_mul_f32_e32 v24, 0x3c010204, v24
	s_add_i32 s28, s5, s4
	s_and_saveexec_b64 s[4:5], vcc
	s_cbranch_execz .LBB98_33
; %bb.32:                               ;   in Loop: Header=BB98_24 Depth=1
	s_ashr_i32 s29, s28, 31
	s_lshl_b64 s[36:37], s[28:29], 2
	s_add_u32 s36, s18, s36
	s_addc_u32 s37, s19, s37
	global_store_dword v23, v24, s[36:37]
.LBB98_33:                              ;   in Loop: Header=BB98_24 Depth=1
	s_or_b64 exec, exec, s[4:5]
	s_and_saveexec_b64 s[4:5], s[2:3]
	s_cbranch_execz .LBB98_22
; %bb.34:                               ;   in Loop: Header=BB98_24 Depth=1
	v_rcp_f32_e32 v24, v24
	s_mul_i32 s27, s28, s15
	s_mul_hi_i32 s7, s28, s15
	s_add_u32 s36, s16, s27
	v_mov_b32_e32 v25, v24
	;;#ASMSTART
	v_pk_mul_f32 v[8:9], v[8:9], v[24:25]
	;;#ASMEND
	v_cvt_i32_f32_e32 v26, v8
	v_cvt_i32_f32_sdwa v27, v9 dst_sel:BYTE_1 dst_unused:UNUSED_PAD src0_sel:DWORD
	;;#ASMSTART
	v_pk_mul_f32 v[8:9], v[10:11], v[24:25]
	;;#ASMEND
	v_cvt_i32_f32_e32 v10, v8
	v_cvt_i32_f32_sdwa v11, v9 dst_sel:BYTE_1 dst_unused:UNUSED_PAD src0_sel:DWORD
	;; [unrolled: 5-line block ×4, first 2 shown]
	v_or_b32_sdwa v8, v26, v27 dst_sel:DWORD dst_unused:UNUSED_PAD src0_sel:BYTE_0 src1_sel:DWORD
	v_or_b32_sdwa v10, v10, v11 dst_sel:WORD_1 dst_unused:UNUSED_PAD src0_sel:BYTE_0 src1_sel:DWORD
	s_addc_u32 s7, s17, s7
	v_or_b32_sdwa v8, v8, v10 dst_sel:DWORD dst_unused:UNUSED_PAD src0_sel:WORD_0 src1_sel:DWORD
	v_or_b32_sdwa v10, v12, v13 dst_sel:DWORD dst_unused:UNUSED_PAD src0_sel:BYTE_0 src1_sel:DWORD
	v_or_b32_sdwa v9, v14, v9 dst_sel:WORD_1 dst_unused:UNUSED_PAD src0_sel:BYTE_0 src1_sel:DWORD
	s_and_b32 s37, s7, 0xffff
	s_mov_b32 s39, s31
	v_or_b32_sdwa v9, v10, v9 dst_sel:DWORD dst_unused:UNUSED_PAD src0_sel:WORD_0 src1_sel:DWORD
	buffer_store_dwordx2 v[8:9], v20, s[36:39], 0 offen
	;;#ASMSTART
	s_nop 0
	;;#ASMEND
	s_branch .LBB98_22
.LBB98_35:
	s_endpgm
	.section	.rodata,"a",@progbits
	.p2align	6, 0x0
	.amdhsa_kernel _ZN5aiter36smooth_per_token_scaled_quant_kernelIDF16_aLi256ELi8ELb1ELb1ELb1ELi1024EEEvPT0_PfPT_S3_PiS6_iiPKiiiiiiiii
		.amdhsa_group_segment_fixed_size 4112
		.amdhsa_private_segment_fixed_size 0
		.amdhsa_kernarg_size 96
		.amdhsa_user_sgpr_count 6
		.amdhsa_user_sgpr_private_segment_buffer 1
		.amdhsa_user_sgpr_dispatch_ptr 0
		.amdhsa_user_sgpr_queue_ptr 0
		.amdhsa_user_sgpr_kernarg_segment_ptr 1
		.amdhsa_user_sgpr_dispatch_id 0
		.amdhsa_user_sgpr_flat_scratch_init 0
		.amdhsa_user_sgpr_kernarg_preload_length 0
		.amdhsa_user_sgpr_kernarg_preload_offset 0
		.amdhsa_user_sgpr_private_segment_size 0
		.amdhsa_uses_dynamic_stack 0
		.amdhsa_system_sgpr_private_segment_wavefront_offset 0
		.amdhsa_system_sgpr_workgroup_id_x 1
		.amdhsa_system_sgpr_workgroup_id_y 0
		.amdhsa_system_sgpr_workgroup_id_z 0
		.amdhsa_system_sgpr_workgroup_info 0
		.amdhsa_system_vgpr_workitem_id 0
		.amdhsa_next_free_vgpr 28
		.amdhsa_next_free_sgpr 48
		.amdhsa_accum_offset 28
		.amdhsa_reserve_vcc 1
		.amdhsa_reserve_flat_scratch 0
		.amdhsa_float_round_mode_32 0
		.amdhsa_float_round_mode_16_64 0
		.amdhsa_float_denorm_mode_32 3
		.amdhsa_float_denorm_mode_16_64 3
		.amdhsa_dx10_clamp 1
		.amdhsa_ieee_mode 1
		.amdhsa_fp16_overflow 0
		.amdhsa_tg_split 0
		.amdhsa_exception_fp_ieee_invalid_op 0
		.amdhsa_exception_fp_denorm_src 0
		.amdhsa_exception_fp_ieee_div_zero 0
		.amdhsa_exception_fp_ieee_overflow 0
		.amdhsa_exception_fp_ieee_underflow 0
		.amdhsa_exception_fp_ieee_inexact 0
		.amdhsa_exception_int_div_zero 0
	.end_amdhsa_kernel
	.section	.text._ZN5aiter36smooth_per_token_scaled_quant_kernelIDF16_aLi256ELi8ELb1ELb1ELb1ELi1024EEEvPT0_PfPT_S3_PiS6_iiPKiiiiiiiii,"axG",@progbits,_ZN5aiter36smooth_per_token_scaled_quant_kernelIDF16_aLi256ELi8ELb1ELb1ELb1ELi1024EEEvPT0_PfPT_S3_PiS6_iiPKiiiiiiiii,comdat
.Lfunc_end98:
	.size	_ZN5aiter36smooth_per_token_scaled_quant_kernelIDF16_aLi256ELi8ELb1ELb1ELb1ELi1024EEEvPT0_PfPT_S3_PiS6_iiPKiiiiiiiii, .Lfunc_end98-_ZN5aiter36smooth_per_token_scaled_quant_kernelIDF16_aLi256ELi8ELb1ELb1ELb1ELi1024EEEvPT0_PfPT_S3_PiS6_iiPKiiiiiiiii
                                        ; -- End function
	.section	.AMDGPU.csdata,"",@progbits
; Kernel info:
; codeLenInByte = 2736
; NumSgprs: 52
; NumVgprs: 28
; NumAgprs: 0
; TotalNumVgprs: 28
; ScratchSize: 0
; MemoryBound: 0
; FloatMode: 240
; IeeeMode: 1
; LDSByteSize: 4112 bytes/workgroup (compile time only)
; SGPRBlocks: 6
; VGPRBlocks: 3
; NumSGPRsForWavesPerEU: 52
; NumVGPRsForWavesPerEU: 28
; AccumOffset: 28
; Occupancy: 8
; WaveLimiterHint : 0
; COMPUTE_PGM_RSRC2:SCRATCH_EN: 0
; COMPUTE_PGM_RSRC2:USER_SGPR: 6
; COMPUTE_PGM_RSRC2:TRAP_HANDLER: 0
; COMPUTE_PGM_RSRC2:TGID_X_EN: 1
; COMPUTE_PGM_RSRC2:TGID_Y_EN: 0
; COMPUTE_PGM_RSRC2:TGID_Z_EN: 0
; COMPUTE_PGM_RSRC2:TIDIG_COMP_CNT: 0
; COMPUTE_PGM_RSRC3_GFX90A:ACCUM_OFFSET: 6
; COMPUTE_PGM_RSRC3_GFX90A:TG_SPLIT: 0
	.section	.text._ZN5aiter36smooth_per_token_scaled_quant_kernelItaLi256ELi8ELb1ELb1ELb1ELi1024EEEvPT0_PfPT_S3_PiS6_iiPKiiiiiiiii,"axG",@progbits,_ZN5aiter36smooth_per_token_scaled_quant_kernelItaLi256ELi8ELb1ELb1ELb1ELi1024EEEvPT0_PfPT_S3_PiS6_iiPKiiiiiiiii,comdat
	.protected	_ZN5aiter36smooth_per_token_scaled_quant_kernelItaLi256ELi8ELb1ELb1ELb1ELi1024EEEvPT0_PfPT_S3_PiS6_iiPKiiiiiiiii ; -- Begin function _ZN5aiter36smooth_per_token_scaled_quant_kernelItaLi256ELi8ELb1ELb1ELb1ELi1024EEEvPT0_PfPT_S3_PiS6_iiPKiiiiiiiii
	.globl	_ZN5aiter36smooth_per_token_scaled_quant_kernelItaLi256ELi8ELb1ELb1ELb1ELi1024EEEvPT0_PfPT_S3_PiS6_iiPKiiiiiiiii
	.p2align	8
	.type	_ZN5aiter36smooth_per_token_scaled_quant_kernelItaLi256ELi8ELb1ELb1ELb1ELi1024EEEvPT0_PfPT_S3_PiS6_iiPKiiiiiiiii,@function
_ZN5aiter36smooth_per_token_scaled_quant_kernelItaLi256ELi8ELb1ELb1ELb1ELi1024EEEvPT0_PfPT_S3_PiS6_iiPKiiiiiiiii: ; @_ZN5aiter36smooth_per_token_scaled_quant_kernelItaLi256ELi8ELb1ELb1ELb1ELi1024EEEvPT0_PfPT_S3_PiS6_iiPKiiiiiiiii
; %bb.0:
	s_load_dwordx2 s[16:17], s[4:5], 0x38
	s_load_dwordx2 s[0:1], s[4:5], 0x28
	s_load_dwordx8 s[8:15], s[4:5], 0x40
	s_mov_b64 s[2:3], 0
	s_waitcnt lgkmcnt(0)
	s_cmp_lg_u64 s[16:17], 0
	s_cbranch_scc0 .LBB99_11
; %bb.1:
	s_load_dword s7, s[16:17], 0x0
	s_waitcnt lgkmcnt(0)
	s_mul_i32 s7, s7, s8
	s_andn2_b64 vcc, exec, s[2:3]
	s_cbranch_vccnz .LBB99_3
.LBB99_2:
	s_mul_i32 s7, s10, s9
.LBB99_3:
	s_load_dwordx2 s[34:35], s[4:5], 0x30
	v_and_b32_e32 v1, 0x3c0, v0
	v_lshlrev_b32_e32 v1, 2, v1
	v_lshlrev_b32_e32 v2, 2, v0
	v_readfirstlane_b32 s8, v1
	v_add_u32_e32 v3, 0x400, v1
	s_lshl_b32 s2, s15, 2
	s_and_b32 s1, s1, 0xffff
	s_mov_b32 s3, 0x20000
	;;#ASMSTART
	s_mov_b32 m0 s8
	buffer_load_dword v2, s[0:3], 0 offen offset:0 lds
	
	;;#ASMEND
	v_readfirstlane_b32 s8, v3
	v_add_u32_e32 v3, 0x400, v2
	;;#ASMSTART
	s_mov_b32 m0 s8
	buffer_load_dword v3, s[0:3], 0 offen offset:0 lds
	
	;;#ASMEND
	v_add_u32_e32 v3, 0x800, v1
	s_waitcnt lgkmcnt(0)
	s_abs_i32 s15, s34
	v_readfirstlane_b32 s8, v3
	v_cvt_f32_u32_e32 v3, s15
	v_add_u32_e32 v1, 0xc00, v1
	v_add_u32_e32 v4, 0x800, v2
	v_readfirstlane_b32 s18, v1
	v_rcp_iflag_f32_e32 v3, v3
	v_add_u32_e32 v1, 0xc00, v2
	s_sub_i32 s17, 0, s15
	s_abs_i32 s16, s7
	v_mul_f32_e32 v2, 0x4f7ffffe, v3
	v_cvt_u32_f32_e32 v2, v2
	;;#ASMSTART
	s_mov_b32 m0 s8
	buffer_load_dword v4, s[0:3], 0 offen offset:0 lds
	
	;;#ASMEND
	s_xor_b32 s8, s7, s34
	s_ashr_i32 s8, s8, 31
	v_readfirstlane_b32 s19, v2
	s_mul_i32 s17, s17, s19
	s_mul_hi_u32 s17, s19, s17
	s_add_i32 s19, s19, s17
	s_mul_hi_u32 s17, s16, s19
	s_mul_i32 s19, s17, s15
	s_sub_i32 s16, s16, s19
	s_add_i32 s19, s17, 1
	s_sub_i32 s20, s16, s15
	s_cmp_ge_u32 s16, s15
	s_cselect_b32 s17, s19, s17
	s_cselect_b32 s16, s20, s16
	s_add_i32 s19, s17, 1
	s_cmp_ge_u32 s16, s15
	s_cselect_b32 s15, s19, s17
	s_xor_b32 s15, s15, s8
	s_sub_i32 s8, s15, s8
	s_mul_i32 s15, s8, s34
	s_sub_i32 s15, s7, s15
	s_cmp_lt_u32 s6, s15
	;;#ASMSTART
	s_mov_b32 m0 s18
	buffer_load_dword v1, s[0:3], 0 offen offset:0 lds
	
	;;#ASMEND
	s_cselect_b64 s[16:17], -1, 0
	s_add_i32 s7, s8, 1
	s_cmp_ge_u32 s6, s15
	s_cbranch_scc0 .LBB99_5
; %bb.4:
	s_sub_i32 s1, s6, s15
	s_mul_i32 s0, s15, s7
	s_mul_i32 s1, s1, s8
	s_add_i32 s40, s1, s0
	s_cbranch_execz .LBB99_6
	s_branch .LBB99_7
.LBB99_5:
                                        ; implicit-def: $sgpr40
.LBB99_6:
	s_mul_i32 s40, s7, s6
.LBB99_7:
	v_cndmask_b32_e64 v1, 0, 1, s[16:17]
	v_readfirstlane_b32 s0, v1
	s_add_i32 s8, s8, s0
	s_cmp_lt_i32 s8, 1
	s_cbranch_scc1 .LBB99_35
; %bb.8:
	s_load_dwordx2 s[0:1], s[4:5], 0x20
	s_ashr_i32 s41, s40, 31
	s_lshl_b64 s[2:3], s[40:41], 2
	v_and_b32_e32 v1, 63, v0
	s_mov_b32 s27, 0x20000
	s_waitcnt lgkmcnt(0)
	s_add_u32 s24, s0, s2
	s_addc_u32 s0, s1, s3
	s_lshl_b32 s26, s8, 2
	s_and_b32 s25, s0, 0xffff
	v_lshlrev_b32_e32 v22, 2, v1
	buffer_load_dword v2, v22, s[24:27], 0 offen
	s_abs_i32 s34, s10
	v_cmp_eq_u32_e64 s[0:1], 63, v1
	v_cvt_f32_u32_e32 v1, s34
	s_add_i32 s2, s35, 7
	s_load_dwordx8 s[16:23], s[4:5], 0x0
	s_ashr_i32 s4, s2, 31
	v_rcp_iflag_f32_e32 v1, v1
	s_waitcnt vmcnt(0) lgkmcnt(0)
	s_barrier
	v_mul_f32_e32 v1, 0x4f7ffffe, v1
	v_cvt_u32_f32_e32 v1, v1
	s_add_i32 s3, s35, 3
	s_lshr_b32 s4, s4, 29
	s_ashr_i32 s5, s3, 31
	s_add_i32 s2, s2, s4
	s_sub_i32 s4, 0, s34
	v_readfirstlane_b32 s42, v1
	s_lshr_b32 s5, s5, 30
	s_mul_i32 s4, s4, s42
	s_add_i32 s3, s3, s5
	s_mul_hi_u32 s4, s42, s4
	v_lshrrev_b32_e32 v3, 4, v0
	v_mov_b32_e32 v4, 0x1000
	v_and_b32_e32 v5, 3, v0
	s_lshl_b32 s6, s35, 1
	s_lshl_b32 s30, s35, 2
	s_ashr_i32 s33, s10, 31
	s_ashr_i32 s2, s2, 3
	s_and_b32 s38, s3, -4
	s_add_i32 s42, s42, s4
	s_mov_b32 s15, s35
	v_lshlrev_b32_e32 v16, 4, v0
	v_lshlrev_b32_e32 v17, 5, v0
	v_cmp_eq_u32_e32 vcc, 0, v0
	v_and_or_b32 v18, v3, 60, v4
	v_lshl_or_b32 v19, v5, 2, v4
	v_cmp_gt_u32_e64 s[2:3], s2, v0
	v_lshlrev_b32_e32 v20, 3, v0
	v_lshlrev_b32_e32 v2, 2, v2
	ds_read_b32 v21, v2
	s_waitcnt lgkmcnt(0)
	v_readlane_b32 s28, v21, 0
	s_cmp_lt_i32 s28, 0
	s_cbranch_scc1 .LBB99_12
; %bb.9:
	s_abs_i32 s27, s40
	s_mul_hi_u32 s4, s27, s42
	s_mul_i32 s7, s4, s34
	s_sub_i32 s7, s27, s7
	s_xor_b32 s5, s41, s33
	s_add_i32 s29, s4, 1
	s_sub_i32 s31, s7, s34
	s_cmp_ge_u32 s7, s34
	s_cselect_b32 s4, s29, s4
	s_cselect_b32 s7, s31, s7
	s_add_i32 s29, s4, 1
	s_cmp_ge_u32 s7, s34
	s_cselect_b32 s4, s29, s4
	s_xor_b32 s4, s4, s5
	s_sub_i32 s4, s4, s5
	s_mul_i32 s5, s4, s10
	s_sub_i32 s5, s40, s5
	s_mul_i32 s5, s5, s12
	s_mul_i32 s4, s4, s11
	s_add_i32 s43, s5, s4
	s_cmp_eq_u32 s43, -1
	s_cbranch_scc1 .LBB99_13
; %bb.10:
	s_mul_hi_i32 s5, s43, s15
	s_mul_i32 s4, s43, s15
	s_lshl_b64 s[4:5], s[4:5], 1
	s_add_u32 s4, s20, s4
	s_addc_u32 s5, s21, s5
	s_and_b32 s5, s5, 0xffff
	s_mov_b32 s7, 0x20000
	buffer_load_dwordx4 v[6:9], v16, s[4:7], 0 offen
	s_waitcnt vmcnt(0)
	v_cvt_f32_u32_sdwa v1, v6 dst_sel:DWORD dst_unused:UNUSED_PAD src0_sel:WORD_1
	v_cvt_f32_u32_sdwa v0, v6 dst_sel:DWORD dst_unused:UNUSED_PAD src0_sel:WORD_0
	v_cvt_f32_u32_sdwa v3, v7 dst_sel:DWORD dst_unused:UNUSED_PAD src0_sel:WORD_1
	v_cvt_f32_u32_sdwa v2, v7 dst_sel:DWORD dst_unused:UNUSED_PAD src0_sel:WORD_0
	;; [unrolled: 2-line block ×4, first 2 shown]
	s_branch .LBB99_14
.LBB99_11:
                                        ; implicit-def: $sgpr7
	s_branch .LBB99_2
.LBB99_12:
	s_mov_b32 s43, -1
                                        ; implicit-def: $vgpr0_vgpr1_vgpr2_vgpr3_vgpr4_vgpr5_vgpr6_vgpr7
	s_cmp_eq_u32 s8, 1
	s_mov_b32 s41, 1
	s_cbranch_scc0 .LBB99_21
	s_branch .LBB99_35
.LBB99_13:
                                        ; implicit-def: $vgpr0_vgpr1_vgpr2_vgpr3_vgpr4_vgpr5_vgpr6_vgpr7
.LBB99_14:
	s_mul_i32 s4, s28, s35
	s_ashr_i32 s5, s4, 31
	s_lshl_b64 s[4:5], s[4:5], 2
	s_add_u32 s28, s22, s4
	s_addc_u32 s4, s23, s5
	s_and_b32 s29, s4, 0xffff
	s_mov_b32 s31, 0x20000
	buffer_load_dwordx4 v[8:11], v17, s[28:31], 0 offen
	buffer_load_dwordx4 v[12:15], v17, s[28:31], 16 offen
	s_mov_b32 s4, 0x2edbe6ff
	s_waitcnt vmcnt(1)
	v_pk_mul_f32 v[8:9], v[0:1], v[8:9]
	v_pk_mul_f32 v[10:11], v[2:3], v[10:11]
	v_max3_f32 v23, |v8|, s4, |v9|
	s_waitcnt vmcnt(0)
	v_pk_mul_f32 v[12:13], v[4:5], v[12:13]
	v_max3_f32 v23, v23, |v10|, |v11|
	v_pk_mul_f32 v[14:15], v[6:7], v[14:15]
	v_max3_f32 v23, v23, |v12|, |v13|
	v_max3_f32 v23, v23, |v14|, |v15|
	s_nop 1
	v_mov_b32_dpp v24, v23 quad_perm:[1,0,3,2] row_mask:0xf bank_mask:0xf
	v_cmp_gt_f32_e64 s[4:5], v23, v24
	v_cndmask_b32_e64 v23, v24, v23, s[4:5]
	s_nop 1
	v_mov_b32_dpp v24, v23 quad_perm:[2,3,0,1] row_mask:0xf bank_mask:0xf
	v_cmp_gt_f32_e64 s[4:5], v23, v24
	v_cndmask_b32_e64 v23, v24, v23, s[4:5]
	s_nop 1
	v_mov_b32_dpp v24, v23 row_half_mirror row_mask:0xf bank_mask:0xf
	v_cmp_gt_f32_e64 s[4:5], v23, v24
	v_cndmask_b32_e64 v23, v24, v23, s[4:5]
	s_nop 1
	v_mov_b32_dpp v24, v23 row_mirror row_mask:0xf bank_mask:0xf
	v_cmp_gt_f32_e64 s[4:5], v23, v24
	v_cndmask_b32_e64 v23, v24, v23, s[4:5]
	s_nop 1
	v_mov_b32_dpp v24, v23 row_bcast:15 row_mask:0xf bank_mask:0xf
	v_cmp_gt_f32_e64 s[4:5], v23, v24
	v_cndmask_b32_e64 v23, v24, v23, s[4:5]
	s_nop 1
	v_mov_b32_dpp v24, v23 row_bcast:31 row_mask:0xf bank_mask:0xf
	s_and_saveexec_b64 s[28:29], s[0:1]
	s_cbranch_execz .LBB99_16
; %bb.15:
	v_cmp_gt_f32_e64 s[4:5], v23, v24
	v_cndmask_b32_e64 v23, v24, v23, s[4:5]
	ds_write_b32 v18, v23
.LBB99_16:
	s_or_b64 exec, exec, s[28:29]
	s_waitcnt lgkmcnt(0)
	s_barrier
	ds_read_b32 v23, v19
	s_abs_i32 s7, s9
	v_cvt_f32_u32_e32 v25, s7
	s_waitcnt lgkmcnt(0)
	v_mov_b32_dpp v24, v23 quad_perm:[1,0,3,2] row_mask:0xf bank_mask:0xf
	v_cmp_gt_f32_e64 s[4:5], v23, v24
	v_rcp_iflag_f32_e32 v25, v25
	v_cndmask_b32_e64 v23, v24, v23, s[4:5]
	s_nop 1
	v_mov_b32_dpp v24, v23 quad_perm:[2,3,0,1] row_mask:0xf bank_mask:0xf
	v_cmp_gt_f32_e64 s[4:5], v23, v24
	v_cndmask_b32_e64 v23, v24, v23, s[4:5]
	v_mul_f32_e32 v24, 0x4f7ffffe, v25
	v_cvt_u32_f32_e32 v24, v24
	s_sub_i32 s5, 0, s7
	s_ashr_i32 s4, s9, 31
	s_xor_b32 s4, s41, s4
	v_readfirstlane_b32 s28, v24
	s_mul_i32 s5, s5, s28
	s_mul_hi_u32 s5, s28, s5
	s_add_i32 s28, s28, s5
	s_mul_hi_u32 s5, s27, s28
	s_mul_i32 s28, s5, s7
	s_sub_i32 s27, s27, s28
	s_add_i32 s28, s5, 1
	s_sub_i32 s29, s27, s7
	s_cmp_ge_u32 s27, s7
	s_cselect_b32 s5, s28, s5
	s_cselect_b32 s27, s29, s27
	s_add_i32 s28, s5, 1
	s_cmp_ge_u32 s27, s7
	s_cselect_b32 s5, s28, s5
	s_xor_b32 s5, s5, s4
	s_sub_i32 s4, s5, s4
	s_mul_i32 s5, s4, s9
	s_sub_i32 s5, s40, s5
	s_mul_i32 s5, s5, s14
	s_mul_i32 s4, s4, s13
	v_mul_f32_e32 v23, 0x3c010204, v23
	s_add_i32 s28, s5, s4
	s_and_saveexec_b64 s[4:5], vcc
	s_cbranch_execz .LBB99_18
; %bb.17:
	s_ashr_i32 s29, s28, 31
	s_lshl_b64 s[36:37], s[28:29], 2
	s_add_u32 s36, s18, s36
	s_addc_u32 s37, s19, s37
	v_mov_b32_e32 v24, 0
	global_store_dword v24, v23, s[36:37]
.LBB99_18:
	s_or_b64 exec, exec, s[4:5]
	s_and_saveexec_b64 s[4:5], s[2:3]
	s_cbranch_execz .LBB99_20
; %bb.19:
	v_rcp_f32_e32 v24, v23
	s_mul_i32 s27, s28, s15
	s_mul_hi_i32 s7, s28, s15
	s_add_u32 s36, s16, s27
	v_mov_b32_e32 v25, v24
	;;#ASMSTART
	v_pk_mul_f32 v[8:9], v[8:9], v[24:25]
	;;#ASMEND
	v_cvt_i32_f32_e32 v23, v8
	v_cvt_i32_f32_sdwa v26, v9 dst_sel:BYTE_1 dst_unused:UNUSED_PAD src0_sel:DWORD
	;;#ASMSTART
	v_pk_mul_f32 v[8:9], v[10:11], v[24:25]
	;;#ASMEND
	v_cvt_i32_f32_e32 v10, v8
	v_cvt_i32_f32_sdwa v11, v9 dst_sel:BYTE_1 dst_unused:UNUSED_PAD src0_sel:DWORD
	;; [unrolled: 5-line block ×4, first 2 shown]
	v_or_b32_sdwa v8, v23, v26 dst_sel:DWORD dst_unused:UNUSED_PAD src0_sel:BYTE_0 src1_sel:DWORD
	v_or_b32_sdwa v10, v10, v11 dst_sel:WORD_1 dst_unused:UNUSED_PAD src0_sel:BYTE_0 src1_sel:DWORD
	s_addc_u32 s7, s17, s7
	v_or_b32_sdwa v8, v8, v10 dst_sel:DWORD dst_unused:UNUSED_PAD src0_sel:WORD_0 src1_sel:DWORD
	v_or_b32_sdwa v10, v12, v13 dst_sel:DWORD dst_unused:UNUSED_PAD src0_sel:BYTE_0 src1_sel:DWORD
	v_or_b32_sdwa v9, v14, v9 dst_sel:WORD_1 dst_unused:UNUSED_PAD src0_sel:BYTE_0 src1_sel:DWORD
	s_and_b32 s37, s7, 0xffff
	s_mov_b32 s39, 0x20000
	v_or_b32_sdwa v9, v10, v9 dst_sel:DWORD dst_unused:UNUSED_PAD src0_sel:WORD_0 src1_sel:DWORD
	buffer_store_dwordx2 v[8:9], v20, s[36:39], 0 offen
	;;#ASMSTART
	s_nop 0
	;;#ASMEND
.LBB99_20:
	s_or_b64 exec, exec, s[4:5]
	s_cmp_eq_u32 s8, 1
	s_mov_b32 s41, 1
	s_cbranch_scc1 .LBB99_35
.LBB99_21:
	s_abs_i32 s44, s9
	v_cvt_f32_u32_e32 v8, s44
	s_sub_i32 s4, 0, s44
	s_ashr_i32 s45, s9, 31
	v_add_u32_e32 v22, 4, v22
	v_rcp_iflag_f32_e32 v8, v8
	s_mov_b32 s31, 0x20000
	s_mov_b32 s46, 0x2edbe6ff
	v_mov_b32_e32 v23, 0
	v_mul_f32_e32 v8, 0x4f7ffffe, v8
	v_cvt_u32_f32_e32 v8, v8
	v_readfirstlane_b32 s5, v8
	s_mul_i32 s4, s4, s5
	s_mul_hi_u32 s4, s5, s4
	s_add_i32 s47, s5, s4
	s_branch .LBB99_24
.LBB99_22:                              ;   in Loop: Header=BB99_24 Depth=1
	s_or_b64 exec, exec, s[4:5]
.LBB99_23:                              ;   in Loop: Header=BB99_24 Depth=1
	s_add_i32 s41, s41, 1
	s_cmp_eq_u32 s8, s41
	v_add_u32_e32 v22, 4, v22
	s_cbranch_scc1 .LBB99_35
.LBB99_24:                              ; =>This Inner Loop Header: Depth=1
	s_and_b32 s4, s41, 63
	s_cmp_lg_u32 s4, 0
	s_cbranch_scc1 .LBB99_26
; %bb.25:                               ;   in Loop: Header=BB99_24 Depth=1
	s_mov_b32 s27, s31
	buffer_load_dword v8, v22, s[24:27], 0 offen
	s_waitcnt vmcnt(0)
	v_lshlrev_b32_e32 v8, 2, v8
	ds_read_b32 v21, v8
.LBB99_26:                              ;   in Loop: Header=BB99_24 Depth=1
	s_waitcnt lgkmcnt(0)
	v_readlane_b32 s28, v21, s4
	s_cmp_lt_i32 s28, 0
	s_cbranch_scc1 .LBB99_23
; %bb.27:                               ;   in Loop: Header=BB99_24 Depth=1
	s_add_i32 s27, s40, s41
	s_abs_i32 s36, s27
	s_mul_hi_u32 s5, s36, s42
	s_mul_i32 s7, s5, s34
	s_ashr_i32 s37, s27, 31
	s_sub_i32 s7, s36, s7
	s_xor_b32 s4, s37, s33
	s_add_i32 s29, s5, 1
	s_sub_i32 s39, s7, s34
	s_cmp_ge_u32 s7, s34
	s_cselect_b32 s5, s29, s5
	s_cselect_b32 s7, s39, s7
	s_add_i32 s29, s5, 1
	s_cmp_ge_u32 s7, s34
	s_cselect_b32 s5, s29, s5
	s_xor_b32 s5, s5, s4
	s_sub_i32 s4, s5, s4
	s_mul_i32 s5, s4, s10
	s_sub_i32 s5, s27, s5
	s_mul_i32 s29, s5, s12
	s_mul_i32 s4, s4, s11
	s_add_i32 s29, s29, s4
	s_cmp_eq_u32 s29, s43
	s_cbranch_scc1 .LBB99_29
; %bb.28:                               ;   in Loop: Header=BB99_24 Depth=1
	s_mul_hi_i32 s5, s29, s15
	s_mul_i32 s4, s29, s15
	s_lshl_b64 s[4:5], s[4:5], 1
	s_add_u32 s4, s20, s4
	s_addc_u32 s5, s21, s5
	s_and_b32 s5, s5, 0xffff
	s_mov_b32 s7, s31
	buffer_load_dwordx4 v[6:9], v16, s[4:7], 0 offen
	s_mov_b32 s43, s29
	s_waitcnt vmcnt(0)
	v_cvt_f32_u32_sdwa v1, v6 dst_sel:DWORD dst_unused:UNUSED_PAD src0_sel:WORD_1
	v_cvt_f32_u32_sdwa v0, v6 dst_sel:DWORD dst_unused:UNUSED_PAD src0_sel:WORD_0
	v_cvt_f32_u32_sdwa v3, v7 dst_sel:DWORD dst_unused:UNUSED_PAD src0_sel:WORD_1
	v_cvt_f32_u32_sdwa v2, v7 dst_sel:DWORD dst_unused:UNUSED_PAD src0_sel:WORD_0
	v_cvt_f32_u32_sdwa v5, v8 dst_sel:DWORD dst_unused:UNUSED_PAD src0_sel:WORD_1
	v_cvt_f32_u32_sdwa v4, v8 dst_sel:DWORD dst_unused:UNUSED_PAD src0_sel:WORD_0
	v_cvt_f32_u32_sdwa v7, v9 dst_sel:DWORD dst_unused:UNUSED_PAD src0_sel:WORD_1
	v_cvt_f32_u32_sdwa v6, v9 dst_sel:DWORD dst_unused:UNUSED_PAD src0_sel:WORD_0
.LBB99_29:                              ;   in Loop: Header=BB99_24 Depth=1
	s_mul_i32 s4, s28, s35
	s_ashr_i32 s5, s4, 31
	s_lshl_b64 s[4:5], s[4:5], 2
	s_add_u32 s28, s22, s4
	s_addc_u32 s4, s23, s5
	s_and_b32 s29, s4, 0xffff
	buffer_load_dwordx4 v[8:11], v17, s[28:31], 0 offen
	buffer_load_dwordx4 v[12:15], v17, s[28:31], 16 offen
	s_waitcnt vmcnt(1)
	v_pk_mul_f32 v[8:9], v[0:1], v[8:9]
	v_pk_mul_f32 v[10:11], v[2:3], v[10:11]
	v_max3_f32 v24, |v8|, s46, |v9|
	s_waitcnt vmcnt(0)
	v_pk_mul_f32 v[12:13], v[4:5], v[12:13]
	v_max3_f32 v24, v24, |v10|, |v11|
	v_pk_mul_f32 v[14:15], v[6:7], v[14:15]
	v_max3_f32 v24, v24, |v12|, |v13|
	v_max3_f32 v24, v24, |v14|, |v15|
	s_nop 1
	v_mov_b32_dpp v25, v24 quad_perm:[1,0,3,2] row_mask:0xf bank_mask:0xf
	v_cmp_gt_f32_e64 s[4:5], v24, v25
	v_cndmask_b32_e64 v24, v25, v24, s[4:5]
	s_nop 1
	v_mov_b32_dpp v25, v24 quad_perm:[2,3,0,1] row_mask:0xf bank_mask:0xf
	v_cmp_gt_f32_e64 s[4:5], v24, v25
	v_cndmask_b32_e64 v24, v25, v24, s[4:5]
	s_nop 1
	v_mov_b32_dpp v25, v24 row_half_mirror row_mask:0xf bank_mask:0xf
	v_cmp_gt_f32_e64 s[4:5], v24, v25
	v_cndmask_b32_e64 v24, v25, v24, s[4:5]
	s_nop 1
	v_mov_b32_dpp v25, v24 row_mirror row_mask:0xf bank_mask:0xf
	v_cmp_gt_f32_e64 s[4:5], v24, v25
	v_cndmask_b32_e64 v24, v25, v24, s[4:5]
	s_nop 1
	v_mov_b32_dpp v25, v24 row_bcast:15 row_mask:0xf bank_mask:0xf
	v_cmp_gt_f32_e64 s[4:5], v24, v25
	v_cndmask_b32_e64 v24, v25, v24, s[4:5]
	s_nop 1
	v_mov_b32_dpp v25, v24 row_bcast:31 row_mask:0xf bank_mask:0xf
	s_and_saveexec_b64 s[28:29], s[0:1]
	s_cbranch_execz .LBB99_31
; %bb.30:                               ;   in Loop: Header=BB99_24 Depth=1
	v_cmp_gt_f32_e64 s[4:5], v24, v25
	v_cndmask_b32_e64 v24, v25, v24, s[4:5]
	ds_write_b32 v18, v24
.LBB99_31:                              ;   in Loop: Header=BB99_24 Depth=1
	s_or_b64 exec, exec, s[28:29]
	s_waitcnt lgkmcnt(0)
	s_barrier
	ds_read_b32 v24, v19
	s_waitcnt lgkmcnt(0)
	s_nop 0
	v_mov_b32_dpp v25, v24 quad_perm:[1,0,3,2] row_mask:0xf bank_mask:0xf
	v_cmp_gt_f32_e64 s[4:5], v24, v25
	v_cndmask_b32_e64 v24, v25, v24, s[4:5]
	s_nop 1
	v_mov_b32_dpp v25, v24 quad_perm:[2,3,0,1] row_mask:0xf bank_mask:0xf
	v_cmp_gt_f32_e64 s[4:5], v24, v25
	v_cndmask_b32_e64 v24, v25, v24, s[4:5]
	s_mul_hi_u32 s5, s36, s47
	s_mul_i32 s7, s5, s44
	s_sub_i32 s7, s36, s7
	s_xor_b32 s4, s37, s45
	s_add_i32 s28, s5, 1
	s_sub_i32 s29, s7, s44
	s_cmp_ge_u32 s7, s44
	s_cselect_b32 s5, s28, s5
	s_cselect_b32 s7, s29, s7
	s_add_i32 s28, s5, 1
	s_cmp_ge_u32 s7, s44
	s_cselect_b32 s5, s28, s5
	s_xor_b32 s5, s5, s4
	s_sub_i32 s4, s5, s4
	s_mul_i32 s5, s4, s9
	s_sub_i32 s5, s27, s5
	s_mul_i32 s5, s5, s14
	s_mul_i32 s4, s4, s13
	v_mul_f32_e32 v24, 0x3c010204, v24
	s_add_i32 s28, s5, s4
	s_and_saveexec_b64 s[4:5], vcc
	s_cbranch_execz .LBB99_33
; %bb.32:                               ;   in Loop: Header=BB99_24 Depth=1
	s_ashr_i32 s29, s28, 31
	s_lshl_b64 s[36:37], s[28:29], 2
	s_add_u32 s36, s18, s36
	s_addc_u32 s37, s19, s37
	global_store_dword v23, v24, s[36:37]
.LBB99_33:                              ;   in Loop: Header=BB99_24 Depth=1
	s_or_b64 exec, exec, s[4:5]
	s_and_saveexec_b64 s[4:5], s[2:3]
	s_cbranch_execz .LBB99_22
; %bb.34:                               ;   in Loop: Header=BB99_24 Depth=1
	v_rcp_f32_e32 v24, v24
	s_mul_i32 s27, s28, s15
	s_mul_hi_i32 s7, s28, s15
	s_add_u32 s36, s16, s27
	v_mov_b32_e32 v25, v24
	;;#ASMSTART
	v_pk_mul_f32 v[8:9], v[8:9], v[24:25]
	;;#ASMEND
	v_cvt_i32_f32_e32 v26, v8
	v_cvt_i32_f32_sdwa v27, v9 dst_sel:BYTE_1 dst_unused:UNUSED_PAD src0_sel:DWORD
	;;#ASMSTART
	v_pk_mul_f32 v[8:9], v[10:11], v[24:25]
	;;#ASMEND
	v_cvt_i32_f32_e32 v10, v8
	v_cvt_i32_f32_sdwa v11, v9 dst_sel:BYTE_1 dst_unused:UNUSED_PAD src0_sel:DWORD
	;; [unrolled: 5-line block ×4, first 2 shown]
	v_or_b32_sdwa v8, v26, v27 dst_sel:DWORD dst_unused:UNUSED_PAD src0_sel:BYTE_0 src1_sel:DWORD
	v_or_b32_sdwa v10, v10, v11 dst_sel:WORD_1 dst_unused:UNUSED_PAD src0_sel:BYTE_0 src1_sel:DWORD
	s_addc_u32 s7, s17, s7
	v_or_b32_sdwa v8, v8, v10 dst_sel:DWORD dst_unused:UNUSED_PAD src0_sel:WORD_0 src1_sel:DWORD
	v_or_b32_sdwa v10, v12, v13 dst_sel:DWORD dst_unused:UNUSED_PAD src0_sel:BYTE_0 src1_sel:DWORD
	v_or_b32_sdwa v9, v14, v9 dst_sel:WORD_1 dst_unused:UNUSED_PAD src0_sel:BYTE_0 src1_sel:DWORD
	s_and_b32 s37, s7, 0xffff
	s_mov_b32 s39, s31
	v_or_b32_sdwa v9, v10, v9 dst_sel:DWORD dst_unused:UNUSED_PAD src0_sel:WORD_0 src1_sel:DWORD
	buffer_store_dwordx2 v[8:9], v20, s[36:39], 0 offen
	;;#ASMSTART
	s_nop 0
	;;#ASMEND
	s_branch .LBB99_22
.LBB99_35:
	s_endpgm
	.section	.rodata,"a",@progbits
	.p2align	6, 0x0
	.amdhsa_kernel _ZN5aiter36smooth_per_token_scaled_quant_kernelItaLi256ELi8ELb1ELb1ELb1ELi1024EEEvPT0_PfPT_S3_PiS6_iiPKiiiiiiiii
		.amdhsa_group_segment_fixed_size 4112
		.amdhsa_private_segment_fixed_size 0
		.amdhsa_kernarg_size 96
		.amdhsa_user_sgpr_count 6
		.amdhsa_user_sgpr_private_segment_buffer 1
		.amdhsa_user_sgpr_dispatch_ptr 0
		.amdhsa_user_sgpr_queue_ptr 0
		.amdhsa_user_sgpr_kernarg_segment_ptr 1
		.amdhsa_user_sgpr_dispatch_id 0
		.amdhsa_user_sgpr_flat_scratch_init 0
		.amdhsa_user_sgpr_kernarg_preload_length 0
		.amdhsa_user_sgpr_kernarg_preload_offset 0
		.amdhsa_user_sgpr_private_segment_size 0
		.amdhsa_uses_dynamic_stack 0
		.amdhsa_system_sgpr_private_segment_wavefront_offset 0
		.amdhsa_system_sgpr_workgroup_id_x 1
		.amdhsa_system_sgpr_workgroup_id_y 0
		.amdhsa_system_sgpr_workgroup_id_z 0
		.amdhsa_system_sgpr_workgroup_info 0
		.amdhsa_system_vgpr_workitem_id 0
		.amdhsa_next_free_vgpr 28
		.amdhsa_next_free_sgpr 48
		.amdhsa_accum_offset 28
		.amdhsa_reserve_vcc 1
		.amdhsa_reserve_flat_scratch 0
		.amdhsa_float_round_mode_32 0
		.amdhsa_float_round_mode_16_64 0
		.amdhsa_float_denorm_mode_32 3
		.amdhsa_float_denorm_mode_16_64 3
		.amdhsa_dx10_clamp 1
		.amdhsa_ieee_mode 1
		.amdhsa_fp16_overflow 0
		.amdhsa_tg_split 0
		.amdhsa_exception_fp_ieee_invalid_op 0
		.amdhsa_exception_fp_denorm_src 0
		.amdhsa_exception_fp_ieee_div_zero 0
		.amdhsa_exception_fp_ieee_overflow 0
		.amdhsa_exception_fp_ieee_underflow 0
		.amdhsa_exception_fp_ieee_inexact 0
		.amdhsa_exception_int_div_zero 0
	.end_amdhsa_kernel
	.section	.text._ZN5aiter36smooth_per_token_scaled_quant_kernelItaLi256ELi8ELb1ELb1ELb1ELi1024EEEvPT0_PfPT_S3_PiS6_iiPKiiiiiiiii,"axG",@progbits,_ZN5aiter36smooth_per_token_scaled_quant_kernelItaLi256ELi8ELb1ELb1ELb1ELi1024EEEvPT0_PfPT_S3_PiS6_iiPKiiiiiiiii,comdat
.Lfunc_end99:
	.size	_ZN5aiter36smooth_per_token_scaled_quant_kernelItaLi256ELi8ELb1ELb1ELb1ELi1024EEEvPT0_PfPT_S3_PiS6_iiPKiiiiiiiii, .Lfunc_end99-_ZN5aiter36smooth_per_token_scaled_quant_kernelItaLi256ELi8ELb1ELb1ELb1ELi1024EEEvPT0_PfPT_S3_PiS6_iiPKiiiiiiiii
                                        ; -- End function
	.section	.AMDGPU.csdata,"",@progbits
; Kernel info:
; codeLenInByte = 2768
; NumSgprs: 52
; NumVgprs: 28
; NumAgprs: 0
; TotalNumVgprs: 28
; ScratchSize: 0
; MemoryBound: 0
; FloatMode: 240
; IeeeMode: 1
; LDSByteSize: 4112 bytes/workgroup (compile time only)
; SGPRBlocks: 6
; VGPRBlocks: 3
; NumSGPRsForWavesPerEU: 52
; NumVGPRsForWavesPerEU: 28
; AccumOffset: 28
; Occupancy: 8
; WaveLimiterHint : 0
; COMPUTE_PGM_RSRC2:SCRATCH_EN: 0
; COMPUTE_PGM_RSRC2:USER_SGPR: 6
; COMPUTE_PGM_RSRC2:TRAP_HANDLER: 0
; COMPUTE_PGM_RSRC2:TGID_X_EN: 1
; COMPUTE_PGM_RSRC2:TGID_Y_EN: 0
; COMPUTE_PGM_RSRC2:TGID_Z_EN: 0
; COMPUTE_PGM_RSRC2:TIDIG_COMP_CNT: 0
; COMPUTE_PGM_RSRC3_GFX90A:ACCUM_OFFSET: 6
; COMPUTE_PGM_RSRC3_GFX90A:TG_SPLIT: 0
	.section	.text._ZN5aiter36smooth_per_token_scaled_quant_kernelIDF16_aLi256ELi8ELb1ELb1ELb0ELi1024EEEvPT0_PfPT_S3_PiS6_iiPKiiiiiiiii,"axG",@progbits,_ZN5aiter36smooth_per_token_scaled_quant_kernelIDF16_aLi256ELi8ELb1ELb1ELb0ELi1024EEEvPT0_PfPT_S3_PiS6_iiPKiiiiiiiii,comdat
	.protected	_ZN5aiter36smooth_per_token_scaled_quant_kernelIDF16_aLi256ELi8ELb1ELb1ELb0ELi1024EEEvPT0_PfPT_S3_PiS6_iiPKiiiiiiiii ; -- Begin function _ZN5aiter36smooth_per_token_scaled_quant_kernelIDF16_aLi256ELi8ELb1ELb1ELb0ELi1024EEEvPT0_PfPT_S3_PiS6_iiPKiiiiiiiii
	.globl	_ZN5aiter36smooth_per_token_scaled_quant_kernelIDF16_aLi256ELi8ELb1ELb1ELb0ELi1024EEEvPT0_PfPT_S3_PiS6_iiPKiiiiiiiii
	.p2align	8
	.type	_ZN5aiter36smooth_per_token_scaled_quant_kernelIDF16_aLi256ELi8ELb1ELb1ELb0ELi1024EEEvPT0_PfPT_S3_PiS6_iiPKiiiiiiiii,@function
_ZN5aiter36smooth_per_token_scaled_quant_kernelIDF16_aLi256ELi8ELb1ELb1ELb0ELi1024EEEvPT0_PfPT_S3_PiS6_iiPKiiiiiiiii: ; @_ZN5aiter36smooth_per_token_scaled_quant_kernelIDF16_aLi256ELi8ELb1ELb1ELb0ELi1024EEEvPT0_PfPT_S3_PiS6_iiPKiiiiiiiii
; %bb.0:
	s_load_dwordx2 s[2:3], s[4:5], 0x38
	s_load_dwordx8 s[8:15], s[4:5], 0x40
	s_mov_b64 s[0:1], 0
	s_waitcnt lgkmcnt(0)
	s_cmp_lg_u64 s[2:3], 0
	s_cbranch_scc0 .LBB100_11
; %bb.1:
	s_load_dword s2, s[2:3], 0x0
	s_waitcnt lgkmcnt(0)
	s_mul_i32 s2, s2, s8
	s_andn2_b64 vcc, exec, s[0:1]
	s_cbranch_vccnz .LBB100_3
.LBB100_2:
	s_mul_i32 s2, s10, s9
.LBB100_3:
	s_load_dwordx2 s[34:35], s[4:5], 0x30
	s_abs_i32 s1, s2
	s_waitcnt lgkmcnt(0)
	s_abs_i32 s0, s34
	v_cvt_f32_u32_e32 v1, s0
	s_sub_i32 s7, 0, s0
	s_xor_b32 s3, s2, s34
	s_ashr_i32 s3, s3, 31
	v_rcp_iflag_f32_e32 v1, v1
	v_mul_f32_e32 v1, 0x4f7ffffe, v1
	v_cvt_u32_f32_e32 v1, v1
	v_readfirstlane_b32 s8, v1
	s_mul_i32 s7, s7, s8
	s_mul_hi_u32 s7, s8, s7
	s_add_i32 s8, s8, s7
	s_mul_hi_u32 s7, s1, s8
	s_mul_i32 s8, s7, s0
	s_sub_i32 s1, s1, s8
	s_add_i32 s15, s7, 1
	s_sub_i32 s8, s1, s0
	s_cmp_ge_u32 s1, s0
	s_cselect_b32 s7, s15, s7
	s_cselect_b32 s1, s8, s1
	s_add_i32 s8, s7, 1
	s_cmp_ge_u32 s1, s0
	s_cselect_b32 s0, s8, s7
	s_xor_b32 s0, s0, s3
	s_sub_i32 s8, s0, s3
	s_mul_i32 s0, s8, s34
	s_sub_i32 s2, s2, s0
	s_cmp_lt_u32 s6, s2
	s_cselect_b64 s[0:1], -1, 0
	s_add_i32 s7, s8, 1
	s_cmp_ge_u32 s6, s2
	s_cbranch_scc0 .LBB100_5
; %bb.4:
	s_mul_i32 s3, s2, s7
	s_sub_i32 s2, s6, s2
	s_mul_i32 s2, s2, s8
	s_add_i32 s40, s2, s3
	s_cbranch_execz .LBB100_6
	s_branch .LBB100_7
.LBB100_5:
                                        ; implicit-def: $sgpr40
.LBB100_6:
	s_mul_i32 s40, s7, s6
.LBB100_7:
	v_cndmask_b32_e64 v1, 0, 1, s[0:1]
	v_readfirstlane_b32 s0, v1
	s_add_i32 s8, s8, s0
	s_cmp_lt_i32 s8, 1
	s_cbranch_scc1 .LBB100_35
; %bb.8:
	s_load_dwordx2 s[0:1], s[4:5], 0x20
	s_ashr_i32 s41, s40, 31
	s_lshl_b64 s[2:3], s[40:41], 2
	v_and_b32_e32 v1, 63, v0
	s_mov_b32 s27, 0x20000
	s_waitcnt lgkmcnt(0)
	s_add_u32 s24, s0, s2
	s_addc_u32 s0, s1, s3
	s_lshl_b32 s26, s8, 2
	s_and_b32 s25, s0, 0xffff
	v_lshlrev_b32_e32 v22, 2, v1
	buffer_load_dword v17, v22, s[24:27], 0 offen
	v_cmp_eq_u32_e32 vcc, 63, v1
	v_lshrrev_b32_e32 v1, 4, v0
	v_and_b32_e32 v19, 60, v1
	v_and_b32_e32 v1, 3, v0
	s_abs_i32 s33, s10
	v_lshlrev_b32_e32 v20, 2, v1
	v_cvt_f32_u32_e32 v1, s33
	s_add_i32 s2, s35, 7
	s_ashr_i32 s3, s2, 31
	s_lshr_b32 s3, s3, 29
	v_rcp_iflag_f32_e32 v1, v1
	s_add_i32 s2, s2, s3
	s_ashr_i32 s2, s2, 3
	v_lshlrev_b32_e32 v16, 4, v0
	v_lshlrev_b32_e32 v18, 5, v0
	v_cmp_eq_u32_e64 s[0:1], 0, v0
	v_cmp_gt_u32_e64 s[2:3], s2, v0
	v_lshlrev_b32_e32 v21, 3, v0
	v_mul_f32_e32 v0, 0x4f7ffffe, v1
	s_load_dwordx8 s[16:23], s[4:5], 0x0
	s_add_i32 s4, s35, 3
	v_cvt_u32_f32_e32 v0, v0
	s_ashr_i32 s5, s4, 31
	s_lshr_b32 s5, s5, 30
	s_add_i32 s4, s4, s5
	s_and_b32 s38, s4, -4
	s_sub_i32 s4, 0, s33
	v_readfirstlane_b32 s42, v0
	s_mul_i32 s4, s4, s42
	s_mul_hi_u32 s4, s42, s4
	s_lshl_b32 s6, s35, 1
	s_lshl_b32 s30, s35, 2
	s_ashr_i32 s34, s10, 31
	s_add_i32 s42, s42, s4
	s_mov_b32 s15, s35
	s_waitcnt vmcnt(0) lgkmcnt(0)
	s_barrier
	v_readlane_b32 s28, v17, 0
	s_cmp_lt_i32 s28, 0
	s_cbranch_scc1 .LBB100_12
; %bb.9:
	s_abs_i32 s27, s40
	s_mul_hi_u32 s4, s27, s42
	s_mul_i32 s7, s4, s33
	s_sub_i32 s7, s27, s7
	s_xor_b32 s5, s41, s34
	s_add_i32 s29, s4, 1
	s_sub_i32 s31, s7, s33
	s_cmp_ge_u32 s7, s33
	s_cselect_b32 s4, s29, s4
	s_cselect_b32 s7, s31, s7
	s_add_i32 s29, s4, 1
	s_cmp_ge_u32 s7, s33
	s_cselect_b32 s4, s29, s4
	s_xor_b32 s4, s4, s5
	s_sub_i32 s4, s4, s5
	s_mul_i32 s5, s4, s10
	s_sub_i32 s5, s40, s5
	s_mul_i32 s5, s5, s12
	s_mul_i32 s4, s4, s11
	s_add_i32 s43, s5, s4
	s_cmp_eq_u32 s43, -1
	s_cbranch_scc1 .LBB100_13
; %bb.10:
	s_mul_hi_i32 s5, s43, s15
	s_mul_i32 s4, s43, s15
	s_lshl_b64 s[4:5], s[4:5], 1
	s_add_u32 s4, s20, s4
	s_addc_u32 s5, s21, s5
	s_and_b32 s5, s5, 0xffff
	s_mov_b32 s7, 0x20000
	buffer_load_dwordx4 v[4:7], v16, s[4:7], 0 offen
	s_waitcnt vmcnt(0)
	v_cvt_f32_f16_e32 v0, v4
	v_cvt_f32_f16_sdwa v1, v4 dst_sel:DWORD dst_unused:UNUSED_PAD src0_sel:WORD_1
	v_cvt_f32_f16_e32 v2, v5
	v_cvt_f32_f16_sdwa v3, v5 dst_sel:DWORD dst_unused:UNUSED_PAD src0_sel:WORD_1
	;; [unrolled: 2-line block ×4, first 2 shown]
	s_branch .LBB100_14
.LBB100_11:
                                        ; implicit-def: $sgpr2
	s_branch .LBB100_2
.LBB100_12:
	s_mov_b32 s43, -1
                                        ; implicit-def: $vgpr0_vgpr1_vgpr2_vgpr3_vgpr4_vgpr5_vgpr6_vgpr7
	s_cmp_eq_u32 s8, 1
	s_mov_b32 s41, 1
	s_cbranch_scc0 .LBB100_21
	s_branch .LBB100_35
.LBB100_13:
                                        ; implicit-def: $vgpr0_vgpr1_vgpr2_vgpr3_vgpr4_vgpr5_vgpr6_vgpr7
.LBB100_14:
	s_mul_i32 s4, s28, s35
	s_ashr_i32 s5, s4, 31
	s_lshl_b64 s[4:5], s[4:5], 2
	s_add_u32 s28, s22, s4
	s_addc_u32 s4, s23, s5
	s_and_b32 s29, s4, 0xffff
	s_mov_b32 s31, 0x20000
	buffer_load_dwordx4 v[8:11], v18, s[28:31], 0 offen
	buffer_load_dwordx4 v[12:15], v18, s[28:31], 16 offen
	s_mov_b32 s4, 0x2edbe6ff
	s_waitcnt vmcnt(1)
	v_pk_mul_f32 v[8:9], v[0:1], v[8:9]
	v_pk_mul_f32 v[10:11], v[2:3], v[10:11]
	v_max3_f32 v23, |v8|, s4, |v9|
	s_waitcnt vmcnt(0)
	v_pk_mul_f32 v[12:13], v[4:5], v[12:13]
	v_max3_f32 v23, v23, |v10|, |v11|
	v_pk_mul_f32 v[14:15], v[6:7], v[14:15]
	v_max3_f32 v23, v23, |v12|, |v13|
	v_max3_f32 v23, v23, |v14|, |v15|
	s_nop 1
	v_mov_b32_dpp v24, v23 quad_perm:[1,0,3,2] row_mask:0xf bank_mask:0xf
	v_cmp_gt_f32_e64 s[4:5], v23, v24
	v_cndmask_b32_e64 v23, v24, v23, s[4:5]
	s_nop 1
	v_mov_b32_dpp v24, v23 quad_perm:[2,3,0,1] row_mask:0xf bank_mask:0xf
	v_cmp_gt_f32_e64 s[4:5], v23, v24
	v_cndmask_b32_e64 v23, v24, v23, s[4:5]
	s_nop 1
	v_mov_b32_dpp v24, v23 row_half_mirror row_mask:0xf bank_mask:0xf
	v_cmp_gt_f32_e64 s[4:5], v23, v24
	v_cndmask_b32_e64 v23, v24, v23, s[4:5]
	s_nop 1
	v_mov_b32_dpp v24, v23 row_mirror row_mask:0xf bank_mask:0xf
	v_cmp_gt_f32_e64 s[4:5], v23, v24
	v_cndmask_b32_e64 v23, v24, v23, s[4:5]
	s_nop 1
	v_mov_b32_dpp v24, v23 row_bcast:15 row_mask:0xf bank_mask:0xf
	v_cmp_gt_f32_e64 s[4:5], v23, v24
	v_cndmask_b32_e64 v23, v24, v23, s[4:5]
	s_nop 1
	v_mov_b32_dpp v24, v23 row_bcast:31 row_mask:0xf bank_mask:0xf
	s_and_saveexec_b64 s[28:29], vcc
	s_cbranch_execz .LBB100_16
; %bb.15:
	v_cmp_gt_f32_e64 s[4:5], v23, v24
	v_cndmask_b32_e64 v23, v24, v23, s[4:5]
	ds_write_b32 v19, v23
.LBB100_16:
	s_or_b64 exec, exec, s[28:29]
	s_waitcnt lgkmcnt(0)
	s_barrier
	ds_read_b32 v23, v20
	s_abs_i32 s7, s9
	v_cvt_f32_u32_e32 v25, s7
	s_waitcnt lgkmcnt(0)
	v_mov_b32_dpp v24, v23 quad_perm:[1,0,3,2] row_mask:0xf bank_mask:0xf
	v_cmp_gt_f32_e64 s[4:5], v23, v24
	v_rcp_iflag_f32_e32 v25, v25
	v_cndmask_b32_e64 v23, v24, v23, s[4:5]
	s_nop 1
	v_mov_b32_dpp v24, v23 quad_perm:[2,3,0,1] row_mask:0xf bank_mask:0xf
	v_cmp_gt_f32_e64 s[4:5], v23, v24
	v_cndmask_b32_e64 v23, v24, v23, s[4:5]
	v_mul_f32_e32 v24, 0x4f7ffffe, v25
	v_cvt_u32_f32_e32 v24, v24
	s_sub_i32 s5, 0, s7
	s_ashr_i32 s4, s9, 31
	s_xor_b32 s4, s41, s4
	v_readfirstlane_b32 s28, v24
	s_mul_i32 s5, s5, s28
	s_mul_hi_u32 s5, s28, s5
	s_add_i32 s28, s28, s5
	s_mul_hi_u32 s5, s27, s28
	s_mul_i32 s28, s5, s7
	s_sub_i32 s27, s27, s28
	s_add_i32 s28, s5, 1
	s_sub_i32 s29, s27, s7
	s_cmp_ge_u32 s27, s7
	s_cselect_b32 s5, s28, s5
	s_cselect_b32 s27, s29, s27
	s_add_i32 s28, s5, 1
	s_cmp_ge_u32 s27, s7
	s_cselect_b32 s5, s28, s5
	s_xor_b32 s5, s5, s4
	s_sub_i32 s4, s5, s4
	s_mul_i32 s5, s4, s9
	s_sub_i32 s5, s40, s5
	s_mul_i32 s5, s5, s14
	s_mul_i32 s4, s4, s13
	v_mul_f32_e32 v23, 0x3c010204, v23
	s_add_i32 s28, s5, s4
	s_and_saveexec_b64 s[4:5], s[0:1]
	s_cbranch_execz .LBB100_18
; %bb.17:
	s_ashr_i32 s29, s28, 31
	s_lshl_b64 s[36:37], s[28:29], 2
	s_add_u32 s36, s18, s36
	s_addc_u32 s37, s19, s37
	v_mov_b32_e32 v24, 0
	global_store_dword v24, v23, s[36:37]
.LBB100_18:
	s_or_b64 exec, exec, s[4:5]
	s_and_saveexec_b64 s[4:5], s[2:3]
	s_cbranch_execz .LBB100_20
; %bb.19:
	v_rcp_f32_e32 v24, v23
	s_mul_i32 s27, s28, s15
	s_mul_hi_i32 s7, s28, s15
	s_add_u32 s36, s16, s27
	v_mov_b32_e32 v25, v24
	;;#ASMSTART
	v_pk_mul_f32 v[8:9], v[8:9], v[24:25]
	;;#ASMEND
	v_cvt_i32_f32_e32 v23, v8
	v_cvt_i32_f32_sdwa v26, v9 dst_sel:BYTE_1 dst_unused:UNUSED_PAD src0_sel:DWORD
	;;#ASMSTART
	v_pk_mul_f32 v[8:9], v[10:11], v[24:25]
	;;#ASMEND
	v_cvt_i32_f32_e32 v10, v8
	v_cvt_i32_f32_sdwa v11, v9 dst_sel:BYTE_1 dst_unused:UNUSED_PAD src0_sel:DWORD
	;; [unrolled: 5-line block ×4, first 2 shown]
	v_or_b32_sdwa v8, v23, v26 dst_sel:DWORD dst_unused:UNUSED_PAD src0_sel:BYTE_0 src1_sel:DWORD
	v_or_b32_sdwa v10, v10, v11 dst_sel:WORD_1 dst_unused:UNUSED_PAD src0_sel:BYTE_0 src1_sel:DWORD
	s_addc_u32 s7, s17, s7
	v_or_b32_sdwa v8, v8, v10 dst_sel:DWORD dst_unused:UNUSED_PAD src0_sel:WORD_0 src1_sel:DWORD
	v_or_b32_sdwa v10, v12, v13 dst_sel:DWORD dst_unused:UNUSED_PAD src0_sel:BYTE_0 src1_sel:DWORD
	v_or_b32_sdwa v9, v14, v9 dst_sel:WORD_1 dst_unused:UNUSED_PAD src0_sel:BYTE_0 src1_sel:DWORD
	s_and_b32 s37, s7, 0xffff
	s_mov_b32 s39, 0x20000
	v_or_b32_sdwa v9, v10, v9 dst_sel:DWORD dst_unused:UNUSED_PAD src0_sel:WORD_0 src1_sel:DWORD
	buffer_store_dwordx2 v[8:9], v21, s[36:39], 0 offen
	;;#ASMSTART
	s_nop 0
	;;#ASMEND
.LBB100_20:
	s_or_b64 exec, exec, s[4:5]
	s_cmp_eq_u32 s8, 1
	s_mov_b32 s41, 1
	s_cbranch_scc1 .LBB100_35
.LBB100_21:
	s_abs_i32 s44, s9
	v_cvt_f32_u32_e32 v8, s44
	s_sub_i32 s4, 0, s44
	s_ashr_i32 s45, s9, 31
	v_add_u32_e32 v22, 4, v22
	v_rcp_iflag_f32_e32 v8, v8
	s_mov_b32 s31, 0x20000
	s_mov_b32 s46, 0x2edbe6ff
	v_mov_b32_e32 v23, 0
	v_mul_f32_e32 v8, 0x4f7ffffe, v8
	v_cvt_u32_f32_e32 v8, v8
	v_readfirstlane_b32 s5, v8
	s_mul_i32 s4, s4, s5
	s_mul_hi_u32 s4, s5, s4
	s_add_i32 s47, s5, s4
	s_branch .LBB100_24
.LBB100_22:                             ;   in Loop: Header=BB100_24 Depth=1
	s_or_b64 exec, exec, s[4:5]
.LBB100_23:                             ;   in Loop: Header=BB100_24 Depth=1
	s_add_i32 s41, s41, 1
	s_cmp_eq_u32 s8, s41
	v_add_u32_e32 v22, 4, v22
	s_cbranch_scc1 .LBB100_35
.LBB100_24:                             ; =>This Inner Loop Header: Depth=1
	s_and_b32 s4, s41, 63
	s_cmp_lg_u32 s4, 0
	s_cbranch_scc1 .LBB100_26
; %bb.25:                               ;   in Loop: Header=BB100_24 Depth=1
	s_mov_b32 s27, s31
	buffer_load_dword v17, v22, s[24:27], 0 offen
	s_waitcnt vmcnt(0)
.LBB100_26:                             ;   in Loop: Header=BB100_24 Depth=1
	v_readlane_b32 s28, v17, s4
	s_cmp_lt_i32 s28, 0
	s_cbranch_scc1 .LBB100_23
; %bb.27:                               ;   in Loop: Header=BB100_24 Depth=1
	s_add_i32 s27, s40, s41
	s_abs_i32 s36, s27
	s_mul_hi_u32 s5, s36, s42
	s_mul_i32 s7, s5, s33
	s_ashr_i32 s37, s27, 31
	s_sub_i32 s7, s36, s7
	s_xor_b32 s4, s37, s34
	s_add_i32 s29, s5, 1
	s_sub_i32 s39, s7, s33
	s_cmp_ge_u32 s7, s33
	s_cselect_b32 s5, s29, s5
	s_cselect_b32 s7, s39, s7
	s_add_i32 s29, s5, 1
	s_cmp_ge_u32 s7, s33
	s_cselect_b32 s5, s29, s5
	s_xor_b32 s5, s5, s4
	s_sub_i32 s4, s5, s4
	s_mul_i32 s5, s4, s10
	s_sub_i32 s5, s27, s5
	s_mul_i32 s29, s5, s12
	s_mul_i32 s4, s4, s11
	s_add_i32 s29, s29, s4
	s_cmp_eq_u32 s29, s43
	s_cbranch_scc1 .LBB100_29
; %bb.28:                               ;   in Loop: Header=BB100_24 Depth=1
	s_mul_hi_i32 s5, s29, s15
	s_mul_i32 s4, s29, s15
	s_lshl_b64 s[4:5], s[4:5], 1
	s_add_u32 s4, s20, s4
	s_addc_u32 s5, s21, s5
	s_and_b32 s5, s5, 0xffff
	s_mov_b32 s7, s31
	buffer_load_dwordx4 v[4:7], v16, s[4:7], 0 offen
	s_mov_b32 s43, s29
	s_waitcnt vmcnt(0)
	v_cvt_f32_f16_e32 v0, v4
	v_cvt_f32_f16_sdwa v1, v4 dst_sel:DWORD dst_unused:UNUSED_PAD src0_sel:WORD_1
	v_cvt_f32_f16_e32 v2, v5
	v_cvt_f32_f16_sdwa v3, v5 dst_sel:DWORD dst_unused:UNUSED_PAD src0_sel:WORD_1
	;; [unrolled: 2-line block ×4, first 2 shown]
.LBB100_29:                             ;   in Loop: Header=BB100_24 Depth=1
	s_mul_i32 s4, s28, s35
	s_ashr_i32 s5, s4, 31
	s_lshl_b64 s[4:5], s[4:5], 2
	s_add_u32 s28, s22, s4
	s_addc_u32 s4, s23, s5
	s_and_b32 s29, s4, 0xffff
	buffer_load_dwordx4 v[8:11], v18, s[28:31], 0 offen
	buffer_load_dwordx4 v[12:15], v18, s[28:31], 16 offen
	s_waitcnt vmcnt(1)
	v_pk_mul_f32 v[8:9], v[0:1], v[8:9]
	v_pk_mul_f32 v[10:11], v[2:3], v[10:11]
	v_max3_f32 v24, |v8|, s46, |v9|
	s_waitcnt vmcnt(0)
	v_pk_mul_f32 v[12:13], v[4:5], v[12:13]
	v_max3_f32 v24, v24, |v10|, |v11|
	v_pk_mul_f32 v[14:15], v[6:7], v[14:15]
	v_max3_f32 v24, v24, |v12|, |v13|
	v_max3_f32 v24, v24, |v14|, |v15|
	s_nop 1
	v_mov_b32_dpp v25, v24 quad_perm:[1,0,3,2] row_mask:0xf bank_mask:0xf
	v_cmp_gt_f32_e64 s[4:5], v24, v25
	v_cndmask_b32_e64 v24, v25, v24, s[4:5]
	s_nop 1
	v_mov_b32_dpp v25, v24 quad_perm:[2,3,0,1] row_mask:0xf bank_mask:0xf
	v_cmp_gt_f32_e64 s[4:5], v24, v25
	v_cndmask_b32_e64 v24, v25, v24, s[4:5]
	s_nop 1
	v_mov_b32_dpp v25, v24 row_half_mirror row_mask:0xf bank_mask:0xf
	v_cmp_gt_f32_e64 s[4:5], v24, v25
	v_cndmask_b32_e64 v24, v25, v24, s[4:5]
	s_nop 1
	v_mov_b32_dpp v25, v24 row_mirror row_mask:0xf bank_mask:0xf
	v_cmp_gt_f32_e64 s[4:5], v24, v25
	v_cndmask_b32_e64 v24, v25, v24, s[4:5]
	s_nop 1
	v_mov_b32_dpp v25, v24 row_bcast:15 row_mask:0xf bank_mask:0xf
	v_cmp_gt_f32_e64 s[4:5], v24, v25
	v_cndmask_b32_e64 v24, v25, v24, s[4:5]
	s_nop 1
	v_mov_b32_dpp v25, v24 row_bcast:31 row_mask:0xf bank_mask:0xf
	s_and_saveexec_b64 s[28:29], vcc
	s_cbranch_execz .LBB100_31
; %bb.30:                               ;   in Loop: Header=BB100_24 Depth=1
	v_cmp_gt_f32_e64 s[4:5], v24, v25
	v_cndmask_b32_e64 v24, v25, v24, s[4:5]
	ds_write_b32 v19, v24
.LBB100_31:                             ;   in Loop: Header=BB100_24 Depth=1
	s_or_b64 exec, exec, s[28:29]
	s_waitcnt lgkmcnt(0)
	s_barrier
	ds_read_b32 v24, v20
	s_waitcnt lgkmcnt(0)
	s_nop 0
	v_mov_b32_dpp v25, v24 quad_perm:[1,0,3,2] row_mask:0xf bank_mask:0xf
	v_cmp_gt_f32_e64 s[4:5], v24, v25
	v_cndmask_b32_e64 v24, v25, v24, s[4:5]
	s_nop 1
	v_mov_b32_dpp v25, v24 quad_perm:[2,3,0,1] row_mask:0xf bank_mask:0xf
	v_cmp_gt_f32_e64 s[4:5], v24, v25
	v_cndmask_b32_e64 v24, v25, v24, s[4:5]
	s_mul_hi_u32 s5, s36, s47
	s_mul_i32 s7, s5, s44
	s_sub_i32 s7, s36, s7
	s_xor_b32 s4, s37, s45
	s_add_i32 s28, s5, 1
	s_sub_i32 s29, s7, s44
	s_cmp_ge_u32 s7, s44
	s_cselect_b32 s5, s28, s5
	s_cselect_b32 s7, s29, s7
	s_add_i32 s28, s5, 1
	s_cmp_ge_u32 s7, s44
	s_cselect_b32 s5, s28, s5
	s_xor_b32 s5, s5, s4
	s_sub_i32 s4, s5, s4
	s_mul_i32 s5, s4, s9
	s_sub_i32 s5, s27, s5
	s_mul_i32 s5, s5, s14
	s_mul_i32 s4, s4, s13
	v_mul_f32_e32 v24, 0x3c010204, v24
	s_add_i32 s28, s5, s4
	s_and_saveexec_b64 s[4:5], s[0:1]
	s_cbranch_execz .LBB100_33
; %bb.32:                               ;   in Loop: Header=BB100_24 Depth=1
	s_ashr_i32 s29, s28, 31
	s_lshl_b64 s[36:37], s[28:29], 2
	s_add_u32 s36, s18, s36
	s_addc_u32 s37, s19, s37
	global_store_dword v23, v24, s[36:37]
.LBB100_33:                             ;   in Loop: Header=BB100_24 Depth=1
	s_or_b64 exec, exec, s[4:5]
	s_and_saveexec_b64 s[4:5], s[2:3]
	s_cbranch_execz .LBB100_22
; %bb.34:                               ;   in Loop: Header=BB100_24 Depth=1
	v_rcp_f32_e32 v24, v24
	s_mul_i32 s27, s28, s15
	s_mul_hi_i32 s7, s28, s15
	s_add_u32 s36, s16, s27
	v_mov_b32_e32 v25, v24
	;;#ASMSTART
	v_pk_mul_f32 v[8:9], v[8:9], v[24:25]
	;;#ASMEND
	v_cvt_i32_f32_e32 v26, v8
	v_cvt_i32_f32_sdwa v27, v9 dst_sel:BYTE_1 dst_unused:UNUSED_PAD src0_sel:DWORD
	;;#ASMSTART
	v_pk_mul_f32 v[8:9], v[10:11], v[24:25]
	;;#ASMEND
	v_cvt_i32_f32_e32 v10, v8
	v_cvt_i32_f32_sdwa v11, v9 dst_sel:BYTE_1 dst_unused:UNUSED_PAD src0_sel:DWORD
	;; [unrolled: 5-line block ×4, first 2 shown]
	v_or_b32_sdwa v8, v26, v27 dst_sel:DWORD dst_unused:UNUSED_PAD src0_sel:BYTE_0 src1_sel:DWORD
	v_or_b32_sdwa v10, v10, v11 dst_sel:WORD_1 dst_unused:UNUSED_PAD src0_sel:BYTE_0 src1_sel:DWORD
	s_addc_u32 s7, s17, s7
	v_or_b32_sdwa v8, v8, v10 dst_sel:DWORD dst_unused:UNUSED_PAD src0_sel:WORD_0 src1_sel:DWORD
	v_or_b32_sdwa v10, v12, v13 dst_sel:DWORD dst_unused:UNUSED_PAD src0_sel:BYTE_0 src1_sel:DWORD
	v_or_b32_sdwa v9, v14, v9 dst_sel:WORD_1 dst_unused:UNUSED_PAD src0_sel:BYTE_0 src1_sel:DWORD
	s_and_b32 s37, s7, 0xffff
	s_mov_b32 s39, s31
	v_or_b32_sdwa v9, v10, v9 dst_sel:DWORD dst_unused:UNUSED_PAD src0_sel:WORD_0 src1_sel:DWORD
	buffer_store_dwordx2 v[8:9], v21, s[36:39], 0 offen
	;;#ASMSTART
	s_nop 0
	;;#ASMEND
	s_branch .LBB100_22
.LBB100_35:
	s_endpgm
	.section	.rodata,"a",@progbits
	.p2align	6, 0x0
	.amdhsa_kernel _ZN5aiter36smooth_per_token_scaled_quant_kernelIDF16_aLi256ELi8ELb1ELb1ELb0ELi1024EEEvPT0_PfPT_S3_PiS6_iiPKiiiiiiiii
		.amdhsa_group_segment_fixed_size 16
		.amdhsa_private_segment_fixed_size 0
		.amdhsa_kernarg_size 96
		.amdhsa_user_sgpr_count 6
		.amdhsa_user_sgpr_private_segment_buffer 1
		.amdhsa_user_sgpr_dispatch_ptr 0
		.amdhsa_user_sgpr_queue_ptr 0
		.amdhsa_user_sgpr_kernarg_segment_ptr 1
		.amdhsa_user_sgpr_dispatch_id 0
		.amdhsa_user_sgpr_flat_scratch_init 0
		.amdhsa_user_sgpr_kernarg_preload_length 0
		.amdhsa_user_sgpr_kernarg_preload_offset 0
		.amdhsa_user_sgpr_private_segment_size 0
		.amdhsa_uses_dynamic_stack 0
		.amdhsa_system_sgpr_private_segment_wavefront_offset 0
		.amdhsa_system_sgpr_workgroup_id_x 1
		.amdhsa_system_sgpr_workgroup_id_y 0
		.amdhsa_system_sgpr_workgroup_id_z 0
		.amdhsa_system_sgpr_workgroup_info 0
		.amdhsa_system_vgpr_workitem_id 0
		.amdhsa_next_free_vgpr 28
		.amdhsa_next_free_sgpr 48
		.amdhsa_accum_offset 28
		.amdhsa_reserve_vcc 1
		.amdhsa_reserve_flat_scratch 0
		.amdhsa_float_round_mode_32 0
		.amdhsa_float_round_mode_16_64 0
		.amdhsa_float_denorm_mode_32 3
		.amdhsa_float_denorm_mode_16_64 3
		.amdhsa_dx10_clamp 1
		.amdhsa_ieee_mode 1
		.amdhsa_fp16_overflow 0
		.amdhsa_tg_split 0
		.amdhsa_exception_fp_ieee_invalid_op 0
		.amdhsa_exception_fp_denorm_src 0
		.amdhsa_exception_fp_ieee_div_zero 0
		.amdhsa_exception_fp_ieee_overflow 0
		.amdhsa_exception_fp_ieee_underflow 0
		.amdhsa_exception_fp_ieee_inexact 0
		.amdhsa_exception_int_div_zero 0
	.end_amdhsa_kernel
	.section	.text._ZN5aiter36smooth_per_token_scaled_quant_kernelIDF16_aLi256ELi8ELb1ELb1ELb0ELi1024EEEvPT0_PfPT_S3_PiS6_iiPKiiiiiiiii,"axG",@progbits,_ZN5aiter36smooth_per_token_scaled_quant_kernelIDF16_aLi256ELi8ELb1ELb1ELb0ELi1024EEEvPT0_PfPT_S3_PiS6_iiPKiiiiiiiii,comdat
.Lfunc_end100:
	.size	_ZN5aiter36smooth_per_token_scaled_quant_kernelIDF16_aLi256ELi8ELb1ELb1ELb0ELi1024EEEvPT0_PfPT_S3_PiS6_iiPKiiiiiiiii, .Lfunc_end100-_ZN5aiter36smooth_per_token_scaled_quant_kernelIDF16_aLi256ELi8ELb1ELb1ELb0ELi1024EEEvPT0_PfPT_S3_PiS6_iiPKiiiiiiiii
                                        ; -- End function
	.section	.AMDGPU.csdata,"",@progbits
; Kernel info:
; codeLenInByte = 2516
; NumSgprs: 52
; NumVgprs: 28
; NumAgprs: 0
; TotalNumVgprs: 28
; ScratchSize: 0
; MemoryBound: 0
; FloatMode: 240
; IeeeMode: 1
; LDSByteSize: 16 bytes/workgroup (compile time only)
; SGPRBlocks: 6
; VGPRBlocks: 3
; NumSGPRsForWavesPerEU: 52
; NumVGPRsForWavesPerEU: 28
; AccumOffset: 28
; Occupancy: 8
; WaveLimiterHint : 0
; COMPUTE_PGM_RSRC2:SCRATCH_EN: 0
; COMPUTE_PGM_RSRC2:USER_SGPR: 6
; COMPUTE_PGM_RSRC2:TRAP_HANDLER: 0
; COMPUTE_PGM_RSRC2:TGID_X_EN: 1
; COMPUTE_PGM_RSRC2:TGID_Y_EN: 0
; COMPUTE_PGM_RSRC2:TGID_Z_EN: 0
; COMPUTE_PGM_RSRC2:TIDIG_COMP_CNT: 0
; COMPUTE_PGM_RSRC3_GFX90A:ACCUM_OFFSET: 6
; COMPUTE_PGM_RSRC3_GFX90A:TG_SPLIT: 0
	.section	.text._ZN5aiter36smooth_per_token_scaled_quant_kernelItaLi256ELi8ELb1ELb1ELb0ELi1024EEEvPT0_PfPT_S3_PiS6_iiPKiiiiiiiii,"axG",@progbits,_ZN5aiter36smooth_per_token_scaled_quant_kernelItaLi256ELi8ELb1ELb1ELb0ELi1024EEEvPT0_PfPT_S3_PiS6_iiPKiiiiiiiii,comdat
	.protected	_ZN5aiter36smooth_per_token_scaled_quant_kernelItaLi256ELi8ELb1ELb1ELb0ELi1024EEEvPT0_PfPT_S3_PiS6_iiPKiiiiiiiii ; -- Begin function _ZN5aiter36smooth_per_token_scaled_quant_kernelItaLi256ELi8ELb1ELb1ELb0ELi1024EEEvPT0_PfPT_S3_PiS6_iiPKiiiiiiiii
	.globl	_ZN5aiter36smooth_per_token_scaled_quant_kernelItaLi256ELi8ELb1ELb1ELb0ELi1024EEEvPT0_PfPT_S3_PiS6_iiPKiiiiiiiii
	.p2align	8
	.type	_ZN5aiter36smooth_per_token_scaled_quant_kernelItaLi256ELi8ELb1ELb1ELb0ELi1024EEEvPT0_PfPT_S3_PiS6_iiPKiiiiiiiii,@function
_ZN5aiter36smooth_per_token_scaled_quant_kernelItaLi256ELi8ELb1ELb1ELb0ELi1024EEEvPT0_PfPT_S3_PiS6_iiPKiiiiiiiii: ; @_ZN5aiter36smooth_per_token_scaled_quant_kernelItaLi256ELi8ELb1ELb1ELb0ELi1024EEEvPT0_PfPT_S3_PiS6_iiPKiiiiiiiii
; %bb.0:
	s_load_dwordx2 s[2:3], s[4:5], 0x38
	s_load_dwordx8 s[8:15], s[4:5], 0x40
	s_mov_b64 s[0:1], 0
	s_waitcnt lgkmcnt(0)
	s_cmp_lg_u64 s[2:3], 0
	s_cbranch_scc0 .LBB101_11
; %bb.1:
	s_load_dword s2, s[2:3], 0x0
	s_waitcnt lgkmcnt(0)
	s_mul_i32 s2, s2, s8
	s_andn2_b64 vcc, exec, s[0:1]
	s_cbranch_vccnz .LBB101_3
.LBB101_2:
	s_mul_i32 s2, s10, s9
.LBB101_3:
	s_load_dwordx2 s[34:35], s[4:5], 0x30
	s_abs_i32 s1, s2
	s_waitcnt lgkmcnt(0)
	s_abs_i32 s0, s34
	v_cvt_f32_u32_e32 v1, s0
	s_sub_i32 s7, 0, s0
	s_xor_b32 s3, s2, s34
	s_ashr_i32 s3, s3, 31
	v_rcp_iflag_f32_e32 v1, v1
	v_mul_f32_e32 v1, 0x4f7ffffe, v1
	v_cvt_u32_f32_e32 v1, v1
	v_readfirstlane_b32 s8, v1
	s_mul_i32 s7, s7, s8
	s_mul_hi_u32 s7, s8, s7
	s_add_i32 s8, s8, s7
	s_mul_hi_u32 s7, s1, s8
	s_mul_i32 s8, s7, s0
	s_sub_i32 s1, s1, s8
	s_add_i32 s15, s7, 1
	s_sub_i32 s8, s1, s0
	s_cmp_ge_u32 s1, s0
	s_cselect_b32 s7, s15, s7
	s_cselect_b32 s1, s8, s1
	s_add_i32 s8, s7, 1
	s_cmp_ge_u32 s1, s0
	s_cselect_b32 s0, s8, s7
	s_xor_b32 s0, s0, s3
	s_sub_i32 s8, s0, s3
	s_mul_i32 s0, s8, s34
	s_sub_i32 s2, s2, s0
	s_cmp_lt_u32 s6, s2
	s_cselect_b64 s[0:1], -1, 0
	s_add_i32 s7, s8, 1
	s_cmp_ge_u32 s6, s2
	s_cbranch_scc0 .LBB101_5
; %bb.4:
	s_mul_i32 s3, s2, s7
	s_sub_i32 s2, s6, s2
	s_mul_i32 s2, s2, s8
	s_add_i32 s40, s2, s3
	s_cbranch_execz .LBB101_6
	s_branch .LBB101_7
.LBB101_5:
                                        ; implicit-def: $sgpr40
.LBB101_6:
	s_mul_i32 s40, s7, s6
.LBB101_7:
	v_cndmask_b32_e64 v1, 0, 1, s[0:1]
	v_readfirstlane_b32 s0, v1
	s_add_i32 s8, s8, s0
	s_cmp_lt_i32 s8, 1
	s_cbranch_scc1 .LBB101_35
; %bb.8:
	s_load_dwordx2 s[0:1], s[4:5], 0x20
	s_ashr_i32 s41, s40, 31
	s_lshl_b64 s[2:3], s[40:41], 2
	v_and_b32_e32 v1, 63, v0
	s_mov_b32 s27, 0x20000
	s_waitcnt lgkmcnt(0)
	s_add_u32 s24, s0, s2
	s_addc_u32 s0, s1, s3
	s_lshl_b32 s26, s8, 2
	s_and_b32 s25, s0, 0xffff
	v_lshlrev_b32_e32 v22, 2, v1
	buffer_load_dword v17, v22, s[24:27], 0 offen
	v_cmp_eq_u32_e32 vcc, 63, v1
	v_lshrrev_b32_e32 v1, 4, v0
	v_and_b32_e32 v19, 60, v1
	v_and_b32_e32 v1, 3, v0
	s_abs_i32 s33, s10
	v_lshlrev_b32_e32 v20, 2, v1
	v_cvt_f32_u32_e32 v1, s33
	s_add_i32 s2, s35, 7
	s_ashr_i32 s3, s2, 31
	s_lshr_b32 s3, s3, 29
	v_rcp_iflag_f32_e32 v1, v1
	s_add_i32 s2, s2, s3
	s_ashr_i32 s2, s2, 3
	v_lshlrev_b32_e32 v16, 4, v0
	v_lshlrev_b32_e32 v18, 5, v0
	v_cmp_eq_u32_e64 s[0:1], 0, v0
	v_cmp_gt_u32_e64 s[2:3], s2, v0
	v_lshlrev_b32_e32 v21, 3, v0
	v_mul_f32_e32 v0, 0x4f7ffffe, v1
	s_load_dwordx8 s[16:23], s[4:5], 0x0
	s_add_i32 s4, s35, 3
	v_cvt_u32_f32_e32 v0, v0
	s_ashr_i32 s5, s4, 31
	s_lshr_b32 s5, s5, 30
	s_add_i32 s4, s4, s5
	s_and_b32 s38, s4, -4
	s_sub_i32 s4, 0, s33
	v_readfirstlane_b32 s42, v0
	s_mul_i32 s4, s4, s42
	s_mul_hi_u32 s4, s42, s4
	s_lshl_b32 s6, s35, 1
	s_lshl_b32 s30, s35, 2
	s_ashr_i32 s34, s10, 31
	s_add_i32 s42, s42, s4
	s_mov_b32 s15, s35
	s_waitcnt vmcnt(0) lgkmcnt(0)
	s_barrier
	v_readlane_b32 s28, v17, 0
	s_cmp_lt_i32 s28, 0
	s_cbranch_scc1 .LBB101_12
; %bb.9:
	s_abs_i32 s27, s40
	s_mul_hi_u32 s4, s27, s42
	s_mul_i32 s7, s4, s33
	s_sub_i32 s7, s27, s7
	s_xor_b32 s5, s41, s34
	s_add_i32 s29, s4, 1
	s_sub_i32 s31, s7, s33
	s_cmp_ge_u32 s7, s33
	s_cselect_b32 s4, s29, s4
	s_cselect_b32 s7, s31, s7
	s_add_i32 s29, s4, 1
	s_cmp_ge_u32 s7, s33
	s_cselect_b32 s4, s29, s4
	s_xor_b32 s4, s4, s5
	s_sub_i32 s4, s4, s5
	s_mul_i32 s5, s4, s10
	s_sub_i32 s5, s40, s5
	s_mul_i32 s5, s5, s12
	s_mul_i32 s4, s4, s11
	s_add_i32 s43, s5, s4
	s_cmp_eq_u32 s43, -1
	s_cbranch_scc1 .LBB101_13
; %bb.10:
	s_mul_hi_i32 s5, s43, s15
	s_mul_i32 s4, s43, s15
	s_lshl_b64 s[4:5], s[4:5], 1
	s_add_u32 s4, s20, s4
	s_addc_u32 s5, s21, s5
	s_and_b32 s5, s5, 0xffff
	s_mov_b32 s7, 0x20000
	buffer_load_dwordx4 v[6:9], v16, s[4:7], 0 offen
	s_waitcnt vmcnt(0)
	v_cvt_f32_u32_sdwa v1, v6 dst_sel:DWORD dst_unused:UNUSED_PAD src0_sel:WORD_1
	v_cvt_f32_u32_sdwa v0, v6 dst_sel:DWORD dst_unused:UNUSED_PAD src0_sel:WORD_0
	v_cvt_f32_u32_sdwa v3, v7 dst_sel:DWORD dst_unused:UNUSED_PAD src0_sel:WORD_1
	v_cvt_f32_u32_sdwa v2, v7 dst_sel:DWORD dst_unused:UNUSED_PAD src0_sel:WORD_0
	;; [unrolled: 2-line block ×4, first 2 shown]
	s_branch .LBB101_14
.LBB101_11:
                                        ; implicit-def: $sgpr2
	s_branch .LBB101_2
.LBB101_12:
	s_mov_b32 s43, -1
                                        ; implicit-def: $vgpr0_vgpr1_vgpr2_vgpr3_vgpr4_vgpr5_vgpr6_vgpr7
	s_cmp_eq_u32 s8, 1
	s_mov_b32 s41, 1
	s_cbranch_scc0 .LBB101_21
	s_branch .LBB101_35
.LBB101_13:
                                        ; implicit-def: $vgpr0_vgpr1_vgpr2_vgpr3_vgpr4_vgpr5_vgpr6_vgpr7
.LBB101_14:
	s_mul_i32 s4, s28, s35
	s_ashr_i32 s5, s4, 31
	s_lshl_b64 s[4:5], s[4:5], 2
	s_add_u32 s28, s22, s4
	s_addc_u32 s4, s23, s5
	s_and_b32 s29, s4, 0xffff
	s_mov_b32 s31, 0x20000
	buffer_load_dwordx4 v[8:11], v18, s[28:31], 0 offen
	buffer_load_dwordx4 v[12:15], v18, s[28:31], 16 offen
	s_mov_b32 s4, 0x2edbe6ff
	s_waitcnt vmcnt(1)
	v_pk_mul_f32 v[8:9], v[0:1], v[8:9]
	v_pk_mul_f32 v[10:11], v[2:3], v[10:11]
	v_max3_f32 v23, |v8|, s4, |v9|
	s_waitcnt vmcnt(0)
	v_pk_mul_f32 v[12:13], v[4:5], v[12:13]
	v_max3_f32 v23, v23, |v10|, |v11|
	v_pk_mul_f32 v[14:15], v[6:7], v[14:15]
	v_max3_f32 v23, v23, |v12|, |v13|
	v_max3_f32 v23, v23, |v14|, |v15|
	s_nop 1
	v_mov_b32_dpp v24, v23 quad_perm:[1,0,3,2] row_mask:0xf bank_mask:0xf
	v_cmp_gt_f32_e64 s[4:5], v23, v24
	v_cndmask_b32_e64 v23, v24, v23, s[4:5]
	s_nop 1
	v_mov_b32_dpp v24, v23 quad_perm:[2,3,0,1] row_mask:0xf bank_mask:0xf
	v_cmp_gt_f32_e64 s[4:5], v23, v24
	v_cndmask_b32_e64 v23, v24, v23, s[4:5]
	s_nop 1
	v_mov_b32_dpp v24, v23 row_half_mirror row_mask:0xf bank_mask:0xf
	v_cmp_gt_f32_e64 s[4:5], v23, v24
	v_cndmask_b32_e64 v23, v24, v23, s[4:5]
	s_nop 1
	v_mov_b32_dpp v24, v23 row_mirror row_mask:0xf bank_mask:0xf
	v_cmp_gt_f32_e64 s[4:5], v23, v24
	v_cndmask_b32_e64 v23, v24, v23, s[4:5]
	s_nop 1
	v_mov_b32_dpp v24, v23 row_bcast:15 row_mask:0xf bank_mask:0xf
	v_cmp_gt_f32_e64 s[4:5], v23, v24
	v_cndmask_b32_e64 v23, v24, v23, s[4:5]
	s_nop 1
	v_mov_b32_dpp v24, v23 row_bcast:31 row_mask:0xf bank_mask:0xf
	s_and_saveexec_b64 s[28:29], vcc
	s_cbranch_execz .LBB101_16
; %bb.15:
	v_cmp_gt_f32_e64 s[4:5], v23, v24
	v_cndmask_b32_e64 v23, v24, v23, s[4:5]
	ds_write_b32 v19, v23
.LBB101_16:
	s_or_b64 exec, exec, s[28:29]
	s_waitcnt lgkmcnt(0)
	s_barrier
	ds_read_b32 v23, v20
	s_abs_i32 s7, s9
	v_cvt_f32_u32_e32 v25, s7
	s_waitcnt lgkmcnt(0)
	v_mov_b32_dpp v24, v23 quad_perm:[1,0,3,2] row_mask:0xf bank_mask:0xf
	v_cmp_gt_f32_e64 s[4:5], v23, v24
	v_rcp_iflag_f32_e32 v25, v25
	v_cndmask_b32_e64 v23, v24, v23, s[4:5]
	s_nop 1
	v_mov_b32_dpp v24, v23 quad_perm:[2,3,0,1] row_mask:0xf bank_mask:0xf
	v_cmp_gt_f32_e64 s[4:5], v23, v24
	v_cndmask_b32_e64 v23, v24, v23, s[4:5]
	v_mul_f32_e32 v24, 0x4f7ffffe, v25
	v_cvt_u32_f32_e32 v24, v24
	s_sub_i32 s5, 0, s7
	s_ashr_i32 s4, s9, 31
	s_xor_b32 s4, s41, s4
	v_readfirstlane_b32 s28, v24
	s_mul_i32 s5, s5, s28
	s_mul_hi_u32 s5, s28, s5
	s_add_i32 s28, s28, s5
	s_mul_hi_u32 s5, s27, s28
	s_mul_i32 s28, s5, s7
	s_sub_i32 s27, s27, s28
	s_add_i32 s28, s5, 1
	s_sub_i32 s29, s27, s7
	s_cmp_ge_u32 s27, s7
	s_cselect_b32 s5, s28, s5
	s_cselect_b32 s27, s29, s27
	s_add_i32 s28, s5, 1
	s_cmp_ge_u32 s27, s7
	s_cselect_b32 s5, s28, s5
	s_xor_b32 s5, s5, s4
	s_sub_i32 s4, s5, s4
	s_mul_i32 s5, s4, s9
	s_sub_i32 s5, s40, s5
	s_mul_i32 s5, s5, s14
	s_mul_i32 s4, s4, s13
	v_mul_f32_e32 v23, 0x3c010204, v23
	s_add_i32 s28, s5, s4
	s_and_saveexec_b64 s[4:5], s[0:1]
	s_cbranch_execz .LBB101_18
; %bb.17:
	s_ashr_i32 s29, s28, 31
	s_lshl_b64 s[36:37], s[28:29], 2
	s_add_u32 s36, s18, s36
	s_addc_u32 s37, s19, s37
	v_mov_b32_e32 v24, 0
	global_store_dword v24, v23, s[36:37]
.LBB101_18:
	s_or_b64 exec, exec, s[4:5]
	s_and_saveexec_b64 s[4:5], s[2:3]
	s_cbranch_execz .LBB101_20
; %bb.19:
	v_rcp_f32_e32 v24, v23
	s_mul_i32 s27, s28, s15
	s_mul_hi_i32 s7, s28, s15
	s_add_u32 s36, s16, s27
	v_mov_b32_e32 v25, v24
	;;#ASMSTART
	v_pk_mul_f32 v[8:9], v[8:9], v[24:25]
	;;#ASMEND
	v_cvt_i32_f32_e32 v23, v8
	v_cvt_i32_f32_sdwa v26, v9 dst_sel:BYTE_1 dst_unused:UNUSED_PAD src0_sel:DWORD
	;;#ASMSTART
	v_pk_mul_f32 v[8:9], v[10:11], v[24:25]
	;;#ASMEND
	v_cvt_i32_f32_e32 v10, v8
	v_cvt_i32_f32_sdwa v11, v9 dst_sel:BYTE_1 dst_unused:UNUSED_PAD src0_sel:DWORD
	;; [unrolled: 5-line block ×4, first 2 shown]
	v_or_b32_sdwa v8, v23, v26 dst_sel:DWORD dst_unused:UNUSED_PAD src0_sel:BYTE_0 src1_sel:DWORD
	v_or_b32_sdwa v10, v10, v11 dst_sel:WORD_1 dst_unused:UNUSED_PAD src0_sel:BYTE_0 src1_sel:DWORD
	s_addc_u32 s7, s17, s7
	v_or_b32_sdwa v8, v8, v10 dst_sel:DWORD dst_unused:UNUSED_PAD src0_sel:WORD_0 src1_sel:DWORD
	v_or_b32_sdwa v10, v12, v13 dst_sel:DWORD dst_unused:UNUSED_PAD src0_sel:BYTE_0 src1_sel:DWORD
	v_or_b32_sdwa v9, v14, v9 dst_sel:WORD_1 dst_unused:UNUSED_PAD src0_sel:BYTE_0 src1_sel:DWORD
	s_and_b32 s37, s7, 0xffff
	s_mov_b32 s39, 0x20000
	v_or_b32_sdwa v9, v10, v9 dst_sel:DWORD dst_unused:UNUSED_PAD src0_sel:WORD_0 src1_sel:DWORD
	buffer_store_dwordx2 v[8:9], v21, s[36:39], 0 offen
	;;#ASMSTART
	s_nop 0
	;;#ASMEND
.LBB101_20:
	s_or_b64 exec, exec, s[4:5]
	s_cmp_eq_u32 s8, 1
	s_mov_b32 s41, 1
	s_cbranch_scc1 .LBB101_35
.LBB101_21:
	s_abs_i32 s44, s9
	v_cvt_f32_u32_e32 v8, s44
	s_sub_i32 s4, 0, s44
	s_ashr_i32 s45, s9, 31
	v_add_u32_e32 v22, 4, v22
	v_rcp_iflag_f32_e32 v8, v8
	s_mov_b32 s31, 0x20000
	s_mov_b32 s46, 0x2edbe6ff
	v_mov_b32_e32 v23, 0
	v_mul_f32_e32 v8, 0x4f7ffffe, v8
	v_cvt_u32_f32_e32 v8, v8
	v_readfirstlane_b32 s5, v8
	s_mul_i32 s4, s4, s5
	s_mul_hi_u32 s4, s5, s4
	s_add_i32 s47, s5, s4
	s_branch .LBB101_24
.LBB101_22:                             ;   in Loop: Header=BB101_24 Depth=1
	s_or_b64 exec, exec, s[4:5]
.LBB101_23:                             ;   in Loop: Header=BB101_24 Depth=1
	s_add_i32 s41, s41, 1
	s_cmp_eq_u32 s8, s41
	v_add_u32_e32 v22, 4, v22
	s_cbranch_scc1 .LBB101_35
.LBB101_24:                             ; =>This Inner Loop Header: Depth=1
	s_and_b32 s4, s41, 63
	s_cmp_lg_u32 s4, 0
	s_cbranch_scc1 .LBB101_26
; %bb.25:                               ;   in Loop: Header=BB101_24 Depth=1
	s_mov_b32 s27, s31
	buffer_load_dword v17, v22, s[24:27], 0 offen
	s_waitcnt vmcnt(0)
.LBB101_26:                             ;   in Loop: Header=BB101_24 Depth=1
	v_readlane_b32 s28, v17, s4
	s_cmp_lt_i32 s28, 0
	s_cbranch_scc1 .LBB101_23
; %bb.27:                               ;   in Loop: Header=BB101_24 Depth=1
	s_add_i32 s27, s40, s41
	s_abs_i32 s36, s27
	s_mul_hi_u32 s5, s36, s42
	s_mul_i32 s7, s5, s33
	s_ashr_i32 s37, s27, 31
	s_sub_i32 s7, s36, s7
	s_xor_b32 s4, s37, s34
	s_add_i32 s29, s5, 1
	s_sub_i32 s39, s7, s33
	s_cmp_ge_u32 s7, s33
	s_cselect_b32 s5, s29, s5
	s_cselect_b32 s7, s39, s7
	s_add_i32 s29, s5, 1
	s_cmp_ge_u32 s7, s33
	s_cselect_b32 s5, s29, s5
	s_xor_b32 s5, s5, s4
	s_sub_i32 s4, s5, s4
	s_mul_i32 s5, s4, s10
	s_sub_i32 s5, s27, s5
	s_mul_i32 s29, s5, s12
	s_mul_i32 s4, s4, s11
	s_add_i32 s29, s29, s4
	s_cmp_eq_u32 s29, s43
	s_cbranch_scc1 .LBB101_29
; %bb.28:                               ;   in Loop: Header=BB101_24 Depth=1
	s_mul_hi_i32 s5, s29, s15
	s_mul_i32 s4, s29, s15
	s_lshl_b64 s[4:5], s[4:5], 1
	s_add_u32 s4, s20, s4
	s_addc_u32 s5, s21, s5
	s_and_b32 s5, s5, 0xffff
	s_mov_b32 s7, s31
	buffer_load_dwordx4 v[6:9], v16, s[4:7], 0 offen
	s_mov_b32 s43, s29
	s_waitcnt vmcnt(0)
	v_cvt_f32_u32_sdwa v1, v6 dst_sel:DWORD dst_unused:UNUSED_PAD src0_sel:WORD_1
	v_cvt_f32_u32_sdwa v0, v6 dst_sel:DWORD dst_unused:UNUSED_PAD src0_sel:WORD_0
	v_cvt_f32_u32_sdwa v3, v7 dst_sel:DWORD dst_unused:UNUSED_PAD src0_sel:WORD_1
	v_cvt_f32_u32_sdwa v2, v7 dst_sel:DWORD dst_unused:UNUSED_PAD src0_sel:WORD_0
	;; [unrolled: 2-line block ×4, first 2 shown]
.LBB101_29:                             ;   in Loop: Header=BB101_24 Depth=1
	s_mul_i32 s4, s28, s35
	s_ashr_i32 s5, s4, 31
	s_lshl_b64 s[4:5], s[4:5], 2
	s_add_u32 s28, s22, s4
	s_addc_u32 s4, s23, s5
	s_and_b32 s29, s4, 0xffff
	buffer_load_dwordx4 v[8:11], v18, s[28:31], 0 offen
	buffer_load_dwordx4 v[12:15], v18, s[28:31], 16 offen
	s_waitcnt vmcnt(1)
	v_pk_mul_f32 v[8:9], v[0:1], v[8:9]
	v_pk_mul_f32 v[10:11], v[2:3], v[10:11]
	v_max3_f32 v24, |v8|, s46, |v9|
	s_waitcnt vmcnt(0)
	v_pk_mul_f32 v[12:13], v[4:5], v[12:13]
	v_max3_f32 v24, v24, |v10|, |v11|
	v_pk_mul_f32 v[14:15], v[6:7], v[14:15]
	v_max3_f32 v24, v24, |v12|, |v13|
	v_max3_f32 v24, v24, |v14|, |v15|
	s_nop 1
	v_mov_b32_dpp v25, v24 quad_perm:[1,0,3,2] row_mask:0xf bank_mask:0xf
	v_cmp_gt_f32_e64 s[4:5], v24, v25
	v_cndmask_b32_e64 v24, v25, v24, s[4:5]
	s_nop 1
	v_mov_b32_dpp v25, v24 quad_perm:[2,3,0,1] row_mask:0xf bank_mask:0xf
	v_cmp_gt_f32_e64 s[4:5], v24, v25
	v_cndmask_b32_e64 v24, v25, v24, s[4:5]
	s_nop 1
	v_mov_b32_dpp v25, v24 row_half_mirror row_mask:0xf bank_mask:0xf
	v_cmp_gt_f32_e64 s[4:5], v24, v25
	v_cndmask_b32_e64 v24, v25, v24, s[4:5]
	s_nop 1
	v_mov_b32_dpp v25, v24 row_mirror row_mask:0xf bank_mask:0xf
	v_cmp_gt_f32_e64 s[4:5], v24, v25
	v_cndmask_b32_e64 v24, v25, v24, s[4:5]
	s_nop 1
	v_mov_b32_dpp v25, v24 row_bcast:15 row_mask:0xf bank_mask:0xf
	v_cmp_gt_f32_e64 s[4:5], v24, v25
	v_cndmask_b32_e64 v24, v25, v24, s[4:5]
	s_nop 1
	v_mov_b32_dpp v25, v24 row_bcast:31 row_mask:0xf bank_mask:0xf
	s_and_saveexec_b64 s[28:29], vcc
	s_cbranch_execz .LBB101_31
; %bb.30:                               ;   in Loop: Header=BB101_24 Depth=1
	v_cmp_gt_f32_e64 s[4:5], v24, v25
	v_cndmask_b32_e64 v24, v25, v24, s[4:5]
	ds_write_b32 v19, v24
.LBB101_31:                             ;   in Loop: Header=BB101_24 Depth=1
	s_or_b64 exec, exec, s[28:29]
	s_waitcnt lgkmcnt(0)
	s_barrier
	ds_read_b32 v24, v20
	s_waitcnt lgkmcnt(0)
	s_nop 0
	v_mov_b32_dpp v25, v24 quad_perm:[1,0,3,2] row_mask:0xf bank_mask:0xf
	v_cmp_gt_f32_e64 s[4:5], v24, v25
	v_cndmask_b32_e64 v24, v25, v24, s[4:5]
	s_nop 1
	v_mov_b32_dpp v25, v24 quad_perm:[2,3,0,1] row_mask:0xf bank_mask:0xf
	v_cmp_gt_f32_e64 s[4:5], v24, v25
	v_cndmask_b32_e64 v24, v25, v24, s[4:5]
	s_mul_hi_u32 s5, s36, s47
	s_mul_i32 s7, s5, s44
	s_sub_i32 s7, s36, s7
	s_xor_b32 s4, s37, s45
	s_add_i32 s28, s5, 1
	s_sub_i32 s29, s7, s44
	s_cmp_ge_u32 s7, s44
	s_cselect_b32 s5, s28, s5
	s_cselect_b32 s7, s29, s7
	s_add_i32 s28, s5, 1
	s_cmp_ge_u32 s7, s44
	s_cselect_b32 s5, s28, s5
	s_xor_b32 s5, s5, s4
	s_sub_i32 s4, s5, s4
	s_mul_i32 s5, s4, s9
	s_sub_i32 s5, s27, s5
	s_mul_i32 s5, s5, s14
	s_mul_i32 s4, s4, s13
	v_mul_f32_e32 v24, 0x3c010204, v24
	s_add_i32 s28, s5, s4
	s_and_saveexec_b64 s[4:5], s[0:1]
	s_cbranch_execz .LBB101_33
; %bb.32:                               ;   in Loop: Header=BB101_24 Depth=1
	s_ashr_i32 s29, s28, 31
	s_lshl_b64 s[36:37], s[28:29], 2
	s_add_u32 s36, s18, s36
	s_addc_u32 s37, s19, s37
	global_store_dword v23, v24, s[36:37]
.LBB101_33:                             ;   in Loop: Header=BB101_24 Depth=1
	s_or_b64 exec, exec, s[4:5]
	s_and_saveexec_b64 s[4:5], s[2:3]
	s_cbranch_execz .LBB101_22
; %bb.34:                               ;   in Loop: Header=BB101_24 Depth=1
	v_rcp_f32_e32 v24, v24
	s_mul_i32 s27, s28, s15
	s_mul_hi_i32 s7, s28, s15
	s_add_u32 s36, s16, s27
	v_mov_b32_e32 v25, v24
	;;#ASMSTART
	v_pk_mul_f32 v[8:9], v[8:9], v[24:25]
	;;#ASMEND
	v_cvt_i32_f32_e32 v26, v8
	v_cvt_i32_f32_sdwa v27, v9 dst_sel:BYTE_1 dst_unused:UNUSED_PAD src0_sel:DWORD
	;;#ASMSTART
	v_pk_mul_f32 v[8:9], v[10:11], v[24:25]
	;;#ASMEND
	v_cvt_i32_f32_e32 v10, v8
	v_cvt_i32_f32_sdwa v11, v9 dst_sel:BYTE_1 dst_unused:UNUSED_PAD src0_sel:DWORD
	;; [unrolled: 5-line block ×4, first 2 shown]
	v_or_b32_sdwa v8, v26, v27 dst_sel:DWORD dst_unused:UNUSED_PAD src0_sel:BYTE_0 src1_sel:DWORD
	v_or_b32_sdwa v10, v10, v11 dst_sel:WORD_1 dst_unused:UNUSED_PAD src0_sel:BYTE_0 src1_sel:DWORD
	s_addc_u32 s7, s17, s7
	v_or_b32_sdwa v8, v8, v10 dst_sel:DWORD dst_unused:UNUSED_PAD src0_sel:WORD_0 src1_sel:DWORD
	v_or_b32_sdwa v10, v12, v13 dst_sel:DWORD dst_unused:UNUSED_PAD src0_sel:BYTE_0 src1_sel:DWORD
	v_or_b32_sdwa v9, v14, v9 dst_sel:WORD_1 dst_unused:UNUSED_PAD src0_sel:BYTE_0 src1_sel:DWORD
	s_and_b32 s37, s7, 0xffff
	s_mov_b32 s39, s31
	v_or_b32_sdwa v9, v10, v9 dst_sel:DWORD dst_unused:UNUSED_PAD src0_sel:WORD_0 src1_sel:DWORD
	buffer_store_dwordx2 v[8:9], v21, s[36:39], 0 offen
	;;#ASMSTART
	s_nop 0
	;;#ASMEND
	s_branch .LBB101_22
.LBB101_35:
	s_endpgm
	.section	.rodata,"a",@progbits
	.p2align	6, 0x0
	.amdhsa_kernel _ZN5aiter36smooth_per_token_scaled_quant_kernelItaLi256ELi8ELb1ELb1ELb0ELi1024EEEvPT0_PfPT_S3_PiS6_iiPKiiiiiiiii
		.amdhsa_group_segment_fixed_size 16
		.amdhsa_private_segment_fixed_size 0
		.amdhsa_kernarg_size 96
		.amdhsa_user_sgpr_count 6
		.amdhsa_user_sgpr_private_segment_buffer 1
		.amdhsa_user_sgpr_dispatch_ptr 0
		.amdhsa_user_sgpr_queue_ptr 0
		.amdhsa_user_sgpr_kernarg_segment_ptr 1
		.amdhsa_user_sgpr_dispatch_id 0
		.amdhsa_user_sgpr_flat_scratch_init 0
		.amdhsa_user_sgpr_kernarg_preload_length 0
		.amdhsa_user_sgpr_kernarg_preload_offset 0
		.amdhsa_user_sgpr_private_segment_size 0
		.amdhsa_uses_dynamic_stack 0
		.amdhsa_system_sgpr_private_segment_wavefront_offset 0
		.amdhsa_system_sgpr_workgroup_id_x 1
		.amdhsa_system_sgpr_workgroup_id_y 0
		.amdhsa_system_sgpr_workgroup_id_z 0
		.amdhsa_system_sgpr_workgroup_info 0
		.amdhsa_system_vgpr_workitem_id 0
		.amdhsa_next_free_vgpr 28
		.amdhsa_next_free_sgpr 48
		.amdhsa_accum_offset 28
		.amdhsa_reserve_vcc 1
		.amdhsa_reserve_flat_scratch 0
		.amdhsa_float_round_mode_32 0
		.amdhsa_float_round_mode_16_64 0
		.amdhsa_float_denorm_mode_32 3
		.amdhsa_float_denorm_mode_16_64 3
		.amdhsa_dx10_clamp 1
		.amdhsa_ieee_mode 1
		.amdhsa_fp16_overflow 0
		.amdhsa_tg_split 0
		.amdhsa_exception_fp_ieee_invalid_op 0
		.amdhsa_exception_fp_denorm_src 0
		.amdhsa_exception_fp_ieee_div_zero 0
		.amdhsa_exception_fp_ieee_overflow 0
		.amdhsa_exception_fp_ieee_underflow 0
		.amdhsa_exception_fp_ieee_inexact 0
		.amdhsa_exception_int_div_zero 0
	.end_amdhsa_kernel
	.section	.text._ZN5aiter36smooth_per_token_scaled_quant_kernelItaLi256ELi8ELb1ELb1ELb0ELi1024EEEvPT0_PfPT_S3_PiS6_iiPKiiiiiiiii,"axG",@progbits,_ZN5aiter36smooth_per_token_scaled_quant_kernelItaLi256ELi8ELb1ELb1ELb0ELi1024EEEvPT0_PfPT_S3_PiS6_iiPKiiiiiiiii,comdat
.Lfunc_end101:
	.size	_ZN5aiter36smooth_per_token_scaled_quant_kernelItaLi256ELi8ELb1ELb1ELb0ELi1024EEEvPT0_PfPT_S3_PiS6_iiPKiiiiiiiii, .Lfunc_end101-_ZN5aiter36smooth_per_token_scaled_quant_kernelItaLi256ELi8ELb1ELb1ELb0ELi1024EEEvPT0_PfPT_S3_PiS6_iiPKiiiiiiiii
                                        ; -- End function
	.section	.AMDGPU.csdata,"",@progbits
; Kernel info:
; codeLenInByte = 2548
; NumSgprs: 52
; NumVgprs: 28
; NumAgprs: 0
; TotalNumVgprs: 28
; ScratchSize: 0
; MemoryBound: 0
; FloatMode: 240
; IeeeMode: 1
; LDSByteSize: 16 bytes/workgroup (compile time only)
; SGPRBlocks: 6
; VGPRBlocks: 3
; NumSGPRsForWavesPerEU: 52
; NumVGPRsForWavesPerEU: 28
; AccumOffset: 28
; Occupancy: 8
; WaveLimiterHint : 0
; COMPUTE_PGM_RSRC2:SCRATCH_EN: 0
; COMPUTE_PGM_RSRC2:USER_SGPR: 6
; COMPUTE_PGM_RSRC2:TRAP_HANDLER: 0
; COMPUTE_PGM_RSRC2:TGID_X_EN: 1
; COMPUTE_PGM_RSRC2:TGID_Y_EN: 0
; COMPUTE_PGM_RSRC2:TGID_Z_EN: 0
; COMPUTE_PGM_RSRC2:TIDIG_COMP_CNT: 0
; COMPUTE_PGM_RSRC3_GFX90A:ACCUM_OFFSET: 6
; COMPUTE_PGM_RSRC3_GFX90A:TG_SPLIT: 0
	.section	.text._ZN5aiter36smooth_per_token_scaled_quant_kernelIDF16_aLi256ELi8ELb1ELb0ELb0ELi1024EEEvPT0_PfPT_S3_PiS6_iiPKiiiiiiiii,"axG",@progbits,_ZN5aiter36smooth_per_token_scaled_quant_kernelIDF16_aLi256ELi8ELb1ELb0ELb0ELi1024EEEvPT0_PfPT_S3_PiS6_iiPKiiiiiiiii,comdat
	.protected	_ZN5aiter36smooth_per_token_scaled_quant_kernelIDF16_aLi256ELi8ELb1ELb0ELb0ELi1024EEEvPT0_PfPT_S3_PiS6_iiPKiiiiiiiii ; -- Begin function _ZN5aiter36smooth_per_token_scaled_quant_kernelIDF16_aLi256ELi8ELb1ELb0ELb0ELi1024EEEvPT0_PfPT_S3_PiS6_iiPKiiiiiiiii
	.globl	_ZN5aiter36smooth_per_token_scaled_quant_kernelIDF16_aLi256ELi8ELb1ELb0ELb0ELi1024EEEvPT0_PfPT_S3_PiS6_iiPKiiiiiiiii
	.p2align	8
	.type	_ZN5aiter36smooth_per_token_scaled_quant_kernelIDF16_aLi256ELi8ELb1ELb0ELb0ELi1024EEEvPT0_PfPT_S3_PiS6_iiPKiiiiiiiii,@function
_ZN5aiter36smooth_per_token_scaled_quant_kernelIDF16_aLi256ELi8ELb1ELb0ELb0ELi1024EEEvPT0_PfPT_S3_PiS6_iiPKiiiiiiiii: ; @_ZN5aiter36smooth_per_token_scaled_quant_kernelIDF16_aLi256ELi8ELb1ELb0ELb0ELi1024EEEvPT0_PfPT_S3_PiS6_iiPKiiiiiiiii
; %bb.0:
	s_load_dwordx2 s[2:3], s[4:5], 0x38
	s_load_dwordx8 s[8:15], s[4:5], 0x40
	s_mov_b64 s[0:1], 0
	s_waitcnt lgkmcnt(0)
	s_cmp_lg_u64 s[2:3], 0
	s_cbranch_scc0 .LBB102_19
; %bb.1:
	s_load_dword s2, s[2:3], 0x0
	s_waitcnt lgkmcnt(0)
	s_mul_i32 s2, s2, s8
	s_andn2_b64 vcc, exec, s[0:1]
	s_cbranch_vccnz .LBB102_3
.LBB102_2:
	s_mul_i32 s2, s10, s9
.LBB102_3:
	s_load_dwordx2 s[24:25], s[4:5], 0x30
	s_abs_i32 s1, s2
	s_waitcnt lgkmcnt(0)
	s_abs_i32 s0, s24
	v_cvt_f32_u32_e32 v1, s0
	s_sub_i32 s7, 0, s0
	s_xor_b32 s3, s2, s24
	s_ashr_i32 s3, s3, 31
	v_rcp_iflag_f32_e32 v1, v1
	v_mul_f32_e32 v1, 0x4f7ffffe, v1
	v_cvt_u32_f32_e32 v1, v1
	v_readfirstlane_b32 s8, v1
	s_mul_i32 s7, s7, s8
	s_mul_hi_u32 s7, s8, s7
	s_add_i32 s8, s8, s7
	s_mul_hi_u32 s7, s1, s8
	s_mul_i32 s8, s7, s0
	s_sub_i32 s1, s1, s8
	s_add_i32 s15, s7, 1
	s_sub_i32 s8, s1, s0
	s_cmp_ge_u32 s1, s0
	s_cselect_b32 s7, s15, s7
	s_cselect_b32 s1, s8, s1
	s_add_i32 s8, s7, 1
	s_cmp_ge_u32 s1, s0
	s_cselect_b32 s0, s8, s7
	s_xor_b32 s0, s0, s3
	s_sub_i32 s7, s0, s3
	s_mul_i32 s0, s7, s24
	s_sub_i32 s2, s2, s0
	s_cmp_lt_u32 s6, s2
	s_cselect_b64 s[0:1], -1, 0
	s_add_i32 s15, s7, 1
	s_cmp_ge_u32 s6, s2
	s_cbranch_scc0 .LBB102_5
; %bb.4:
	s_mul_i32 s3, s2, s15
	s_sub_i32 s2, s6, s2
	s_mul_i32 s2, s2, s7
	s_add_i32 s8, s2, s3
	s_cbranch_execz .LBB102_6
	s_branch .LBB102_7
.LBB102_5:
                                        ; implicit-def: $sgpr8
.LBB102_6:
	s_mul_i32 s8, s15, s6
.LBB102_7:
	v_cndmask_b32_e64 v1, 0, 1, s[0:1]
	v_readfirstlane_b32 s0, v1
	s_add_i32 s15, s7, s0
	s_cmp_lt_i32 s15, 1
	s_cbranch_scc1 .LBB102_18
; %bb.8:
	v_and_b32_e32 v1, 63, v0
	v_cmp_eq_u32_e32 vcc, 63, v1
	v_lshrrev_b32_e32 v1, 4, v0
	v_and_b32_e32 v22, 60, v1
	v_and_b32_e32 v1, 3, v0
	s_abs_i32 s34, s10
	v_lshlrev_b32_e32 v23, 2, v1
	v_cvt_f32_u32_e32 v1, s34
	s_add_i32 s2, s25, 7
	s_ashr_i32 s3, s2, 31
	s_lshr_b32 s3, s3, 29
	v_rcp_iflag_f32_e32 v1, v1
	s_add_i32 s2, s2, s3
	s_ashr_i32 s2, s2, 3
	s_abs_i32 s35, s9
	v_lshlrev_b32_e32 v20, 4, v0
	v_lshlrev_b32_e32 v21, 5, v0
	v_cmp_eq_u32_e64 s[0:1], 0, v0
	v_cmp_gt_u32_e64 s[2:3], s2, v0
	v_lshlrev_b32_e32 v24, 3, v0
	v_mul_f32_e32 v0, 0x4f7ffffe, v1
	v_cvt_f32_u32_e32 v1, s35
	v_cvt_u32_f32_e32 v0, v0
	s_load_dwordx8 s[16:23], s[4:5], 0x0
	s_add_i32 s4, s25, 3
	v_rcp_iflag_f32_e32 v1, v1
	s_ashr_i32 s5, s4, 31
	s_lshr_b32 s5, s5, 30
	s_add_i32 s4, s4, s5
	v_readfirstlane_b32 s5, v0
	v_mul_f32_e32 v0, 0x4f7ffffe, v1
	v_cvt_u32_f32_e32 v0, v0
	s_and_b32 s30, s4, -4
	s_sub_i32 s4, 0, s34
	s_mul_i32 s4, s4, s5
	s_mul_hi_u32 s4, s5, s4
	s_add_i32 s37, s5, s4
	s_sub_i32 s4, 0, s35
	v_readfirstlane_b32 s5, v0
	s_mul_i32 s4, s4, s5
	s_mov_b32 s7, 0x20000
	s_waitcnt lgkmcnt(0)
	s_and_b32 s23, s23, 0xffff
	s_mul_hi_u32 s4, s5, s4
                                        ; implicit-def: $vgpr0_vgpr1_vgpr2_vgpr3_vgpr4_vgpr5_vgpr6_vgpr7
	s_mov_b32 s33, s25
	s_lshl_b32 s6, s25, 1
	s_lshl_b32 s26, s25, 2
	s_mov_b32 s27, s7
	s_ashr_i32 s36, s10, 31
	s_ashr_i32 s38, s9, 31
	s_add_i32 s39, s5, s4
	s_mov_b32 s41, -1
	s_mov_b32 s40, 0x2edbe6ff
	v_mov_b32_e32 v25, 0
	s_mov_b32 s24, s22
	s_mov_b32 s25, s23
                                        ; implicit-def: $vgpr4_vgpr5_vgpr6_vgpr7_vgpr8_vgpr9_vgpr10_vgpr11
                                        ; implicit-def: $vgpr18
                                        ; implicit-def: $vgpr10_vgpr11_vgpr12_vgpr13_vgpr14_vgpr15_vgpr16_vgpr17
	s_branch .LBB102_10
.LBB102_9:                              ;   in Loop: Header=BB102_10 Depth=1
	s_or_b64 exec, exec, s[4:5]
	s_add_i32 s15, s15, -1
	s_add_i32 s8, s8, 1
	s_cmp_eq_u32 s15, 0
	s_cbranch_scc1 .LBB102_18
.LBB102_10:                             ; =>This Inner Loop Header: Depth=1
	s_abs_i32 s28, s8
	s_mul_hi_u32 s5, s28, s37
	s_mul_i32 s22, s5, s34
	s_ashr_i32 s29, s8, 31
	s_sub_i32 s22, s28, s22
	s_xor_b32 s4, s29, s36
	s_add_i32 s23, s5, 1
	s_sub_i32 s31, s22, s34
	s_cmp_ge_u32 s22, s34
	s_cselect_b32 s5, s23, s5
	s_cselect_b32 s22, s31, s22
	s_add_i32 s23, s5, 1
	s_cmp_ge_u32 s22, s34
	s_cselect_b32 s5, s23, s5
	s_xor_b32 s5, s5, s4
	s_sub_i32 s4, s5, s4
	s_mul_i32 s5, s4, s10
	s_sub_i32 s5, s8, s5
	s_mul_i32 s22, s5, s12
	s_mul_i32 s4, s4, s11
	s_add_i32 s22, s22, s4
	s_cmp_eq_u32 s22, s41
	s_cbranch_scc1 .LBB102_12
; %bb.11:                               ;   in Loop: Header=BB102_10 Depth=1
	s_mul_hi_i32 s5, s22, s33
	s_mul_i32 s4, s22, s33
	s_lshl_b64 s[4:5], s[4:5], 1
	s_add_u32 s4, s20, s4
	s_addc_u32 s5, s21, s5
	s_and_b32 s5, s5, 0xffff
	buffer_load_dwordx4 v[2:5], v20, s[4:7], 0 offen
	s_mov_b32 s41, s22
	s_waitcnt vmcnt(0)
	v_cvt_f32_f16_e32 v18, v2
	v_cvt_f32_f16_sdwa v19, v2 dst_sel:DWORD dst_unused:UNUSED_PAD src0_sel:WORD_1
	v_cvt_f32_f16_e32 v2, v3
	v_cvt_f32_f16_sdwa v3, v3 dst_sel:DWORD dst_unused:UNUSED_PAD src0_sel:WORD_1
	;; [unrolled: 2-line block ×4, first 2 shown]
.LBB102_12:                             ;   in Loop: Header=BB102_10 Depth=1
	buffer_load_dwordx4 v[4:7], v21, s[24:27], 0 offen
	buffer_load_dwordx4 v[10:13], v21, s[24:27], 16 offen
	s_waitcnt vmcnt(1)
	v_pk_mul_f32 v[0:1], v[18:19], v[4:5]
	v_pk_mul_f32 v[4:5], v[2:3], v[6:7]
	s_waitcnt vmcnt(0)
	v_pk_mul_f32 v[6:7], v[8:9], v[10:11]
	v_pk_mul_f32 v[10:11], v[16:17], v[12:13]
	v_max3_f32 v12, |v0|, s40, |v1|
	v_max3_f32 v12, v12, |v4|, |v5|
	v_max3_f32 v12, v12, |v6|, |v7|
	;; [unrolled: 1-line block ×3, first 2 shown]
	s_nop 1
	v_mov_b32_dpp v13, v12 quad_perm:[1,0,3,2] row_mask:0xf bank_mask:0xf
	v_cmp_gt_f32_e64 s[4:5], v12, v13
	v_cndmask_b32_e64 v12, v13, v12, s[4:5]
	s_nop 1
	v_mov_b32_dpp v13, v12 quad_perm:[2,3,0,1] row_mask:0xf bank_mask:0xf
	v_cmp_gt_f32_e64 s[4:5], v12, v13
	v_cndmask_b32_e64 v12, v13, v12, s[4:5]
	s_nop 1
	v_mov_b32_dpp v13, v12 row_half_mirror row_mask:0xf bank_mask:0xf
	v_cmp_gt_f32_e64 s[4:5], v12, v13
	v_cndmask_b32_e64 v12, v13, v12, s[4:5]
	s_nop 1
	v_mov_b32_dpp v13, v12 row_mirror row_mask:0xf bank_mask:0xf
	v_cmp_gt_f32_e64 s[4:5], v12, v13
	v_cndmask_b32_e64 v12, v13, v12, s[4:5]
	s_nop 1
	v_mov_b32_dpp v13, v12 row_bcast:15 row_mask:0xf bank_mask:0xf
	v_cmp_gt_f32_e64 s[4:5], v12, v13
	v_cndmask_b32_e64 v12, v13, v12, s[4:5]
	s_nop 1
	v_mov_b32_dpp v13, v12 row_bcast:31 row_mask:0xf bank_mask:0xf
	s_and_saveexec_b64 s[22:23], vcc
	s_cbranch_execz .LBB102_14
; %bb.13:                               ;   in Loop: Header=BB102_10 Depth=1
	v_cmp_gt_f32_e64 s[4:5], v12, v13
	v_cndmask_b32_e64 v12, v13, v12, s[4:5]
	ds_write_b32 v22, v12
.LBB102_14:                             ;   in Loop: Header=BB102_10 Depth=1
	s_or_b64 exec, exec, s[22:23]
	s_waitcnt lgkmcnt(0)
	s_barrier
	ds_read_b32 v12, v23
	s_waitcnt lgkmcnt(0)
	s_nop 0
	v_mov_b32_dpp v13, v12 quad_perm:[1,0,3,2] row_mask:0xf bank_mask:0xf
	v_cmp_gt_f32_e64 s[4:5], v12, v13
	v_cndmask_b32_e64 v12, v13, v12, s[4:5]
	s_nop 1
	v_mov_b32_dpp v13, v12 quad_perm:[2,3,0,1] row_mask:0xf bank_mask:0xf
	v_cmp_gt_f32_e64 s[4:5], v12, v13
	v_cndmask_b32_e64 v12, v13, v12, s[4:5]
	s_mul_hi_u32 s5, s28, s39
	s_mul_i32 s22, s5, s35
	s_sub_i32 s22, s28, s22
	s_xor_b32 s4, s29, s38
	s_add_i32 s23, s5, 1
	s_sub_i32 s28, s22, s35
	s_cmp_ge_u32 s22, s35
	s_cselect_b32 s5, s23, s5
	s_cselect_b32 s22, s28, s22
	s_add_i32 s23, s5, 1
	s_cmp_ge_u32 s22, s35
	s_cselect_b32 s5, s23, s5
	s_xor_b32 s5, s5, s4
	s_sub_i32 s4, s5, s4
	s_mul_i32 s5, s4, s9
	s_sub_i32 s5, s8, s5
	s_mul_i32 s5, s5, s14
	s_mul_i32 s4, s4, s13
	v_mul_f32_e32 v12, 0x3c010204, v12
	s_add_i32 s22, s5, s4
	s_and_saveexec_b64 s[4:5], s[0:1]
	s_cbranch_execz .LBB102_16
; %bb.15:                               ;   in Loop: Header=BB102_10 Depth=1
	s_ashr_i32 s23, s22, 31
	s_lshl_b64 s[28:29], s[22:23], 2
	s_add_u32 s28, s18, s28
	s_addc_u32 s29, s19, s29
	global_store_dword v25, v12, s[28:29]
.LBB102_16:                             ;   in Loop: Header=BB102_10 Depth=1
	s_or_b64 exec, exec, s[4:5]
	s_and_saveexec_b64 s[4:5], s[2:3]
	s_cbranch_execz .LBB102_9
; %bb.17:                               ;   in Loop: Header=BB102_10 Depth=1
	v_rcp_f32_e32 v12, v12
	s_mul_hi_i32 s23, s22, s33
	s_mul_i32 s22, s22, s33
	s_add_u32 s28, s16, s22
	v_mov_b32_e32 v13, v12
	;;#ASMSTART
	v_pk_mul_f32 v[0:1], v[0:1], v[12:13]
	;;#ASMEND
	v_cvt_i32_f32_e32 v14, v0
	v_cvt_i32_f32_sdwa v15, v1 dst_sel:BYTE_1 dst_unused:UNUSED_PAD src0_sel:DWORD
	;;#ASMSTART
	v_pk_mul_f32 v[0:1], v[4:5], v[12:13]
	;;#ASMEND
	v_cvt_i32_f32_e32 v4, v0
	v_cvt_i32_f32_sdwa v5, v1 dst_sel:BYTE_1 dst_unused:UNUSED_PAD src0_sel:DWORD
	;; [unrolled: 5-line block ×4, first 2 shown]
	v_or_b32_sdwa v0, v14, v15 dst_sel:DWORD dst_unused:UNUSED_PAD src0_sel:BYTE_0 src1_sel:DWORD
	v_or_b32_sdwa v4, v4, v5 dst_sel:WORD_1 dst_unused:UNUSED_PAD src0_sel:BYTE_0 src1_sel:DWORD
	s_addc_u32 s22, s17, s23
	v_or_b32_sdwa v0, v0, v4 dst_sel:DWORD dst_unused:UNUSED_PAD src0_sel:WORD_0 src1_sel:DWORD
	v_or_b32_sdwa v4, v6, v7 dst_sel:DWORD dst_unused:UNUSED_PAD src0_sel:BYTE_0 src1_sel:DWORD
	v_or_b32_sdwa v1, v10, v1 dst_sel:WORD_1 dst_unused:UNUSED_PAD src0_sel:BYTE_0 src1_sel:DWORD
	s_and_b32 s29, s22, 0xffff
	s_mov_b32 s31, s7
	v_or_b32_sdwa v1, v4, v1 dst_sel:DWORD dst_unused:UNUSED_PAD src0_sel:WORD_0 src1_sel:DWORD
	buffer_store_dwordx2 v[0:1], v24, s[28:31], 0 offen
	;;#ASMSTART
	s_nop 0
	;;#ASMEND
	s_branch .LBB102_9
.LBB102_18:
	s_endpgm
.LBB102_19:
                                        ; implicit-def: $sgpr2
	s_branch .LBB102_2
	.section	.rodata,"a",@progbits
	.p2align	6, 0x0
	.amdhsa_kernel _ZN5aiter36smooth_per_token_scaled_quant_kernelIDF16_aLi256ELi8ELb1ELb0ELb0ELi1024EEEvPT0_PfPT_S3_PiS6_iiPKiiiiiiiii
		.amdhsa_group_segment_fixed_size 16
		.amdhsa_private_segment_fixed_size 0
		.amdhsa_kernarg_size 96
		.amdhsa_user_sgpr_count 6
		.amdhsa_user_sgpr_private_segment_buffer 1
		.amdhsa_user_sgpr_dispatch_ptr 0
		.amdhsa_user_sgpr_queue_ptr 0
		.amdhsa_user_sgpr_kernarg_segment_ptr 1
		.amdhsa_user_sgpr_dispatch_id 0
		.amdhsa_user_sgpr_flat_scratch_init 0
		.amdhsa_user_sgpr_kernarg_preload_length 0
		.amdhsa_user_sgpr_kernarg_preload_offset 0
		.amdhsa_user_sgpr_private_segment_size 0
		.amdhsa_uses_dynamic_stack 0
		.amdhsa_system_sgpr_private_segment_wavefront_offset 0
		.amdhsa_system_sgpr_workgroup_id_x 1
		.amdhsa_system_sgpr_workgroup_id_y 0
		.amdhsa_system_sgpr_workgroup_id_z 0
		.amdhsa_system_sgpr_workgroup_info 0
		.amdhsa_system_vgpr_workitem_id 0
		.amdhsa_next_free_vgpr 26
		.amdhsa_next_free_sgpr 42
		.amdhsa_accum_offset 28
		.amdhsa_reserve_vcc 1
		.amdhsa_reserve_flat_scratch 0
		.amdhsa_float_round_mode_32 0
		.amdhsa_float_round_mode_16_64 0
		.amdhsa_float_denorm_mode_32 3
		.amdhsa_float_denorm_mode_16_64 3
		.amdhsa_dx10_clamp 1
		.amdhsa_ieee_mode 1
		.amdhsa_fp16_overflow 0
		.amdhsa_tg_split 0
		.amdhsa_exception_fp_ieee_invalid_op 0
		.amdhsa_exception_fp_denorm_src 0
		.amdhsa_exception_fp_ieee_div_zero 0
		.amdhsa_exception_fp_ieee_overflow 0
		.amdhsa_exception_fp_ieee_underflow 0
		.amdhsa_exception_fp_ieee_inexact 0
		.amdhsa_exception_int_div_zero 0
	.end_amdhsa_kernel
	.section	.text._ZN5aiter36smooth_per_token_scaled_quant_kernelIDF16_aLi256ELi8ELb1ELb0ELb0ELi1024EEEvPT0_PfPT_S3_PiS6_iiPKiiiiiiiii,"axG",@progbits,_ZN5aiter36smooth_per_token_scaled_quant_kernelIDF16_aLi256ELi8ELb1ELb0ELb0ELi1024EEEvPT0_PfPT_S3_PiS6_iiPKiiiiiiiii,comdat
.Lfunc_end102:
	.size	_ZN5aiter36smooth_per_token_scaled_quant_kernelIDF16_aLi256ELi8ELb1ELb0ELb0ELi1024EEEvPT0_PfPT_S3_PiS6_iiPKiiiiiiiii, .Lfunc_end102-_ZN5aiter36smooth_per_token_scaled_quant_kernelIDF16_aLi256ELi8ELb1ELb0ELb0ELi1024EEEvPT0_PfPT_S3_PiS6_iiPKiiiiiiiii
                                        ; -- End function
	.section	.AMDGPU.csdata,"",@progbits
; Kernel info:
; codeLenInByte = 1396
; NumSgprs: 46
; NumVgprs: 26
; NumAgprs: 0
; TotalNumVgprs: 26
; ScratchSize: 0
; MemoryBound: 0
; FloatMode: 240
; IeeeMode: 1
; LDSByteSize: 16 bytes/workgroup (compile time only)
; SGPRBlocks: 5
; VGPRBlocks: 3
; NumSGPRsForWavesPerEU: 46
; NumVGPRsForWavesPerEU: 26
; AccumOffset: 28
; Occupancy: 8
; WaveLimiterHint : 0
; COMPUTE_PGM_RSRC2:SCRATCH_EN: 0
; COMPUTE_PGM_RSRC2:USER_SGPR: 6
; COMPUTE_PGM_RSRC2:TRAP_HANDLER: 0
; COMPUTE_PGM_RSRC2:TGID_X_EN: 1
; COMPUTE_PGM_RSRC2:TGID_Y_EN: 0
; COMPUTE_PGM_RSRC2:TGID_Z_EN: 0
; COMPUTE_PGM_RSRC2:TIDIG_COMP_CNT: 0
; COMPUTE_PGM_RSRC3_GFX90A:ACCUM_OFFSET: 6
; COMPUTE_PGM_RSRC3_GFX90A:TG_SPLIT: 0
	.section	.text._ZN5aiter36smooth_per_token_scaled_quant_kernelItaLi256ELi8ELb1ELb0ELb0ELi1024EEEvPT0_PfPT_S3_PiS6_iiPKiiiiiiiii,"axG",@progbits,_ZN5aiter36smooth_per_token_scaled_quant_kernelItaLi256ELi8ELb1ELb0ELb0ELi1024EEEvPT0_PfPT_S3_PiS6_iiPKiiiiiiiii,comdat
	.protected	_ZN5aiter36smooth_per_token_scaled_quant_kernelItaLi256ELi8ELb1ELb0ELb0ELi1024EEEvPT0_PfPT_S3_PiS6_iiPKiiiiiiiii ; -- Begin function _ZN5aiter36smooth_per_token_scaled_quant_kernelItaLi256ELi8ELb1ELb0ELb0ELi1024EEEvPT0_PfPT_S3_PiS6_iiPKiiiiiiiii
	.globl	_ZN5aiter36smooth_per_token_scaled_quant_kernelItaLi256ELi8ELb1ELb0ELb0ELi1024EEEvPT0_PfPT_S3_PiS6_iiPKiiiiiiiii
	.p2align	8
	.type	_ZN5aiter36smooth_per_token_scaled_quant_kernelItaLi256ELi8ELb1ELb0ELb0ELi1024EEEvPT0_PfPT_S3_PiS6_iiPKiiiiiiiii,@function
_ZN5aiter36smooth_per_token_scaled_quant_kernelItaLi256ELi8ELb1ELb0ELb0ELi1024EEEvPT0_PfPT_S3_PiS6_iiPKiiiiiiiii: ; @_ZN5aiter36smooth_per_token_scaled_quant_kernelItaLi256ELi8ELb1ELb0ELb0ELi1024EEEvPT0_PfPT_S3_PiS6_iiPKiiiiiiiii
; %bb.0:
	s_load_dwordx2 s[2:3], s[4:5], 0x38
	s_load_dwordx8 s[8:15], s[4:5], 0x40
	s_mov_b64 s[0:1], 0
	s_waitcnt lgkmcnt(0)
	s_cmp_lg_u64 s[2:3], 0
	s_cbranch_scc0 .LBB103_19
; %bb.1:
	s_load_dword s2, s[2:3], 0x0
	s_waitcnt lgkmcnt(0)
	s_mul_i32 s2, s2, s8
	s_andn2_b64 vcc, exec, s[0:1]
	s_cbranch_vccnz .LBB103_3
.LBB103_2:
	s_mul_i32 s2, s10, s9
.LBB103_3:
	s_load_dwordx2 s[24:25], s[4:5], 0x30
	s_abs_i32 s1, s2
	s_waitcnt lgkmcnt(0)
	s_abs_i32 s0, s24
	v_cvt_f32_u32_e32 v1, s0
	s_sub_i32 s7, 0, s0
	s_xor_b32 s3, s2, s24
	s_ashr_i32 s3, s3, 31
	v_rcp_iflag_f32_e32 v1, v1
	v_mul_f32_e32 v1, 0x4f7ffffe, v1
	v_cvt_u32_f32_e32 v1, v1
	v_readfirstlane_b32 s8, v1
	s_mul_i32 s7, s7, s8
	s_mul_hi_u32 s7, s8, s7
	s_add_i32 s8, s8, s7
	s_mul_hi_u32 s7, s1, s8
	s_mul_i32 s8, s7, s0
	s_sub_i32 s1, s1, s8
	s_add_i32 s15, s7, 1
	s_sub_i32 s8, s1, s0
	s_cmp_ge_u32 s1, s0
	s_cselect_b32 s7, s15, s7
	s_cselect_b32 s1, s8, s1
	s_add_i32 s8, s7, 1
	s_cmp_ge_u32 s1, s0
	s_cselect_b32 s0, s8, s7
	s_xor_b32 s0, s0, s3
	s_sub_i32 s7, s0, s3
	s_mul_i32 s0, s7, s24
	s_sub_i32 s2, s2, s0
	s_cmp_lt_u32 s6, s2
	s_cselect_b64 s[0:1], -1, 0
	s_add_i32 s15, s7, 1
	s_cmp_ge_u32 s6, s2
	s_cbranch_scc0 .LBB103_5
; %bb.4:
	s_mul_i32 s3, s2, s15
	s_sub_i32 s2, s6, s2
	s_mul_i32 s2, s2, s7
	s_add_i32 s8, s2, s3
	s_cbranch_execz .LBB103_6
	s_branch .LBB103_7
.LBB103_5:
                                        ; implicit-def: $sgpr8
.LBB103_6:
	s_mul_i32 s8, s15, s6
.LBB103_7:
	v_cndmask_b32_e64 v1, 0, 1, s[0:1]
	v_readfirstlane_b32 s0, v1
	s_add_i32 s15, s7, s0
	s_cmp_lt_i32 s15, 1
	s_cbranch_scc1 .LBB103_18
; %bb.8:
	v_and_b32_e32 v1, 63, v0
	v_cmp_eq_u32_e32 vcc, 63, v1
	v_lshrrev_b32_e32 v1, 4, v0
	v_and_b32_e32 v22, 60, v1
	v_and_b32_e32 v1, 3, v0
	s_abs_i32 s34, s10
	v_lshlrev_b32_e32 v23, 2, v1
	v_cvt_f32_u32_e32 v1, s34
	s_add_i32 s2, s25, 7
	s_ashr_i32 s3, s2, 31
	s_lshr_b32 s3, s3, 29
	v_rcp_iflag_f32_e32 v1, v1
	s_add_i32 s2, s2, s3
	s_ashr_i32 s2, s2, 3
	s_abs_i32 s35, s9
	v_lshlrev_b32_e32 v20, 4, v0
	v_lshlrev_b32_e32 v21, 5, v0
	v_cmp_eq_u32_e64 s[0:1], 0, v0
	v_cmp_gt_u32_e64 s[2:3], s2, v0
	v_lshlrev_b32_e32 v24, 3, v0
	v_mul_f32_e32 v0, 0x4f7ffffe, v1
	v_cvt_f32_u32_e32 v1, s35
	v_cvt_u32_f32_e32 v0, v0
	s_load_dwordx8 s[16:23], s[4:5], 0x0
	s_add_i32 s4, s25, 3
	v_rcp_iflag_f32_e32 v1, v1
	s_ashr_i32 s5, s4, 31
	s_lshr_b32 s5, s5, 30
	s_add_i32 s4, s4, s5
	v_readfirstlane_b32 s5, v0
	v_mul_f32_e32 v0, 0x4f7ffffe, v1
	v_cvt_u32_f32_e32 v0, v0
	s_and_b32 s30, s4, -4
	s_sub_i32 s4, 0, s34
	s_mul_i32 s4, s4, s5
	s_mul_hi_u32 s4, s5, s4
	s_add_i32 s37, s5, s4
	s_sub_i32 s4, 0, s35
	v_readfirstlane_b32 s5, v0
	s_mul_i32 s4, s4, s5
	s_mov_b32 s7, 0x20000
	s_waitcnt lgkmcnt(0)
	s_and_b32 s23, s23, 0xffff
	s_mul_hi_u32 s4, s5, s4
                                        ; implicit-def: $vgpr0_vgpr1_vgpr2_vgpr3_vgpr4_vgpr5_vgpr6_vgpr7
	s_mov_b32 s33, s25
	s_lshl_b32 s6, s25, 1
	s_lshl_b32 s26, s25, 2
	s_mov_b32 s27, s7
	s_ashr_i32 s36, s10, 31
	s_ashr_i32 s38, s9, 31
	s_add_i32 s39, s5, s4
	s_mov_b32 s41, -1
	s_mov_b32 s40, 0x2edbe6ff
	v_mov_b32_e32 v25, 0
	s_mov_b32 s24, s22
	s_mov_b32 s25, s23
                                        ; implicit-def: $vgpr4_vgpr5_vgpr6_vgpr7_vgpr8_vgpr9_vgpr10_vgpr11
                                        ; implicit-def: $vgpr18
                                        ; implicit-def: $vgpr10_vgpr11_vgpr12_vgpr13_vgpr14_vgpr15_vgpr16_vgpr17
	s_branch .LBB103_10
.LBB103_9:                              ;   in Loop: Header=BB103_10 Depth=1
	s_or_b64 exec, exec, s[4:5]
	s_add_i32 s15, s15, -1
	s_add_i32 s8, s8, 1
	s_cmp_eq_u32 s15, 0
	s_cbranch_scc1 .LBB103_18
.LBB103_10:                             ; =>This Inner Loop Header: Depth=1
	s_abs_i32 s28, s8
	s_mul_hi_u32 s5, s28, s37
	s_mul_i32 s22, s5, s34
	s_ashr_i32 s29, s8, 31
	s_sub_i32 s22, s28, s22
	s_xor_b32 s4, s29, s36
	s_add_i32 s23, s5, 1
	s_sub_i32 s31, s22, s34
	s_cmp_ge_u32 s22, s34
	s_cselect_b32 s5, s23, s5
	s_cselect_b32 s22, s31, s22
	s_add_i32 s23, s5, 1
	s_cmp_ge_u32 s22, s34
	s_cselect_b32 s5, s23, s5
	s_xor_b32 s5, s5, s4
	s_sub_i32 s4, s5, s4
	s_mul_i32 s5, s4, s10
	s_sub_i32 s5, s8, s5
	s_mul_i32 s22, s5, s12
	s_mul_i32 s4, s4, s11
	s_add_i32 s22, s22, s4
	s_cmp_eq_u32 s22, s41
	s_cbranch_scc1 .LBB103_12
; %bb.11:                               ;   in Loop: Header=BB103_10 Depth=1
	s_mul_hi_i32 s5, s22, s33
	s_mul_i32 s4, s22, s33
	s_lshl_b64 s[4:5], s[4:5], 1
	s_add_u32 s4, s20, s4
	s_addc_u32 s5, s21, s5
	s_and_b32 s5, s5, 0xffff
	buffer_load_dwordx4 v[4:7], v20, s[4:7], 0 offen
	s_mov_b32 s41, s22
	s_waitcnt vmcnt(0)
	v_cvt_f32_u32_sdwa v19, v4 dst_sel:DWORD dst_unused:UNUSED_PAD src0_sel:WORD_1
	v_cvt_f32_u32_sdwa v18, v4 dst_sel:DWORD dst_unused:UNUSED_PAD src0_sel:WORD_0
	v_cvt_f32_u32_sdwa v3, v5 dst_sel:DWORD dst_unused:UNUSED_PAD src0_sel:WORD_1
	v_cvt_f32_u32_sdwa v2, v5 dst_sel:DWORD dst_unused:UNUSED_PAD src0_sel:WORD_0
	v_cvt_f32_u32_sdwa v9, v6 dst_sel:DWORD dst_unused:UNUSED_PAD src0_sel:WORD_1
	v_cvt_f32_u32_sdwa v8, v6 dst_sel:DWORD dst_unused:UNUSED_PAD src0_sel:WORD_0
	v_cvt_f32_u32_sdwa v17, v7 dst_sel:DWORD dst_unused:UNUSED_PAD src0_sel:WORD_1
	v_cvt_f32_u32_sdwa v16, v7 dst_sel:DWORD dst_unused:UNUSED_PAD src0_sel:WORD_0
.LBB103_12:                             ;   in Loop: Header=BB103_10 Depth=1
	buffer_load_dwordx4 v[4:7], v21, s[24:27], 0 offen
	buffer_load_dwordx4 v[10:13], v21, s[24:27], 16 offen
	s_waitcnt vmcnt(1)
	v_pk_mul_f32 v[0:1], v[18:19], v[4:5]
	v_pk_mul_f32 v[4:5], v[2:3], v[6:7]
	s_waitcnt vmcnt(0)
	v_pk_mul_f32 v[6:7], v[8:9], v[10:11]
	v_pk_mul_f32 v[10:11], v[16:17], v[12:13]
	v_max3_f32 v12, |v0|, s40, |v1|
	v_max3_f32 v12, v12, |v4|, |v5|
	v_max3_f32 v12, v12, |v6|, |v7|
	;; [unrolled: 1-line block ×3, first 2 shown]
	s_nop 1
	v_mov_b32_dpp v13, v12 quad_perm:[1,0,3,2] row_mask:0xf bank_mask:0xf
	v_cmp_gt_f32_e64 s[4:5], v12, v13
	v_cndmask_b32_e64 v12, v13, v12, s[4:5]
	s_nop 1
	v_mov_b32_dpp v13, v12 quad_perm:[2,3,0,1] row_mask:0xf bank_mask:0xf
	v_cmp_gt_f32_e64 s[4:5], v12, v13
	v_cndmask_b32_e64 v12, v13, v12, s[4:5]
	s_nop 1
	v_mov_b32_dpp v13, v12 row_half_mirror row_mask:0xf bank_mask:0xf
	v_cmp_gt_f32_e64 s[4:5], v12, v13
	v_cndmask_b32_e64 v12, v13, v12, s[4:5]
	s_nop 1
	v_mov_b32_dpp v13, v12 row_mirror row_mask:0xf bank_mask:0xf
	v_cmp_gt_f32_e64 s[4:5], v12, v13
	v_cndmask_b32_e64 v12, v13, v12, s[4:5]
	s_nop 1
	v_mov_b32_dpp v13, v12 row_bcast:15 row_mask:0xf bank_mask:0xf
	v_cmp_gt_f32_e64 s[4:5], v12, v13
	v_cndmask_b32_e64 v12, v13, v12, s[4:5]
	s_nop 1
	v_mov_b32_dpp v13, v12 row_bcast:31 row_mask:0xf bank_mask:0xf
	s_and_saveexec_b64 s[22:23], vcc
	s_cbranch_execz .LBB103_14
; %bb.13:                               ;   in Loop: Header=BB103_10 Depth=1
	v_cmp_gt_f32_e64 s[4:5], v12, v13
	v_cndmask_b32_e64 v12, v13, v12, s[4:5]
	ds_write_b32 v22, v12
.LBB103_14:                             ;   in Loop: Header=BB103_10 Depth=1
	s_or_b64 exec, exec, s[22:23]
	s_waitcnt lgkmcnt(0)
	s_barrier
	ds_read_b32 v12, v23
	s_waitcnt lgkmcnt(0)
	s_nop 0
	v_mov_b32_dpp v13, v12 quad_perm:[1,0,3,2] row_mask:0xf bank_mask:0xf
	v_cmp_gt_f32_e64 s[4:5], v12, v13
	v_cndmask_b32_e64 v12, v13, v12, s[4:5]
	s_nop 1
	v_mov_b32_dpp v13, v12 quad_perm:[2,3,0,1] row_mask:0xf bank_mask:0xf
	v_cmp_gt_f32_e64 s[4:5], v12, v13
	v_cndmask_b32_e64 v12, v13, v12, s[4:5]
	s_mul_hi_u32 s5, s28, s39
	s_mul_i32 s22, s5, s35
	s_sub_i32 s22, s28, s22
	s_xor_b32 s4, s29, s38
	s_add_i32 s23, s5, 1
	s_sub_i32 s28, s22, s35
	s_cmp_ge_u32 s22, s35
	s_cselect_b32 s5, s23, s5
	s_cselect_b32 s22, s28, s22
	s_add_i32 s23, s5, 1
	s_cmp_ge_u32 s22, s35
	s_cselect_b32 s5, s23, s5
	s_xor_b32 s5, s5, s4
	s_sub_i32 s4, s5, s4
	s_mul_i32 s5, s4, s9
	s_sub_i32 s5, s8, s5
	s_mul_i32 s5, s5, s14
	s_mul_i32 s4, s4, s13
	v_mul_f32_e32 v12, 0x3c010204, v12
	s_add_i32 s22, s5, s4
	s_and_saveexec_b64 s[4:5], s[0:1]
	s_cbranch_execz .LBB103_16
; %bb.15:                               ;   in Loop: Header=BB103_10 Depth=1
	s_ashr_i32 s23, s22, 31
	s_lshl_b64 s[28:29], s[22:23], 2
	s_add_u32 s28, s18, s28
	s_addc_u32 s29, s19, s29
	global_store_dword v25, v12, s[28:29]
.LBB103_16:                             ;   in Loop: Header=BB103_10 Depth=1
	s_or_b64 exec, exec, s[4:5]
	s_and_saveexec_b64 s[4:5], s[2:3]
	s_cbranch_execz .LBB103_9
; %bb.17:                               ;   in Loop: Header=BB103_10 Depth=1
	v_rcp_f32_e32 v12, v12
	s_mul_hi_i32 s23, s22, s33
	s_mul_i32 s22, s22, s33
	s_add_u32 s28, s16, s22
	v_mov_b32_e32 v13, v12
	;;#ASMSTART
	v_pk_mul_f32 v[0:1], v[0:1], v[12:13]
	;;#ASMEND
	v_cvt_i32_f32_e32 v14, v0
	v_cvt_i32_f32_sdwa v15, v1 dst_sel:BYTE_1 dst_unused:UNUSED_PAD src0_sel:DWORD
	;;#ASMSTART
	v_pk_mul_f32 v[0:1], v[4:5], v[12:13]
	;;#ASMEND
	v_cvt_i32_f32_e32 v4, v0
	v_cvt_i32_f32_sdwa v5, v1 dst_sel:BYTE_1 dst_unused:UNUSED_PAD src0_sel:DWORD
	;; [unrolled: 5-line block ×4, first 2 shown]
	v_or_b32_sdwa v0, v14, v15 dst_sel:DWORD dst_unused:UNUSED_PAD src0_sel:BYTE_0 src1_sel:DWORD
	v_or_b32_sdwa v4, v4, v5 dst_sel:WORD_1 dst_unused:UNUSED_PAD src0_sel:BYTE_0 src1_sel:DWORD
	s_addc_u32 s22, s17, s23
	v_or_b32_sdwa v0, v0, v4 dst_sel:DWORD dst_unused:UNUSED_PAD src0_sel:WORD_0 src1_sel:DWORD
	v_or_b32_sdwa v4, v6, v7 dst_sel:DWORD dst_unused:UNUSED_PAD src0_sel:BYTE_0 src1_sel:DWORD
	v_or_b32_sdwa v1, v10, v1 dst_sel:WORD_1 dst_unused:UNUSED_PAD src0_sel:BYTE_0 src1_sel:DWORD
	s_and_b32 s29, s22, 0xffff
	s_mov_b32 s31, s7
	v_or_b32_sdwa v1, v4, v1 dst_sel:DWORD dst_unused:UNUSED_PAD src0_sel:WORD_0 src1_sel:DWORD
	buffer_store_dwordx2 v[0:1], v24, s[28:31], 0 offen
	;;#ASMSTART
	s_nop 0
	;;#ASMEND
	s_branch .LBB103_9
.LBB103_18:
	s_endpgm
.LBB103_19:
                                        ; implicit-def: $sgpr2
	s_branch .LBB103_2
	.section	.rodata,"a",@progbits
	.p2align	6, 0x0
	.amdhsa_kernel _ZN5aiter36smooth_per_token_scaled_quant_kernelItaLi256ELi8ELb1ELb0ELb0ELi1024EEEvPT0_PfPT_S3_PiS6_iiPKiiiiiiiii
		.amdhsa_group_segment_fixed_size 16
		.amdhsa_private_segment_fixed_size 0
		.amdhsa_kernarg_size 96
		.amdhsa_user_sgpr_count 6
		.amdhsa_user_sgpr_private_segment_buffer 1
		.amdhsa_user_sgpr_dispatch_ptr 0
		.amdhsa_user_sgpr_queue_ptr 0
		.amdhsa_user_sgpr_kernarg_segment_ptr 1
		.amdhsa_user_sgpr_dispatch_id 0
		.amdhsa_user_sgpr_flat_scratch_init 0
		.amdhsa_user_sgpr_kernarg_preload_length 0
		.amdhsa_user_sgpr_kernarg_preload_offset 0
		.amdhsa_user_sgpr_private_segment_size 0
		.amdhsa_uses_dynamic_stack 0
		.amdhsa_system_sgpr_private_segment_wavefront_offset 0
		.amdhsa_system_sgpr_workgroup_id_x 1
		.amdhsa_system_sgpr_workgroup_id_y 0
		.amdhsa_system_sgpr_workgroup_id_z 0
		.amdhsa_system_sgpr_workgroup_info 0
		.amdhsa_system_vgpr_workitem_id 0
		.amdhsa_next_free_vgpr 26
		.amdhsa_next_free_sgpr 42
		.amdhsa_accum_offset 28
		.amdhsa_reserve_vcc 1
		.amdhsa_reserve_flat_scratch 0
		.amdhsa_float_round_mode_32 0
		.amdhsa_float_round_mode_16_64 0
		.amdhsa_float_denorm_mode_32 3
		.amdhsa_float_denorm_mode_16_64 3
		.amdhsa_dx10_clamp 1
		.amdhsa_ieee_mode 1
		.amdhsa_fp16_overflow 0
		.amdhsa_tg_split 0
		.amdhsa_exception_fp_ieee_invalid_op 0
		.amdhsa_exception_fp_denorm_src 0
		.amdhsa_exception_fp_ieee_div_zero 0
		.amdhsa_exception_fp_ieee_overflow 0
		.amdhsa_exception_fp_ieee_underflow 0
		.amdhsa_exception_fp_ieee_inexact 0
		.amdhsa_exception_int_div_zero 0
	.end_amdhsa_kernel
	.section	.text._ZN5aiter36smooth_per_token_scaled_quant_kernelItaLi256ELi8ELb1ELb0ELb0ELi1024EEEvPT0_PfPT_S3_PiS6_iiPKiiiiiiiii,"axG",@progbits,_ZN5aiter36smooth_per_token_scaled_quant_kernelItaLi256ELi8ELb1ELb0ELb0ELi1024EEEvPT0_PfPT_S3_PiS6_iiPKiiiiiiiii,comdat
.Lfunc_end103:
	.size	_ZN5aiter36smooth_per_token_scaled_quant_kernelItaLi256ELi8ELb1ELb0ELb0ELi1024EEEvPT0_PfPT_S3_PiS6_iiPKiiiiiiiii, .Lfunc_end103-_ZN5aiter36smooth_per_token_scaled_quant_kernelItaLi256ELi8ELb1ELb0ELb0ELi1024EEEvPT0_PfPT_S3_PiS6_iiPKiiiiiiiii
                                        ; -- End function
	.section	.AMDGPU.csdata,"",@progbits
; Kernel info:
; codeLenInByte = 1412
; NumSgprs: 46
; NumVgprs: 26
; NumAgprs: 0
; TotalNumVgprs: 26
; ScratchSize: 0
; MemoryBound: 0
; FloatMode: 240
; IeeeMode: 1
; LDSByteSize: 16 bytes/workgroup (compile time only)
; SGPRBlocks: 5
; VGPRBlocks: 3
; NumSGPRsForWavesPerEU: 46
; NumVGPRsForWavesPerEU: 26
; AccumOffset: 28
; Occupancy: 8
; WaveLimiterHint : 0
; COMPUTE_PGM_RSRC2:SCRATCH_EN: 0
; COMPUTE_PGM_RSRC2:USER_SGPR: 6
; COMPUTE_PGM_RSRC2:TRAP_HANDLER: 0
; COMPUTE_PGM_RSRC2:TGID_X_EN: 1
; COMPUTE_PGM_RSRC2:TGID_Y_EN: 0
; COMPUTE_PGM_RSRC2:TGID_Z_EN: 0
; COMPUTE_PGM_RSRC2:TIDIG_COMP_CNT: 0
; COMPUTE_PGM_RSRC3_GFX90A:ACCUM_OFFSET: 6
; COMPUTE_PGM_RSRC3_GFX90A:TG_SPLIT: 0
	.section	.text._ZN5aiter36smooth_per_token_scaled_quant_kernelIDF16_aLi256ELi8ELb0ELb1ELb1ELi1024EEEvPT0_PfPT_S3_PiS6_iiPKiiiiiiiii,"axG",@progbits,_ZN5aiter36smooth_per_token_scaled_quant_kernelIDF16_aLi256ELi8ELb0ELb1ELb1ELi1024EEEvPT0_PfPT_S3_PiS6_iiPKiiiiiiiii,comdat
	.protected	_ZN5aiter36smooth_per_token_scaled_quant_kernelIDF16_aLi256ELi8ELb0ELb1ELb1ELi1024EEEvPT0_PfPT_S3_PiS6_iiPKiiiiiiiii ; -- Begin function _ZN5aiter36smooth_per_token_scaled_quant_kernelIDF16_aLi256ELi8ELb0ELb1ELb1ELi1024EEEvPT0_PfPT_S3_PiS6_iiPKiiiiiiiii
	.globl	_ZN5aiter36smooth_per_token_scaled_quant_kernelIDF16_aLi256ELi8ELb0ELb1ELb1ELi1024EEEvPT0_PfPT_S3_PiS6_iiPKiiiiiiiii
	.p2align	8
	.type	_ZN5aiter36smooth_per_token_scaled_quant_kernelIDF16_aLi256ELi8ELb0ELb1ELb1ELi1024EEEvPT0_PfPT_S3_PiS6_iiPKiiiiiiiii,@function
_ZN5aiter36smooth_per_token_scaled_quant_kernelIDF16_aLi256ELi8ELb0ELb1ELb1ELi1024EEEvPT0_PfPT_S3_PiS6_iiPKiiiiiiiii: ; @_ZN5aiter36smooth_per_token_scaled_quant_kernelIDF16_aLi256ELi8ELb0ELb1ELb1ELi1024EEEvPT0_PfPT_S3_PiS6_iiPKiiiiiiiii
; %bb.0:
	s_load_dwordx2 s[16:17], s[4:5], 0x38
	s_load_dwordx2 s[0:1], s[4:5], 0x28
	s_load_dwordx8 s[8:15], s[4:5], 0x40
	s_mov_b64 s[2:3], 0
	s_waitcnt lgkmcnt(0)
	s_cmp_lg_u64 s[16:17], 0
	s_cbranch_scc0 .LBB104_11
; %bb.1:
	s_load_dword s7, s[16:17], 0x0
	s_waitcnt lgkmcnt(0)
	s_mul_i32 s7, s7, s8
	s_andn2_b64 vcc, exec, s[2:3]
	s_cbranch_vccnz .LBB104_3
.LBB104_2:
	s_mul_i32 s7, s10, s9
.LBB104_3:
	s_load_dwordx2 s[8:9], s[4:5], 0x30
	v_and_b32_e32 v1, 0x3c0, v0
	v_lshlrev_b32_e32 v1, 2, v1
	s_lshl_b32 s2, s15, 2
	v_lshlrev_b32_e32 v2, 2, v0
	v_readfirstlane_b32 s15, v1
	v_add_u32_e32 v3, 0x400, v1
	s_and_b32 s1, s1, 0xffff
	s_mov_b32 s3, 0x20000
	;;#ASMSTART
	s_mov_b32 m0 s15
	buffer_load_dword v2, s[0:3], 0 offen offset:0 lds
	
	;;#ASMEND
	v_readfirstlane_b32 s15, v3
	v_add_u32_e32 v3, 0x400, v2
	;;#ASMSTART
	s_mov_b32 m0 s15
	buffer_load_dword v3, s[0:3], 0 offen offset:0 lds
	
	;;#ASMEND
	v_add_u32_e32 v3, 0x800, v1
	s_waitcnt lgkmcnt(0)
	s_abs_i32 s16, s8
	v_readfirstlane_b32 s15, v3
	v_cvt_f32_u32_e32 v3, s16
	v_add_u32_e32 v1, 0xc00, v1
	v_add_u32_e32 v4, 0x800, v2
	v_readfirstlane_b32 s18, v1
	v_rcp_iflag_f32_e32 v3, v3
	v_add_u32_e32 v1, 0xc00, v2
	s_sub_i32 s19, 0, s16
	s_abs_i32 s17, s7
	v_mul_f32_e32 v2, 0x4f7ffffe, v3
	v_cvt_u32_f32_e32 v2, v2
	;;#ASMSTART
	s_mov_b32 m0 s15
	buffer_load_dword v4, s[0:3], 0 offen offset:0 lds
	
	;;#ASMEND
	s_xor_b32 s15, s7, s8
	s_ashr_i32 s15, s15, 31
	v_readfirstlane_b32 s20, v2
	s_mul_i32 s19, s19, s20
	s_mul_hi_u32 s19, s20, s19
	s_add_i32 s20, s20, s19
	s_mul_hi_u32 s19, s17, s20
	s_mul_i32 s20, s19, s16
	s_sub_i32 s17, s17, s20
	s_add_i32 s20, s19, 1
	s_sub_i32 s21, s17, s16
	s_cmp_ge_u32 s17, s16
	s_cselect_b32 s19, s20, s19
	s_cselect_b32 s17, s21, s17
	s_add_i32 s20, s19, 1
	s_cmp_ge_u32 s17, s16
	s_cselect_b32 s16, s20, s19
	s_xor_b32 s16, s16, s15
	s_sub_i32 s15, s16, s15
	s_mul_i32 s8, s15, s8
	s_sub_i32 s8, s7, s8
	s_cmp_lt_u32 s6, s8
	;;#ASMSTART
	s_mov_b32 m0 s18
	buffer_load_dword v1, s[0:3], 0 offen offset:0 lds
	
	;;#ASMEND
	s_cselect_b64 s[16:17], -1, 0
	s_add_i32 s7, s15, 1
	s_cmp_ge_u32 s6, s8
	s_cbranch_scc0 .LBB104_5
; %bb.4:
	s_sub_i32 s1, s6, s8
	s_mul_i32 s0, s8, s7
	s_mul_i32 s1, s1, s15
	s_add_i32 s34, s1, s0
	s_cbranch_execz .LBB104_6
	s_branch .LBB104_7
.LBB104_5:
                                        ; implicit-def: $sgpr34
.LBB104_6:
	s_mul_i32 s34, s7, s6
.LBB104_7:
	v_cndmask_b32_e64 v1, 0, 1, s[16:17]
	v_readfirstlane_b32 s0, v1
	s_add_i32 s8, s15, s0
	s_cmp_lt_i32 s8, 1
	s_cbranch_scc1 .LBB104_35
; %bb.8:
	s_load_dwordx2 s[0:1], s[4:5], 0x20
	s_ashr_i32 s35, s34, 31
	s_lshl_b64 s[2:3], s[34:35], 2
	v_and_b32_e32 v1, 63, v0
	s_mov_b32 s27, 0x20000
	s_waitcnt lgkmcnt(0)
	s_add_u32 s24, s0, s2
	s_addc_u32 s0, s1, s3
	s_lshl_b32 s26, s8, 2
	s_and_b32 s25, s0, 0xffff
	v_lshlrev_b32_e32 v22, 2, v1
	buffer_load_dword v2, v22, s[24:27], 0 offen
	s_abs_i32 s40, s10
	v_cmp_eq_u32_e64 s[0:1], 63, v1
	v_cvt_f32_u32_e32 v1, s40
	s_add_i32 s2, s9, 7
	s_load_dwordx8 s[16:23], s[4:5], 0x0
	s_ashr_i32 s4, s2, 31
	v_rcp_iflag_f32_e32 v1, v1
	s_waitcnt vmcnt(0) lgkmcnt(0)
	s_barrier
	v_mul_f32_e32 v1, 0x4f7ffffe, v1
	v_cvt_u32_f32_e32 v1, v1
	s_add_i32 s3, s9, 3
	s_lshr_b32 s4, s4, 29
	s_ashr_i32 s5, s3, 31
	s_add_i32 s2, s2, s4
	s_sub_i32 s4, 0, s40
	v_readfirstlane_b32 s41, v1
	s_lshr_b32 s5, s5, 30
	s_mul_i32 s4, s4, s41
	s_add_i32 s3, s3, s5
	s_mul_hi_u32 s4, s41, s4
	v_lshrrev_b32_e32 v3, 4, v0
	v_mov_b32_e32 v4, 0x1000
	v_and_b32_e32 v5, 3, v0
	s_lshl_b32 s6, s9, 1
	s_lshl_b32 s30, s9, 2
	s_ashr_i32 s33, s10, 31
	s_ashr_i32 s2, s2, 3
	s_and_b32 s38, s3, -4
	s_add_i32 s41, s41, s4
	s_mov_b32 s15, s9
	v_lshlrev_b32_e32 v16, 4, v0
	v_lshlrev_b32_e32 v17, 5, v0
	v_cmp_eq_u32_e32 vcc, 0, v0
	v_and_or_b32 v18, v3, 60, v4
	v_lshl_or_b32 v19, v5, 2, v4
	v_cmp_gt_u32_e64 s[2:3], s2, v0
	v_lshlrev_b32_e32 v20, 3, v0
	v_lshlrev_b32_e32 v2, 2, v2
	ds_read_b32 v21, v2
	s_waitcnt lgkmcnt(0)
	v_readlane_b32 s28, v21, 0
	s_cmp_lt_i32 s28, 0
	s_cbranch_scc1 .LBB104_12
; %bb.9:
	s_abs_i32 s4, s34
	s_mul_hi_u32 s5, s4, s41
	s_mul_i32 s27, s5, s40
	s_sub_i32 s4, s4, s27
	s_xor_b32 s7, s35, s33
	s_add_i32 s27, s5, 1
	s_sub_i32 s29, s4, s40
	s_cmp_ge_u32 s4, s40
	s_cselect_b32 s5, s27, s5
	s_cselect_b32 s4, s29, s4
	s_add_i32 s27, s5, 1
	s_cmp_ge_u32 s4, s40
	s_cselect_b32 s4, s27, s5
	s_xor_b32 s4, s4, s7
	s_sub_i32 s27, s4, s7
	s_mul_i32 s4, s27, s10
	s_sub_i32 s36, s34, s4
	s_mul_i32 s4, s36, s12
	s_mul_i32 s5, s27, s11
	s_add_i32 s35, s4, s5
	s_cmp_eq_u32 s35, -1
	s_cbranch_scc1 .LBB104_13
; %bb.10:
	s_mul_hi_i32 s5, s35, s15
	s_mul_i32 s4, s35, s15
	s_lshl_b64 s[4:5], s[4:5], 1
	s_add_u32 s4, s20, s4
	s_addc_u32 s5, s21, s5
	s_and_b32 s5, s5, 0xffff
	s_mov_b32 s7, 0x20000
	buffer_load_dwordx4 v[4:7], v16, s[4:7], 0 offen
	s_waitcnt vmcnt(0)
	v_cvt_f32_f16_e32 v0, v4
	v_cvt_f32_f16_sdwa v1, v4 dst_sel:DWORD dst_unused:UNUSED_PAD src0_sel:WORD_1
	v_cvt_f32_f16_e32 v2, v5
	v_cvt_f32_f16_sdwa v3, v5 dst_sel:DWORD dst_unused:UNUSED_PAD src0_sel:WORD_1
	;; [unrolled: 2-line block ×4, first 2 shown]
	s_branch .LBB104_14
.LBB104_11:
                                        ; implicit-def: $sgpr7
	s_branch .LBB104_2
.LBB104_12:
	s_mov_b32 s35, -1
                                        ; implicit-def: $vgpr0_vgpr1_vgpr2_vgpr3_vgpr4_vgpr5_vgpr6_vgpr7
	s_cmp_eq_u32 s8, 1
	s_mov_b32 s42, 1
	s_cbranch_scc0 .LBB104_21
	s_branch .LBB104_35
.LBB104_13:
                                        ; implicit-def: $vgpr0_vgpr1_vgpr2_vgpr3_vgpr4_vgpr5_vgpr6_vgpr7
.LBB104_14:
	s_mul_i32 s4, s28, s9
	s_ashr_i32 s5, s4, 31
	s_lshl_b64 s[4:5], s[4:5], 2
	s_add_u32 s28, s22, s4
	s_addc_u32 s4, s23, s5
	s_and_b32 s29, s4, 0xffff
	s_mov_b32 s31, 0x20000
	buffer_load_dwordx4 v[8:11], v17, s[28:31], 0 offen
	buffer_load_dwordx4 v[12:15], v17, s[28:31], 16 offen
	s_mov_b32 s4, 0x2edbe6ff
	s_waitcnt vmcnt(1)
	v_pk_mul_f32 v[8:9], v[0:1], v[8:9]
	v_pk_mul_f32 v[10:11], v[2:3], v[10:11]
	v_max3_f32 v23, |v8|, s4, |v9|
	s_waitcnt vmcnt(0)
	v_pk_mul_f32 v[12:13], v[4:5], v[12:13]
	v_max3_f32 v23, v23, |v10|, |v11|
	v_pk_mul_f32 v[14:15], v[6:7], v[14:15]
	v_max3_f32 v23, v23, |v12|, |v13|
	v_max3_f32 v23, v23, |v14|, |v15|
	s_nop 1
	v_mov_b32_dpp v24, v23 quad_perm:[1,0,3,2] row_mask:0xf bank_mask:0xf
	v_cmp_gt_f32_e64 s[4:5], v23, v24
	v_cndmask_b32_e64 v23, v24, v23, s[4:5]
	s_nop 1
	v_mov_b32_dpp v24, v23 quad_perm:[2,3,0,1] row_mask:0xf bank_mask:0xf
	v_cmp_gt_f32_e64 s[4:5], v23, v24
	v_cndmask_b32_e64 v23, v24, v23, s[4:5]
	s_nop 1
	v_mov_b32_dpp v24, v23 row_half_mirror row_mask:0xf bank_mask:0xf
	v_cmp_gt_f32_e64 s[4:5], v23, v24
	v_cndmask_b32_e64 v23, v24, v23, s[4:5]
	s_nop 1
	v_mov_b32_dpp v24, v23 row_mirror row_mask:0xf bank_mask:0xf
	v_cmp_gt_f32_e64 s[4:5], v23, v24
	v_cndmask_b32_e64 v23, v24, v23, s[4:5]
	s_nop 1
	v_mov_b32_dpp v24, v23 row_bcast:15 row_mask:0xf bank_mask:0xf
	v_cmp_gt_f32_e64 s[4:5], v23, v24
	v_cndmask_b32_e64 v23, v24, v23, s[4:5]
	s_nop 1
	v_mov_b32_dpp v24, v23 row_bcast:31 row_mask:0xf bank_mask:0xf
	s_and_saveexec_b64 s[28:29], s[0:1]
	s_cbranch_execz .LBB104_16
; %bb.15:
	v_cmp_gt_f32_e64 s[4:5], v23, v24
	v_cndmask_b32_e64 v23, v24, v23, s[4:5]
	ds_write_b32 v18, v23
.LBB104_16:
	s_or_b64 exec, exec, s[28:29]
	s_waitcnt lgkmcnt(0)
	s_barrier
	ds_read_b32 v23, v19
	s_mul_i32 s27, s27, s13
	s_waitcnt lgkmcnt(0)
	v_mov_b32_dpp v24, v23 quad_perm:[1,0,3,2] row_mask:0xf bank_mask:0xf
	v_cmp_gt_f32_e64 s[4:5], v23, v24
	v_cndmask_b32_e64 v23, v24, v23, s[4:5]
	s_nop 1
	v_mov_b32_dpp v24, v23 quad_perm:[2,3,0,1] row_mask:0xf bank_mask:0xf
	v_cmp_gt_f32_e64 s[4:5], v23, v24
	v_cndmask_b32_e64 v23, v24, v23, s[4:5]
	s_mul_i32 s4, s36, s14
	v_mul_f32_e32 v23, 0x3c010204, v23
	s_add_i32 s28, s4, s27
	s_and_saveexec_b64 s[4:5], vcc
	s_cbranch_execz .LBB104_18
; %bb.17:
	s_ashr_i32 s29, s28, 31
	s_lshl_b64 s[36:37], s[28:29], 2
	s_add_u32 s36, s18, s36
	s_addc_u32 s37, s19, s37
	v_mov_b32_e32 v24, 0
	global_store_dword v24, v23, s[36:37]
.LBB104_18:
	s_or_b64 exec, exec, s[4:5]
	s_and_saveexec_b64 s[4:5], s[2:3]
	s_cbranch_execz .LBB104_20
; %bb.19:
	v_rcp_f32_e32 v24, v23
	s_mul_i32 s27, s28, s15
	s_mul_hi_i32 s7, s28, s15
	s_add_u32 s36, s16, s27
	v_mov_b32_e32 v25, v24
	;;#ASMSTART
	v_pk_mul_f32 v[8:9], v[8:9], v[24:25]
	;;#ASMEND
	v_cvt_i32_f32_e32 v23, v8
	v_cvt_i32_f32_sdwa v26, v9 dst_sel:BYTE_1 dst_unused:UNUSED_PAD src0_sel:DWORD
	;;#ASMSTART
	v_pk_mul_f32 v[8:9], v[10:11], v[24:25]
	;;#ASMEND
	v_cvt_i32_f32_e32 v10, v8
	v_cvt_i32_f32_sdwa v11, v9 dst_sel:BYTE_1 dst_unused:UNUSED_PAD src0_sel:DWORD
	;; [unrolled: 5-line block ×4, first 2 shown]
	v_or_b32_sdwa v8, v23, v26 dst_sel:DWORD dst_unused:UNUSED_PAD src0_sel:BYTE_0 src1_sel:DWORD
	v_or_b32_sdwa v10, v10, v11 dst_sel:WORD_1 dst_unused:UNUSED_PAD src0_sel:BYTE_0 src1_sel:DWORD
	s_addc_u32 s7, s17, s7
	v_or_b32_sdwa v8, v8, v10 dst_sel:DWORD dst_unused:UNUSED_PAD src0_sel:WORD_0 src1_sel:DWORD
	v_or_b32_sdwa v10, v12, v13 dst_sel:DWORD dst_unused:UNUSED_PAD src0_sel:BYTE_0 src1_sel:DWORD
	v_or_b32_sdwa v9, v14, v9 dst_sel:WORD_1 dst_unused:UNUSED_PAD src0_sel:BYTE_0 src1_sel:DWORD
	s_and_b32 s37, s7, 0xffff
	s_mov_b32 s39, 0x20000
	v_or_b32_sdwa v9, v10, v9 dst_sel:DWORD dst_unused:UNUSED_PAD src0_sel:WORD_0 src1_sel:DWORD
	buffer_store_dwordx2 v[8:9], v20, s[36:39], 0 offen
	;;#ASMSTART
	s_nop 0
	;;#ASMEND
.LBB104_20:
	s_or_b64 exec, exec, s[4:5]
	s_cmp_eq_u32 s8, 1
	s_mov_b32 s42, 1
	s_cbranch_scc1 .LBB104_35
.LBB104_21:
	v_add_u32_e32 v22, 4, v22
	s_mov_b32 s31, 0x20000
	s_mov_b32 s43, 0x2edbe6ff
	v_mov_b32_e32 v23, 0
	s_branch .LBB104_24
.LBB104_22:                             ;   in Loop: Header=BB104_24 Depth=1
	s_or_b64 exec, exec, s[4:5]
.LBB104_23:                             ;   in Loop: Header=BB104_24 Depth=1
	s_add_i32 s42, s42, 1
	s_cmp_eq_u32 s8, s42
	v_add_u32_e32 v22, 4, v22
	s_cbranch_scc1 .LBB104_35
.LBB104_24:                             ; =>This Inner Loop Header: Depth=1
	s_and_b32 s4, s42, 63
	s_cmp_lg_u32 s4, 0
	s_cbranch_scc1 .LBB104_26
; %bb.25:                               ;   in Loop: Header=BB104_24 Depth=1
	s_mov_b32 s27, s31
	buffer_load_dword v8, v22, s[24:27], 0 offen
	s_waitcnt vmcnt(0)
	v_lshlrev_b32_e32 v8, 2, v8
	ds_read_b32 v21, v8
.LBB104_26:                             ;   in Loop: Header=BB104_24 Depth=1
	s_waitcnt lgkmcnt(0)
	v_readlane_b32 s28, v21, s4
	s_cmp_lt_i32 s28, 0
	s_cbranch_scc1 .LBB104_23
; %bb.27:                               ;   in Loop: Header=BB104_24 Depth=1
	s_add_i32 s4, s34, s42
	s_abs_i32 s7, s4
	s_mul_hi_u32 s27, s7, s41
	s_mul_i32 s29, s27, s40
	s_ashr_i32 s5, s4, 31
	s_sub_i32 s7, s7, s29
	s_xor_b32 s5, s5, s33
	s_add_i32 s29, s27, 1
	s_sub_i32 s36, s7, s40
	s_cmp_ge_u32 s7, s40
	s_cselect_b32 s27, s29, s27
	s_cselect_b32 s7, s36, s7
	s_add_i32 s29, s27, 1
	s_cmp_ge_u32 s7, s40
	s_cselect_b32 s7, s29, s27
	s_xor_b32 s7, s7, s5
	s_sub_i32 s27, s7, s5
	s_mul_i32 s5, s27, s10
	s_sub_i32 s36, s4, s5
	s_mul_i32 s29, s36, s12
	s_mul_i32 s4, s27, s11
	s_add_i32 s29, s29, s4
	s_cmp_eq_u32 s29, s35
	s_cbranch_scc1 .LBB104_29
; %bb.28:                               ;   in Loop: Header=BB104_24 Depth=1
	s_mul_hi_i32 s5, s29, s15
	s_mul_i32 s4, s29, s15
	s_lshl_b64 s[4:5], s[4:5], 1
	s_add_u32 s4, s20, s4
	s_addc_u32 s5, s21, s5
	s_and_b32 s5, s5, 0xffff
	s_mov_b32 s7, s31
	buffer_load_dwordx4 v[4:7], v16, s[4:7], 0 offen
	s_mov_b32 s35, s29
	s_waitcnt vmcnt(0)
	v_cvt_f32_f16_e32 v0, v4
	v_cvt_f32_f16_sdwa v1, v4 dst_sel:DWORD dst_unused:UNUSED_PAD src0_sel:WORD_1
	v_cvt_f32_f16_e32 v2, v5
	v_cvt_f32_f16_sdwa v3, v5 dst_sel:DWORD dst_unused:UNUSED_PAD src0_sel:WORD_1
	v_cvt_f32_f16_e32 v4, v6
	v_cvt_f32_f16_sdwa v5, v6 dst_sel:DWORD dst_unused:UNUSED_PAD src0_sel:WORD_1
	v_cvt_f32_f16_e32 v6, v7
	v_cvt_f32_f16_sdwa v7, v7 dst_sel:DWORD dst_unused:UNUSED_PAD src0_sel:WORD_1
.LBB104_29:                             ;   in Loop: Header=BB104_24 Depth=1
	s_mul_i32 s4, s28, s9
	s_ashr_i32 s5, s4, 31
	s_lshl_b64 s[4:5], s[4:5], 2
	s_add_u32 s28, s22, s4
	s_addc_u32 s4, s23, s5
	s_and_b32 s29, s4, 0xffff
	buffer_load_dwordx4 v[8:11], v17, s[28:31], 0 offen
	buffer_load_dwordx4 v[12:15], v17, s[28:31], 16 offen
	s_waitcnt vmcnt(1)
	v_pk_mul_f32 v[8:9], v[0:1], v[8:9]
	v_pk_mul_f32 v[10:11], v[2:3], v[10:11]
	v_max3_f32 v24, |v8|, s43, |v9|
	s_waitcnt vmcnt(0)
	v_pk_mul_f32 v[12:13], v[4:5], v[12:13]
	v_max3_f32 v24, v24, |v10|, |v11|
	v_pk_mul_f32 v[14:15], v[6:7], v[14:15]
	v_max3_f32 v24, v24, |v12|, |v13|
	v_max3_f32 v24, v24, |v14|, |v15|
	s_nop 1
	v_mov_b32_dpp v25, v24 quad_perm:[1,0,3,2] row_mask:0xf bank_mask:0xf
	v_cmp_gt_f32_e64 s[4:5], v24, v25
	v_cndmask_b32_e64 v24, v25, v24, s[4:5]
	s_nop 1
	v_mov_b32_dpp v25, v24 quad_perm:[2,3,0,1] row_mask:0xf bank_mask:0xf
	v_cmp_gt_f32_e64 s[4:5], v24, v25
	v_cndmask_b32_e64 v24, v25, v24, s[4:5]
	s_nop 1
	v_mov_b32_dpp v25, v24 row_half_mirror row_mask:0xf bank_mask:0xf
	v_cmp_gt_f32_e64 s[4:5], v24, v25
	v_cndmask_b32_e64 v24, v25, v24, s[4:5]
	s_nop 1
	v_mov_b32_dpp v25, v24 row_mirror row_mask:0xf bank_mask:0xf
	v_cmp_gt_f32_e64 s[4:5], v24, v25
	v_cndmask_b32_e64 v24, v25, v24, s[4:5]
	s_nop 1
	v_mov_b32_dpp v25, v24 row_bcast:15 row_mask:0xf bank_mask:0xf
	v_cmp_gt_f32_e64 s[4:5], v24, v25
	v_cndmask_b32_e64 v24, v25, v24, s[4:5]
	s_nop 1
	v_mov_b32_dpp v25, v24 row_bcast:31 row_mask:0xf bank_mask:0xf
	s_and_saveexec_b64 s[28:29], s[0:1]
	s_cbranch_execz .LBB104_31
; %bb.30:                               ;   in Loop: Header=BB104_24 Depth=1
	v_cmp_gt_f32_e64 s[4:5], v24, v25
	v_cndmask_b32_e64 v24, v25, v24, s[4:5]
	ds_write_b32 v18, v24
.LBB104_31:                             ;   in Loop: Header=BB104_24 Depth=1
	s_or_b64 exec, exec, s[28:29]
	s_waitcnt lgkmcnt(0)
	s_barrier
	ds_read_b32 v24, v19
	s_mul_i32 s27, s27, s13
	s_waitcnt lgkmcnt(0)
	v_mov_b32_dpp v25, v24 quad_perm:[1,0,3,2] row_mask:0xf bank_mask:0xf
	v_cmp_gt_f32_e64 s[4:5], v24, v25
	v_cndmask_b32_e64 v24, v25, v24, s[4:5]
	s_nop 1
	v_mov_b32_dpp v25, v24 quad_perm:[2,3,0,1] row_mask:0xf bank_mask:0xf
	v_cmp_gt_f32_e64 s[4:5], v24, v25
	v_cndmask_b32_e64 v24, v25, v24, s[4:5]
	s_mul_i32 s4, s36, s14
	v_mul_f32_e32 v24, 0x3c010204, v24
	s_add_i32 s28, s4, s27
	s_and_saveexec_b64 s[4:5], vcc
	s_cbranch_execz .LBB104_33
; %bb.32:                               ;   in Loop: Header=BB104_24 Depth=1
	s_ashr_i32 s29, s28, 31
	s_lshl_b64 s[36:37], s[28:29], 2
	s_add_u32 s36, s18, s36
	s_addc_u32 s37, s19, s37
	global_store_dword v23, v24, s[36:37]
.LBB104_33:                             ;   in Loop: Header=BB104_24 Depth=1
	s_or_b64 exec, exec, s[4:5]
	s_and_saveexec_b64 s[4:5], s[2:3]
	s_cbranch_execz .LBB104_22
; %bb.34:                               ;   in Loop: Header=BB104_24 Depth=1
	v_rcp_f32_e32 v24, v24
	s_mul_i32 s27, s28, s15
	s_mul_hi_i32 s7, s28, s15
	s_add_u32 s36, s16, s27
	v_mov_b32_e32 v25, v24
	;;#ASMSTART
	v_pk_mul_f32 v[8:9], v[8:9], v[24:25]
	;;#ASMEND
	v_cvt_i32_f32_e32 v26, v8
	v_cvt_i32_f32_sdwa v27, v9 dst_sel:BYTE_1 dst_unused:UNUSED_PAD src0_sel:DWORD
	;;#ASMSTART
	v_pk_mul_f32 v[8:9], v[10:11], v[24:25]
	;;#ASMEND
	v_cvt_i32_f32_e32 v10, v8
	v_cvt_i32_f32_sdwa v11, v9 dst_sel:BYTE_1 dst_unused:UNUSED_PAD src0_sel:DWORD
	;; [unrolled: 5-line block ×4, first 2 shown]
	v_or_b32_sdwa v8, v26, v27 dst_sel:DWORD dst_unused:UNUSED_PAD src0_sel:BYTE_0 src1_sel:DWORD
	v_or_b32_sdwa v10, v10, v11 dst_sel:WORD_1 dst_unused:UNUSED_PAD src0_sel:BYTE_0 src1_sel:DWORD
	s_addc_u32 s7, s17, s7
	v_or_b32_sdwa v8, v8, v10 dst_sel:DWORD dst_unused:UNUSED_PAD src0_sel:WORD_0 src1_sel:DWORD
	v_or_b32_sdwa v10, v12, v13 dst_sel:DWORD dst_unused:UNUSED_PAD src0_sel:BYTE_0 src1_sel:DWORD
	v_or_b32_sdwa v9, v14, v9 dst_sel:WORD_1 dst_unused:UNUSED_PAD src0_sel:BYTE_0 src1_sel:DWORD
	s_and_b32 s37, s7, 0xffff
	s_mov_b32 s39, s31
	v_or_b32_sdwa v9, v10, v9 dst_sel:DWORD dst_unused:UNUSED_PAD src0_sel:WORD_0 src1_sel:DWORD
	buffer_store_dwordx2 v[8:9], v20, s[36:39], 0 offen
	;;#ASMSTART
	s_nop 0
	;;#ASMEND
	s_branch .LBB104_22
.LBB104_35:
	s_endpgm
	.section	.rodata,"a",@progbits
	.p2align	6, 0x0
	.amdhsa_kernel _ZN5aiter36smooth_per_token_scaled_quant_kernelIDF16_aLi256ELi8ELb0ELb1ELb1ELi1024EEEvPT0_PfPT_S3_PiS6_iiPKiiiiiiiii
		.amdhsa_group_segment_fixed_size 4112
		.amdhsa_private_segment_fixed_size 0
		.amdhsa_kernarg_size 96
		.amdhsa_user_sgpr_count 6
		.amdhsa_user_sgpr_private_segment_buffer 1
		.amdhsa_user_sgpr_dispatch_ptr 0
		.amdhsa_user_sgpr_queue_ptr 0
		.amdhsa_user_sgpr_kernarg_segment_ptr 1
		.amdhsa_user_sgpr_dispatch_id 0
		.amdhsa_user_sgpr_flat_scratch_init 0
		.amdhsa_user_sgpr_kernarg_preload_length 0
		.amdhsa_user_sgpr_kernarg_preload_offset 0
		.amdhsa_user_sgpr_private_segment_size 0
		.amdhsa_uses_dynamic_stack 0
		.amdhsa_system_sgpr_private_segment_wavefront_offset 0
		.amdhsa_system_sgpr_workgroup_id_x 1
		.amdhsa_system_sgpr_workgroup_id_y 0
		.amdhsa_system_sgpr_workgroup_id_z 0
		.amdhsa_system_sgpr_workgroup_info 0
		.amdhsa_system_vgpr_workitem_id 0
		.amdhsa_next_free_vgpr 28
		.amdhsa_next_free_sgpr 44
		.amdhsa_accum_offset 28
		.amdhsa_reserve_vcc 1
		.amdhsa_reserve_flat_scratch 0
		.amdhsa_float_round_mode_32 0
		.amdhsa_float_round_mode_16_64 0
		.amdhsa_float_denorm_mode_32 3
		.amdhsa_float_denorm_mode_16_64 3
		.amdhsa_dx10_clamp 1
		.amdhsa_ieee_mode 1
		.amdhsa_fp16_overflow 0
		.amdhsa_tg_split 0
		.amdhsa_exception_fp_ieee_invalid_op 0
		.amdhsa_exception_fp_denorm_src 0
		.amdhsa_exception_fp_ieee_div_zero 0
		.amdhsa_exception_fp_ieee_overflow 0
		.amdhsa_exception_fp_ieee_underflow 0
		.amdhsa_exception_fp_ieee_inexact 0
		.amdhsa_exception_int_div_zero 0
	.end_amdhsa_kernel
	.section	.text._ZN5aiter36smooth_per_token_scaled_quant_kernelIDF16_aLi256ELi8ELb0ELb1ELb1ELi1024EEEvPT0_PfPT_S3_PiS6_iiPKiiiiiiiii,"axG",@progbits,_ZN5aiter36smooth_per_token_scaled_quant_kernelIDF16_aLi256ELi8ELb0ELb1ELb1ELi1024EEEvPT0_PfPT_S3_PiS6_iiPKiiiiiiiii,comdat
.Lfunc_end104:
	.size	_ZN5aiter36smooth_per_token_scaled_quant_kernelIDF16_aLi256ELi8ELb0ELb1ELb1ELi1024EEEvPT0_PfPT_S3_PiS6_iiPKiiiiiiiii, .Lfunc_end104-_ZN5aiter36smooth_per_token_scaled_quant_kernelIDF16_aLi256ELi8ELb0ELb1ELb1ELi1024EEEvPT0_PfPT_S3_PiS6_iiPKiiiiiiiii
                                        ; -- End function
	.section	.AMDGPU.csdata,"",@progbits
; Kernel info:
; codeLenInByte = 2508
; NumSgprs: 48
; NumVgprs: 28
; NumAgprs: 0
; TotalNumVgprs: 28
; ScratchSize: 0
; MemoryBound: 0
; FloatMode: 240
; IeeeMode: 1
; LDSByteSize: 4112 bytes/workgroup (compile time only)
; SGPRBlocks: 5
; VGPRBlocks: 3
; NumSGPRsForWavesPerEU: 48
; NumVGPRsForWavesPerEU: 28
; AccumOffset: 28
; Occupancy: 8
; WaveLimiterHint : 0
; COMPUTE_PGM_RSRC2:SCRATCH_EN: 0
; COMPUTE_PGM_RSRC2:USER_SGPR: 6
; COMPUTE_PGM_RSRC2:TRAP_HANDLER: 0
; COMPUTE_PGM_RSRC2:TGID_X_EN: 1
; COMPUTE_PGM_RSRC2:TGID_Y_EN: 0
; COMPUTE_PGM_RSRC2:TGID_Z_EN: 0
; COMPUTE_PGM_RSRC2:TIDIG_COMP_CNT: 0
; COMPUTE_PGM_RSRC3_GFX90A:ACCUM_OFFSET: 6
; COMPUTE_PGM_RSRC3_GFX90A:TG_SPLIT: 0
	.section	.text._ZN5aiter36smooth_per_token_scaled_quant_kernelItaLi256ELi8ELb0ELb1ELb1ELi1024EEEvPT0_PfPT_S3_PiS6_iiPKiiiiiiiii,"axG",@progbits,_ZN5aiter36smooth_per_token_scaled_quant_kernelItaLi256ELi8ELb0ELb1ELb1ELi1024EEEvPT0_PfPT_S3_PiS6_iiPKiiiiiiiii,comdat
	.protected	_ZN5aiter36smooth_per_token_scaled_quant_kernelItaLi256ELi8ELb0ELb1ELb1ELi1024EEEvPT0_PfPT_S3_PiS6_iiPKiiiiiiiii ; -- Begin function _ZN5aiter36smooth_per_token_scaled_quant_kernelItaLi256ELi8ELb0ELb1ELb1ELi1024EEEvPT0_PfPT_S3_PiS6_iiPKiiiiiiiii
	.globl	_ZN5aiter36smooth_per_token_scaled_quant_kernelItaLi256ELi8ELb0ELb1ELb1ELi1024EEEvPT0_PfPT_S3_PiS6_iiPKiiiiiiiii
	.p2align	8
	.type	_ZN5aiter36smooth_per_token_scaled_quant_kernelItaLi256ELi8ELb0ELb1ELb1ELi1024EEEvPT0_PfPT_S3_PiS6_iiPKiiiiiiiii,@function
_ZN5aiter36smooth_per_token_scaled_quant_kernelItaLi256ELi8ELb0ELb1ELb1ELi1024EEEvPT0_PfPT_S3_PiS6_iiPKiiiiiiiii: ; @_ZN5aiter36smooth_per_token_scaled_quant_kernelItaLi256ELi8ELb0ELb1ELb1ELi1024EEEvPT0_PfPT_S3_PiS6_iiPKiiiiiiiii
; %bb.0:
	s_load_dwordx2 s[16:17], s[4:5], 0x38
	s_load_dwordx2 s[0:1], s[4:5], 0x28
	s_load_dwordx8 s[8:15], s[4:5], 0x40
	s_mov_b64 s[2:3], 0
	s_waitcnt lgkmcnt(0)
	s_cmp_lg_u64 s[16:17], 0
	s_cbranch_scc0 .LBB105_11
; %bb.1:
	s_load_dword s7, s[16:17], 0x0
	s_waitcnt lgkmcnt(0)
	s_mul_i32 s7, s7, s8
	s_andn2_b64 vcc, exec, s[2:3]
	s_cbranch_vccnz .LBB105_3
.LBB105_2:
	s_mul_i32 s7, s10, s9
.LBB105_3:
	s_load_dwordx2 s[8:9], s[4:5], 0x30
	v_and_b32_e32 v1, 0x3c0, v0
	v_lshlrev_b32_e32 v1, 2, v1
	s_lshl_b32 s2, s15, 2
	v_lshlrev_b32_e32 v2, 2, v0
	v_readfirstlane_b32 s15, v1
	v_add_u32_e32 v3, 0x400, v1
	s_and_b32 s1, s1, 0xffff
	s_mov_b32 s3, 0x20000
	;;#ASMSTART
	s_mov_b32 m0 s15
	buffer_load_dword v2, s[0:3], 0 offen offset:0 lds
	
	;;#ASMEND
	v_readfirstlane_b32 s15, v3
	v_add_u32_e32 v3, 0x400, v2
	;;#ASMSTART
	s_mov_b32 m0 s15
	buffer_load_dword v3, s[0:3], 0 offen offset:0 lds
	
	;;#ASMEND
	v_add_u32_e32 v3, 0x800, v1
	s_waitcnt lgkmcnt(0)
	s_abs_i32 s16, s8
	v_readfirstlane_b32 s15, v3
	v_cvt_f32_u32_e32 v3, s16
	v_add_u32_e32 v1, 0xc00, v1
	v_add_u32_e32 v4, 0x800, v2
	v_readfirstlane_b32 s18, v1
	v_rcp_iflag_f32_e32 v3, v3
	v_add_u32_e32 v1, 0xc00, v2
	s_sub_i32 s19, 0, s16
	s_abs_i32 s17, s7
	v_mul_f32_e32 v2, 0x4f7ffffe, v3
	v_cvt_u32_f32_e32 v2, v2
	;;#ASMSTART
	s_mov_b32 m0 s15
	buffer_load_dword v4, s[0:3], 0 offen offset:0 lds
	
	;;#ASMEND
	s_xor_b32 s15, s7, s8
	s_ashr_i32 s15, s15, 31
	v_readfirstlane_b32 s20, v2
	s_mul_i32 s19, s19, s20
	s_mul_hi_u32 s19, s20, s19
	s_add_i32 s20, s20, s19
	s_mul_hi_u32 s19, s17, s20
	s_mul_i32 s20, s19, s16
	s_sub_i32 s17, s17, s20
	s_add_i32 s20, s19, 1
	s_sub_i32 s21, s17, s16
	s_cmp_ge_u32 s17, s16
	s_cselect_b32 s19, s20, s19
	s_cselect_b32 s17, s21, s17
	s_add_i32 s20, s19, 1
	s_cmp_ge_u32 s17, s16
	s_cselect_b32 s16, s20, s19
	s_xor_b32 s16, s16, s15
	s_sub_i32 s15, s16, s15
	s_mul_i32 s8, s15, s8
	s_sub_i32 s8, s7, s8
	s_cmp_lt_u32 s6, s8
	;;#ASMSTART
	s_mov_b32 m0 s18
	buffer_load_dword v1, s[0:3], 0 offen offset:0 lds
	
	;;#ASMEND
	s_cselect_b64 s[16:17], -1, 0
	s_add_i32 s7, s15, 1
	s_cmp_ge_u32 s6, s8
	s_cbranch_scc0 .LBB105_5
; %bb.4:
	s_sub_i32 s1, s6, s8
	s_mul_i32 s0, s8, s7
	s_mul_i32 s1, s1, s15
	s_add_i32 s34, s1, s0
	s_cbranch_execz .LBB105_6
	s_branch .LBB105_7
.LBB105_5:
                                        ; implicit-def: $sgpr34
.LBB105_6:
	s_mul_i32 s34, s7, s6
.LBB105_7:
	v_cndmask_b32_e64 v1, 0, 1, s[16:17]
	v_readfirstlane_b32 s0, v1
	s_add_i32 s8, s15, s0
	s_cmp_lt_i32 s8, 1
	s_cbranch_scc1 .LBB105_35
; %bb.8:
	s_load_dwordx2 s[0:1], s[4:5], 0x20
	s_ashr_i32 s35, s34, 31
	s_lshl_b64 s[2:3], s[34:35], 2
	v_and_b32_e32 v1, 63, v0
	s_mov_b32 s27, 0x20000
	s_waitcnt lgkmcnt(0)
	s_add_u32 s24, s0, s2
	s_addc_u32 s0, s1, s3
	s_lshl_b32 s26, s8, 2
	s_and_b32 s25, s0, 0xffff
	v_lshlrev_b32_e32 v22, 2, v1
	buffer_load_dword v2, v22, s[24:27], 0 offen
	s_abs_i32 s40, s10
	v_cmp_eq_u32_e64 s[0:1], 63, v1
	v_cvt_f32_u32_e32 v1, s40
	s_add_i32 s2, s9, 7
	s_load_dwordx8 s[16:23], s[4:5], 0x0
	s_ashr_i32 s4, s2, 31
	v_rcp_iflag_f32_e32 v1, v1
	s_waitcnt vmcnt(0) lgkmcnt(0)
	s_barrier
	v_mul_f32_e32 v1, 0x4f7ffffe, v1
	v_cvt_u32_f32_e32 v1, v1
	s_add_i32 s3, s9, 3
	s_lshr_b32 s4, s4, 29
	s_ashr_i32 s5, s3, 31
	s_add_i32 s2, s2, s4
	s_sub_i32 s4, 0, s40
	v_readfirstlane_b32 s41, v1
	s_lshr_b32 s5, s5, 30
	s_mul_i32 s4, s4, s41
	s_add_i32 s3, s3, s5
	s_mul_hi_u32 s4, s41, s4
	v_lshrrev_b32_e32 v3, 4, v0
	v_mov_b32_e32 v4, 0x1000
	v_and_b32_e32 v5, 3, v0
	s_lshl_b32 s6, s9, 1
	s_lshl_b32 s30, s9, 2
	s_ashr_i32 s33, s10, 31
	s_ashr_i32 s2, s2, 3
	s_and_b32 s38, s3, -4
	s_add_i32 s41, s41, s4
	s_mov_b32 s15, s9
	v_lshlrev_b32_e32 v16, 4, v0
	v_lshlrev_b32_e32 v17, 5, v0
	v_cmp_eq_u32_e32 vcc, 0, v0
	v_and_or_b32 v18, v3, 60, v4
	v_lshl_or_b32 v19, v5, 2, v4
	v_cmp_gt_u32_e64 s[2:3], s2, v0
	v_lshlrev_b32_e32 v20, 3, v0
	v_lshlrev_b32_e32 v2, 2, v2
	ds_read_b32 v21, v2
	s_waitcnt lgkmcnt(0)
	v_readlane_b32 s28, v21, 0
	s_cmp_lt_i32 s28, 0
	s_cbranch_scc1 .LBB105_12
; %bb.9:
	s_abs_i32 s4, s34
	s_mul_hi_u32 s5, s4, s41
	s_mul_i32 s27, s5, s40
	s_sub_i32 s4, s4, s27
	s_xor_b32 s7, s35, s33
	s_add_i32 s27, s5, 1
	s_sub_i32 s29, s4, s40
	s_cmp_ge_u32 s4, s40
	s_cselect_b32 s5, s27, s5
	s_cselect_b32 s4, s29, s4
	s_add_i32 s27, s5, 1
	s_cmp_ge_u32 s4, s40
	s_cselect_b32 s4, s27, s5
	s_xor_b32 s4, s4, s7
	s_sub_i32 s27, s4, s7
	s_mul_i32 s4, s27, s10
	s_sub_i32 s36, s34, s4
	s_mul_i32 s4, s36, s12
	s_mul_i32 s5, s27, s11
	s_add_i32 s35, s4, s5
	s_cmp_eq_u32 s35, -1
	s_cbranch_scc1 .LBB105_13
; %bb.10:
	s_mul_hi_i32 s5, s35, s15
	s_mul_i32 s4, s35, s15
	s_lshl_b64 s[4:5], s[4:5], 1
	s_add_u32 s4, s20, s4
	s_addc_u32 s5, s21, s5
	s_and_b32 s5, s5, 0xffff
	s_mov_b32 s7, 0x20000
	buffer_load_dwordx4 v[6:9], v16, s[4:7], 0 offen
	s_waitcnt vmcnt(0)
	v_cvt_f32_u32_sdwa v1, v6 dst_sel:DWORD dst_unused:UNUSED_PAD src0_sel:WORD_1
	v_cvt_f32_u32_sdwa v0, v6 dst_sel:DWORD dst_unused:UNUSED_PAD src0_sel:WORD_0
	v_cvt_f32_u32_sdwa v3, v7 dst_sel:DWORD dst_unused:UNUSED_PAD src0_sel:WORD_1
	v_cvt_f32_u32_sdwa v2, v7 dst_sel:DWORD dst_unused:UNUSED_PAD src0_sel:WORD_0
	;; [unrolled: 2-line block ×4, first 2 shown]
	s_branch .LBB105_14
.LBB105_11:
                                        ; implicit-def: $sgpr7
	s_branch .LBB105_2
.LBB105_12:
	s_mov_b32 s35, -1
                                        ; implicit-def: $vgpr0_vgpr1_vgpr2_vgpr3_vgpr4_vgpr5_vgpr6_vgpr7
	s_cmp_eq_u32 s8, 1
	s_mov_b32 s42, 1
	s_cbranch_scc0 .LBB105_21
	s_branch .LBB105_35
.LBB105_13:
                                        ; implicit-def: $vgpr0_vgpr1_vgpr2_vgpr3_vgpr4_vgpr5_vgpr6_vgpr7
.LBB105_14:
	s_mul_i32 s4, s28, s9
	s_ashr_i32 s5, s4, 31
	s_lshl_b64 s[4:5], s[4:5], 2
	s_add_u32 s28, s22, s4
	s_addc_u32 s4, s23, s5
	s_and_b32 s29, s4, 0xffff
	s_mov_b32 s31, 0x20000
	buffer_load_dwordx4 v[8:11], v17, s[28:31], 0 offen
	buffer_load_dwordx4 v[12:15], v17, s[28:31], 16 offen
	s_mov_b32 s4, 0x2edbe6ff
	s_waitcnt vmcnt(1)
	v_pk_mul_f32 v[8:9], v[0:1], v[8:9]
	v_pk_mul_f32 v[10:11], v[2:3], v[10:11]
	v_max3_f32 v23, |v8|, s4, |v9|
	s_waitcnt vmcnt(0)
	v_pk_mul_f32 v[12:13], v[4:5], v[12:13]
	v_max3_f32 v23, v23, |v10|, |v11|
	v_pk_mul_f32 v[14:15], v[6:7], v[14:15]
	v_max3_f32 v23, v23, |v12|, |v13|
	v_max3_f32 v23, v23, |v14|, |v15|
	s_nop 1
	v_mov_b32_dpp v24, v23 quad_perm:[1,0,3,2] row_mask:0xf bank_mask:0xf
	v_cmp_gt_f32_e64 s[4:5], v23, v24
	v_cndmask_b32_e64 v23, v24, v23, s[4:5]
	s_nop 1
	v_mov_b32_dpp v24, v23 quad_perm:[2,3,0,1] row_mask:0xf bank_mask:0xf
	v_cmp_gt_f32_e64 s[4:5], v23, v24
	v_cndmask_b32_e64 v23, v24, v23, s[4:5]
	s_nop 1
	v_mov_b32_dpp v24, v23 row_half_mirror row_mask:0xf bank_mask:0xf
	v_cmp_gt_f32_e64 s[4:5], v23, v24
	v_cndmask_b32_e64 v23, v24, v23, s[4:5]
	s_nop 1
	v_mov_b32_dpp v24, v23 row_mirror row_mask:0xf bank_mask:0xf
	v_cmp_gt_f32_e64 s[4:5], v23, v24
	v_cndmask_b32_e64 v23, v24, v23, s[4:5]
	s_nop 1
	v_mov_b32_dpp v24, v23 row_bcast:15 row_mask:0xf bank_mask:0xf
	v_cmp_gt_f32_e64 s[4:5], v23, v24
	v_cndmask_b32_e64 v23, v24, v23, s[4:5]
	s_nop 1
	v_mov_b32_dpp v24, v23 row_bcast:31 row_mask:0xf bank_mask:0xf
	s_and_saveexec_b64 s[28:29], s[0:1]
	s_cbranch_execz .LBB105_16
; %bb.15:
	v_cmp_gt_f32_e64 s[4:5], v23, v24
	v_cndmask_b32_e64 v23, v24, v23, s[4:5]
	ds_write_b32 v18, v23
.LBB105_16:
	s_or_b64 exec, exec, s[28:29]
	s_waitcnt lgkmcnt(0)
	s_barrier
	ds_read_b32 v23, v19
	s_mul_i32 s27, s27, s13
	s_waitcnt lgkmcnt(0)
	v_mov_b32_dpp v24, v23 quad_perm:[1,0,3,2] row_mask:0xf bank_mask:0xf
	v_cmp_gt_f32_e64 s[4:5], v23, v24
	v_cndmask_b32_e64 v23, v24, v23, s[4:5]
	s_nop 1
	v_mov_b32_dpp v24, v23 quad_perm:[2,3,0,1] row_mask:0xf bank_mask:0xf
	v_cmp_gt_f32_e64 s[4:5], v23, v24
	v_cndmask_b32_e64 v23, v24, v23, s[4:5]
	s_mul_i32 s4, s36, s14
	v_mul_f32_e32 v23, 0x3c010204, v23
	s_add_i32 s28, s4, s27
	s_and_saveexec_b64 s[4:5], vcc
	s_cbranch_execz .LBB105_18
; %bb.17:
	s_ashr_i32 s29, s28, 31
	s_lshl_b64 s[36:37], s[28:29], 2
	s_add_u32 s36, s18, s36
	s_addc_u32 s37, s19, s37
	v_mov_b32_e32 v24, 0
	global_store_dword v24, v23, s[36:37]
.LBB105_18:
	s_or_b64 exec, exec, s[4:5]
	s_and_saveexec_b64 s[4:5], s[2:3]
	s_cbranch_execz .LBB105_20
; %bb.19:
	v_rcp_f32_e32 v24, v23
	s_mul_i32 s27, s28, s15
	s_mul_hi_i32 s7, s28, s15
	s_add_u32 s36, s16, s27
	v_mov_b32_e32 v25, v24
	;;#ASMSTART
	v_pk_mul_f32 v[8:9], v[8:9], v[24:25]
	;;#ASMEND
	v_cvt_i32_f32_e32 v23, v8
	v_cvt_i32_f32_sdwa v26, v9 dst_sel:BYTE_1 dst_unused:UNUSED_PAD src0_sel:DWORD
	;;#ASMSTART
	v_pk_mul_f32 v[8:9], v[10:11], v[24:25]
	;;#ASMEND
	v_cvt_i32_f32_e32 v10, v8
	v_cvt_i32_f32_sdwa v11, v9 dst_sel:BYTE_1 dst_unused:UNUSED_PAD src0_sel:DWORD
	;; [unrolled: 5-line block ×4, first 2 shown]
	v_or_b32_sdwa v8, v23, v26 dst_sel:DWORD dst_unused:UNUSED_PAD src0_sel:BYTE_0 src1_sel:DWORD
	v_or_b32_sdwa v10, v10, v11 dst_sel:WORD_1 dst_unused:UNUSED_PAD src0_sel:BYTE_0 src1_sel:DWORD
	s_addc_u32 s7, s17, s7
	v_or_b32_sdwa v8, v8, v10 dst_sel:DWORD dst_unused:UNUSED_PAD src0_sel:WORD_0 src1_sel:DWORD
	v_or_b32_sdwa v10, v12, v13 dst_sel:DWORD dst_unused:UNUSED_PAD src0_sel:BYTE_0 src1_sel:DWORD
	v_or_b32_sdwa v9, v14, v9 dst_sel:WORD_1 dst_unused:UNUSED_PAD src0_sel:BYTE_0 src1_sel:DWORD
	s_and_b32 s37, s7, 0xffff
	s_mov_b32 s39, 0x20000
	v_or_b32_sdwa v9, v10, v9 dst_sel:DWORD dst_unused:UNUSED_PAD src0_sel:WORD_0 src1_sel:DWORD
	buffer_store_dwordx2 v[8:9], v20, s[36:39], 0 offen
	;;#ASMSTART
	s_nop 0
	;;#ASMEND
.LBB105_20:
	s_or_b64 exec, exec, s[4:5]
	s_cmp_eq_u32 s8, 1
	s_mov_b32 s42, 1
	s_cbranch_scc1 .LBB105_35
.LBB105_21:
	v_add_u32_e32 v22, 4, v22
	s_mov_b32 s31, 0x20000
	s_mov_b32 s43, 0x2edbe6ff
	v_mov_b32_e32 v23, 0
	s_branch .LBB105_24
.LBB105_22:                             ;   in Loop: Header=BB105_24 Depth=1
	s_or_b64 exec, exec, s[4:5]
.LBB105_23:                             ;   in Loop: Header=BB105_24 Depth=1
	s_add_i32 s42, s42, 1
	s_cmp_eq_u32 s8, s42
	v_add_u32_e32 v22, 4, v22
	s_cbranch_scc1 .LBB105_35
.LBB105_24:                             ; =>This Inner Loop Header: Depth=1
	s_and_b32 s4, s42, 63
	s_cmp_lg_u32 s4, 0
	s_cbranch_scc1 .LBB105_26
; %bb.25:                               ;   in Loop: Header=BB105_24 Depth=1
	s_mov_b32 s27, s31
	buffer_load_dword v8, v22, s[24:27], 0 offen
	s_waitcnt vmcnt(0)
	v_lshlrev_b32_e32 v8, 2, v8
	ds_read_b32 v21, v8
.LBB105_26:                             ;   in Loop: Header=BB105_24 Depth=1
	s_waitcnt lgkmcnt(0)
	v_readlane_b32 s28, v21, s4
	s_cmp_lt_i32 s28, 0
	s_cbranch_scc1 .LBB105_23
; %bb.27:                               ;   in Loop: Header=BB105_24 Depth=1
	s_add_i32 s4, s34, s42
	s_abs_i32 s7, s4
	s_mul_hi_u32 s27, s7, s41
	s_mul_i32 s29, s27, s40
	s_ashr_i32 s5, s4, 31
	s_sub_i32 s7, s7, s29
	s_xor_b32 s5, s5, s33
	s_add_i32 s29, s27, 1
	s_sub_i32 s36, s7, s40
	s_cmp_ge_u32 s7, s40
	s_cselect_b32 s27, s29, s27
	s_cselect_b32 s7, s36, s7
	s_add_i32 s29, s27, 1
	s_cmp_ge_u32 s7, s40
	s_cselect_b32 s7, s29, s27
	s_xor_b32 s7, s7, s5
	s_sub_i32 s27, s7, s5
	s_mul_i32 s5, s27, s10
	s_sub_i32 s36, s4, s5
	s_mul_i32 s29, s36, s12
	s_mul_i32 s4, s27, s11
	s_add_i32 s29, s29, s4
	s_cmp_eq_u32 s29, s35
	s_cbranch_scc1 .LBB105_29
; %bb.28:                               ;   in Loop: Header=BB105_24 Depth=1
	s_mul_hi_i32 s5, s29, s15
	s_mul_i32 s4, s29, s15
	s_lshl_b64 s[4:5], s[4:5], 1
	s_add_u32 s4, s20, s4
	s_addc_u32 s5, s21, s5
	s_and_b32 s5, s5, 0xffff
	s_mov_b32 s7, s31
	buffer_load_dwordx4 v[6:9], v16, s[4:7], 0 offen
	s_mov_b32 s35, s29
	s_waitcnt vmcnt(0)
	v_cvt_f32_u32_sdwa v1, v6 dst_sel:DWORD dst_unused:UNUSED_PAD src0_sel:WORD_1
	v_cvt_f32_u32_sdwa v0, v6 dst_sel:DWORD dst_unused:UNUSED_PAD src0_sel:WORD_0
	v_cvt_f32_u32_sdwa v3, v7 dst_sel:DWORD dst_unused:UNUSED_PAD src0_sel:WORD_1
	v_cvt_f32_u32_sdwa v2, v7 dst_sel:DWORD dst_unused:UNUSED_PAD src0_sel:WORD_0
	;; [unrolled: 2-line block ×4, first 2 shown]
.LBB105_29:                             ;   in Loop: Header=BB105_24 Depth=1
	s_mul_i32 s4, s28, s9
	s_ashr_i32 s5, s4, 31
	s_lshl_b64 s[4:5], s[4:5], 2
	s_add_u32 s28, s22, s4
	s_addc_u32 s4, s23, s5
	s_and_b32 s29, s4, 0xffff
	buffer_load_dwordx4 v[8:11], v17, s[28:31], 0 offen
	buffer_load_dwordx4 v[12:15], v17, s[28:31], 16 offen
	s_waitcnt vmcnt(1)
	v_pk_mul_f32 v[8:9], v[0:1], v[8:9]
	v_pk_mul_f32 v[10:11], v[2:3], v[10:11]
	v_max3_f32 v24, |v8|, s43, |v9|
	s_waitcnt vmcnt(0)
	v_pk_mul_f32 v[12:13], v[4:5], v[12:13]
	v_max3_f32 v24, v24, |v10|, |v11|
	v_pk_mul_f32 v[14:15], v[6:7], v[14:15]
	v_max3_f32 v24, v24, |v12|, |v13|
	v_max3_f32 v24, v24, |v14|, |v15|
	s_nop 1
	v_mov_b32_dpp v25, v24 quad_perm:[1,0,3,2] row_mask:0xf bank_mask:0xf
	v_cmp_gt_f32_e64 s[4:5], v24, v25
	v_cndmask_b32_e64 v24, v25, v24, s[4:5]
	s_nop 1
	v_mov_b32_dpp v25, v24 quad_perm:[2,3,0,1] row_mask:0xf bank_mask:0xf
	v_cmp_gt_f32_e64 s[4:5], v24, v25
	v_cndmask_b32_e64 v24, v25, v24, s[4:5]
	s_nop 1
	v_mov_b32_dpp v25, v24 row_half_mirror row_mask:0xf bank_mask:0xf
	v_cmp_gt_f32_e64 s[4:5], v24, v25
	v_cndmask_b32_e64 v24, v25, v24, s[4:5]
	s_nop 1
	v_mov_b32_dpp v25, v24 row_mirror row_mask:0xf bank_mask:0xf
	v_cmp_gt_f32_e64 s[4:5], v24, v25
	v_cndmask_b32_e64 v24, v25, v24, s[4:5]
	s_nop 1
	v_mov_b32_dpp v25, v24 row_bcast:15 row_mask:0xf bank_mask:0xf
	v_cmp_gt_f32_e64 s[4:5], v24, v25
	v_cndmask_b32_e64 v24, v25, v24, s[4:5]
	s_nop 1
	v_mov_b32_dpp v25, v24 row_bcast:31 row_mask:0xf bank_mask:0xf
	s_and_saveexec_b64 s[28:29], s[0:1]
	s_cbranch_execz .LBB105_31
; %bb.30:                               ;   in Loop: Header=BB105_24 Depth=1
	v_cmp_gt_f32_e64 s[4:5], v24, v25
	v_cndmask_b32_e64 v24, v25, v24, s[4:5]
	ds_write_b32 v18, v24
.LBB105_31:                             ;   in Loop: Header=BB105_24 Depth=1
	s_or_b64 exec, exec, s[28:29]
	s_waitcnt lgkmcnt(0)
	s_barrier
	ds_read_b32 v24, v19
	s_mul_i32 s27, s27, s13
	s_waitcnt lgkmcnt(0)
	v_mov_b32_dpp v25, v24 quad_perm:[1,0,3,2] row_mask:0xf bank_mask:0xf
	v_cmp_gt_f32_e64 s[4:5], v24, v25
	v_cndmask_b32_e64 v24, v25, v24, s[4:5]
	s_nop 1
	v_mov_b32_dpp v25, v24 quad_perm:[2,3,0,1] row_mask:0xf bank_mask:0xf
	v_cmp_gt_f32_e64 s[4:5], v24, v25
	v_cndmask_b32_e64 v24, v25, v24, s[4:5]
	s_mul_i32 s4, s36, s14
	v_mul_f32_e32 v24, 0x3c010204, v24
	s_add_i32 s28, s4, s27
	s_and_saveexec_b64 s[4:5], vcc
	s_cbranch_execz .LBB105_33
; %bb.32:                               ;   in Loop: Header=BB105_24 Depth=1
	s_ashr_i32 s29, s28, 31
	s_lshl_b64 s[36:37], s[28:29], 2
	s_add_u32 s36, s18, s36
	s_addc_u32 s37, s19, s37
	global_store_dword v23, v24, s[36:37]
.LBB105_33:                             ;   in Loop: Header=BB105_24 Depth=1
	s_or_b64 exec, exec, s[4:5]
	s_and_saveexec_b64 s[4:5], s[2:3]
	s_cbranch_execz .LBB105_22
; %bb.34:                               ;   in Loop: Header=BB105_24 Depth=1
	v_rcp_f32_e32 v24, v24
	s_mul_i32 s27, s28, s15
	s_mul_hi_i32 s7, s28, s15
	s_add_u32 s36, s16, s27
	v_mov_b32_e32 v25, v24
	;;#ASMSTART
	v_pk_mul_f32 v[8:9], v[8:9], v[24:25]
	;;#ASMEND
	v_cvt_i32_f32_e32 v26, v8
	v_cvt_i32_f32_sdwa v27, v9 dst_sel:BYTE_1 dst_unused:UNUSED_PAD src0_sel:DWORD
	;;#ASMSTART
	v_pk_mul_f32 v[8:9], v[10:11], v[24:25]
	;;#ASMEND
	v_cvt_i32_f32_e32 v10, v8
	v_cvt_i32_f32_sdwa v11, v9 dst_sel:BYTE_1 dst_unused:UNUSED_PAD src0_sel:DWORD
	;; [unrolled: 5-line block ×4, first 2 shown]
	v_or_b32_sdwa v8, v26, v27 dst_sel:DWORD dst_unused:UNUSED_PAD src0_sel:BYTE_0 src1_sel:DWORD
	v_or_b32_sdwa v10, v10, v11 dst_sel:WORD_1 dst_unused:UNUSED_PAD src0_sel:BYTE_0 src1_sel:DWORD
	s_addc_u32 s7, s17, s7
	v_or_b32_sdwa v8, v8, v10 dst_sel:DWORD dst_unused:UNUSED_PAD src0_sel:WORD_0 src1_sel:DWORD
	v_or_b32_sdwa v10, v12, v13 dst_sel:DWORD dst_unused:UNUSED_PAD src0_sel:BYTE_0 src1_sel:DWORD
	v_or_b32_sdwa v9, v14, v9 dst_sel:WORD_1 dst_unused:UNUSED_PAD src0_sel:BYTE_0 src1_sel:DWORD
	s_and_b32 s37, s7, 0xffff
	s_mov_b32 s39, s31
	v_or_b32_sdwa v9, v10, v9 dst_sel:DWORD dst_unused:UNUSED_PAD src0_sel:WORD_0 src1_sel:DWORD
	buffer_store_dwordx2 v[8:9], v20, s[36:39], 0 offen
	;;#ASMSTART
	s_nop 0
	;;#ASMEND
	s_branch .LBB105_22
.LBB105_35:
	s_endpgm
	.section	.rodata,"a",@progbits
	.p2align	6, 0x0
	.amdhsa_kernel _ZN5aiter36smooth_per_token_scaled_quant_kernelItaLi256ELi8ELb0ELb1ELb1ELi1024EEEvPT0_PfPT_S3_PiS6_iiPKiiiiiiiii
		.amdhsa_group_segment_fixed_size 4112
		.amdhsa_private_segment_fixed_size 0
		.amdhsa_kernarg_size 96
		.amdhsa_user_sgpr_count 6
		.amdhsa_user_sgpr_private_segment_buffer 1
		.amdhsa_user_sgpr_dispatch_ptr 0
		.amdhsa_user_sgpr_queue_ptr 0
		.amdhsa_user_sgpr_kernarg_segment_ptr 1
		.amdhsa_user_sgpr_dispatch_id 0
		.amdhsa_user_sgpr_flat_scratch_init 0
		.amdhsa_user_sgpr_kernarg_preload_length 0
		.amdhsa_user_sgpr_kernarg_preload_offset 0
		.amdhsa_user_sgpr_private_segment_size 0
		.amdhsa_uses_dynamic_stack 0
		.amdhsa_system_sgpr_private_segment_wavefront_offset 0
		.amdhsa_system_sgpr_workgroup_id_x 1
		.amdhsa_system_sgpr_workgroup_id_y 0
		.amdhsa_system_sgpr_workgroup_id_z 0
		.amdhsa_system_sgpr_workgroup_info 0
		.amdhsa_system_vgpr_workitem_id 0
		.amdhsa_next_free_vgpr 28
		.amdhsa_next_free_sgpr 44
		.amdhsa_accum_offset 28
		.amdhsa_reserve_vcc 1
		.amdhsa_reserve_flat_scratch 0
		.amdhsa_float_round_mode_32 0
		.amdhsa_float_round_mode_16_64 0
		.amdhsa_float_denorm_mode_32 3
		.amdhsa_float_denorm_mode_16_64 3
		.amdhsa_dx10_clamp 1
		.amdhsa_ieee_mode 1
		.amdhsa_fp16_overflow 0
		.amdhsa_tg_split 0
		.amdhsa_exception_fp_ieee_invalid_op 0
		.amdhsa_exception_fp_denorm_src 0
		.amdhsa_exception_fp_ieee_div_zero 0
		.amdhsa_exception_fp_ieee_overflow 0
		.amdhsa_exception_fp_ieee_underflow 0
		.amdhsa_exception_fp_ieee_inexact 0
		.amdhsa_exception_int_div_zero 0
	.end_amdhsa_kernel
	.section	.text._ZN5aiter36smooth_per_token_scaled_quant_kernelItaLi256ELi8ELb0ELb1ELb1ELi1024EEEvPT0_PfPT_S3_PiS6_iiPKiiiiiiiii,"axG",@progbits,_ZN5aiter36smooth_per_token_scaled_quant_kernelItaLi256ELi8ELb0ELb1ELb1ELi1024EEEvPT0_PfPT_S3_PiS6_iiPKiiiiiiiii,comdat
.Lfunc_end105:
	.size	_ZN5aiter36smooth_per_token_scaled_quant_kernelItaLi256ELi8ELb0ELb1ELb1ELi1024EEEvPT0_PfPT_S3_PiS6_iiPKiiiiiiiii, .Lfunc_end105-_ZN5aiter36smooth_per_token_scaled_quant_kernelItaLi256ELi8ELb0ELb1ELb1ELi1024EEEvPT0_PfPT_S3_PiS6_iiPKiiiiiiiii
                                        ; -- End function
	.section	.AMDGPU.csdata,"",@progbits
; Kernel info:
; codeLenInByte = 2540
; NumSgprs: 48
; NumVgprs: 28
; NumAgprs: 0
; TotalNumVgprs: 28
; ScratchSize: 0
; MemoryBound: 0
; FloatMode: 240
; IeeeMode: 1
; LDSByteSize: 4112 bytes/workgroup (compile time only)
; SGPRBlocks: 5
; VGPRBlocks: 3
; NumSGPRsForWavesPerEU: 48
; NumVGPRsForWavesPerEU: 28
; AccumOffset: 28
; Occupancy: 8
; WaveLimiterHint : 0
; COMPUTE_PGM_RSRC2:SCRATCH_EN: 0
; COMPUTE_PGM_RSRC2:USER_SGPR: 6
; COMPUTE_PGM_RSRC2:TRAP_HANDLER: 0
; COMPUTE_PGM_RSRC2:TGID_X_EN: 1
; COMPUTE_PGM_RSRC2:TGID_Y_EN: 0
; COMPUTE_PGM_RSRC2:TGID_Z_EN: 0
; COMPUTE_PGM_RSRC2:TIDIG_COMP_CNT: 0
; COMPUTE_PGM_RSRC3_GFX90A:ACCUM_OFFSET: 6
; COMPUTE_PGM_RSRC3_GFX90A:TG_SPLIT: 0
	.section	.text._ZN5aiter36smooth_per_token_scaled_quant_kernelIDF16_aLi256ELi8ELb0ELb1ELb0ELi1024EEEvPT0_PfPT_S3_PiS6_iiPKiiiiiiiii,"axG",@progbits,_ZN5aiter36smooth_per_token_scaled_quant_kernelIDF16_aLi256ELi8ELb0ELb1ELb0ELi1024EEEvPT0_PfPT_S3_PiS6_iiPKiiiiiiiii,comdat
	.protected	_ZN5aiter36smooth_per_token_scaled_quant_kernelIDF16_aLi256ELi8ELb0ELb1ELb0ELi1024EEEvPT0_PfPT_S3_PiS6_iiPKiiiiiiiii ; -- Begin function _ZN5aiter36smooth_per_token_scaled_quant_kernelIDF16_aLi256ELi8ELb0ELb1ELb0ELi1024EEEvPT0_PfPT_S3_PiS6_iiPKiiiiiiiii
	.globl	_ZN5aiter36smooth_per_token_scaled_quant_kernelIDF16_aLi256ELi8ELb0ELb1ELb0ELi1024EEEvPT0_PfPT_S3_PiS6_iiPKiiiiiiiii
	.p2align	8
	.type	_ZN5aiter36smooth_per_token_scaled_quant_kernelIDF16_aLi256ELi8ELb0ELb1ELb0ELi1024EEEvPT0_PfPT_S3_PiS6_iiPKiiiiiiiii,@function
_ZN5aiter36smooth_per_token_scaled_quant_kernelIDF16_aLi256ELi8ELb0ELb1ELb0ELi1024EEEvPT0_PfPT_S3_PiS6_iiPKiiiiiiiii: ; @_ZN5aiter36smooth_per_token_scaled_quant_kernelIDF16_aLi256ELi8ELb0ELb1ELb0ELi1024EEEvPT0_PfPT_S3_PiS6_iiPKiiiiiiiii
; %bb.0:
	s_load_dwordx2 s[2:3], s[4:5], 0x38
	s_load_dwordx8 s[8:15], s[4:5], 0x40
	s_mov_b64 s[0:1], 0
	s_waitcnt lgkmcnt(0)
	s_cmp_lg_u64 s[2:3], 0
	s_cbranch_scc0 .LBB106_11
; %bb.1:
	s_load_dword s2, s[2:3], 0x0
	s_waitcnt lgkmcnt(0)
	s_mul_i32 s2, s2, s8
	s_andn2_b64 vcc, exec, s[0:1]
	s_cbranch_vccnz .LBB106_3
.LBB106_2:
	s_mul_i32 s2, s10, s9
.LBB106_3:
	s_load_dwordx2 s[8:9], s[4:5], 0x30
	s_abs_i32 s1, s2
	s_waitcnt lgkmcnt(0)
	s_abs_i32 s0, s8
	v_cvt_f32_u32_e32 v1, s0
	s_sub_i32 s7, 0, s0
	s_xor_b32 s3, s2, s8
	s_ashr_i32 s3, s3, 31
	v_rcp_iflag_f32_e32 v1, v1
	v_mul_f32_e32 v1, 0x4f7ffffe, v1
	v_cvt_u32_f32_e32 v1, v1
	v_readfirstlane_b32 s15, v1
	s_mul_i32 s7, s7, s15
	s_mul_hi_u32 s7, s15, s7
	s_add_i32 s15, s15, s7
	s_mul_hi_u32 s7, s1, s15
	s_mul_i32 s15, s7, s0
	s_sub_i32 s1, s1, s15
	s_add_i32 s16, s7, 1
	s_sub_i32 s15, s1, s0
	s_cmp_ge_u32 s1, s0
	s_cselect_b32 s7, s16, s7
	s_cselect_b32 s1, s15, s1
	s_add_i32 s15, s7, 1
	s_cmp_ge_u32 s1, s0
	s_cselect_b32 s0, s15, s7
	s_xor_b32 s0, s0, s3
	s_sub_i32 s7, s0, s3
	s_mul_i32 s0, s7, s8
	s_sub_i32 s2, s2, s0
	s_cmp_lt_u32 s6, s2
	s_cselect_b64 s[0:1], -1, 0
	s_add_i32 s8, s7, 1
	s_cmp_ge_u32 s6, s2
	s_cbranch_scc0 .LBB106_5
; %bb.4:
	s_mul_i32 s3, s2, s8
	s_sub_i32 s2, s6, s2
	s_mul_i32 s2, s2, s7
	s_add_i32 s34, s2, s3
	s_cbranch_execz .LBB106_6
	s_branch .LBB106_7
.LBB106_5:
                                        ; implicit-def: $sgpr34
.LBB106_6:
	s_mul_i32 s34, s8, s6
.LBB106_7:
	v_cndmask_b32_e64 v1, 0, 1, s[0:1]
	v_readfirstlane_b32 s0, v1
	s_add_i32 s8, s7, s0
	s_cmp_lt_i32 s8, 1
	s_cbranch_scc1 .LBB106_35
; %bb.8:
	s_load_dwordx2 s[0:1], s[4:5], 0x20
	s_ashr_i32 s35, s34, 31
	s_lshl_b64 s[2:3], s[34:35], 2
	v_and_b32_e32 v1, 63, v0
	s_mov_b32 s27, 0x20000
	s_waitcnt lgkmcnt(0)
	s_add_u32 s24, s0, s2
	s_addc_u32 s0, s1, s3
	s_lshl_b32 s26, s8, 2
	s_and_b32 s25, s0, 0xffff
	v_lshlrev_b32_e32 v22, 2, v1
	buffer_load_dword v17, v22, s[24:27], 0 offen
	v_cmp_eq_u32_e32 vcc, 63, v1
	v_lshrrev_b32_e32 v1, 4, v0
	v_and_b32_e32 v19, 60, v1
	v_and_b32_e32 v1, 3, v0
	s_abs_i32 s33, s10
	v_lshlrev_b32_e32 v20, 2, v1
	v_cvt_f32_u32_e32 v1, s33
	s_add_i32 s2, s9, 7
	s_ashr_i32 s3, s2, 31
	s_lshr_b32 s3, s3, 29
	v_rcp_iflag_f32_e32 v1, v1
	s_add_i32 s2, s2, s3
	s_ashr_i32 s2, s2, 3
	v_lshlrev_b32_e32 v16, 4, v0
	v_lshlrev_b32_e32 v18, 5, v0
	v_cmp_eq_u32_e64 s[0:1], 0, v0
	v_cmp_gt_u32_e64 s[2:3], s2, v0
	v_lshlrev_b32_e32 v21, 3, v0
	v_mul_f32_e32 v0, 0x4f7ffffe, v1
	s_load_dwordx8 s[16:23], s[4:5], 0x0
	s_add_i32 s4, s9, 3
	v_cvt_u32_f32_e32 v0, v0
	s_ashr_i32 s5, s4, 31
	s_lshr_b32 s5, s5, 30
	s_add_i32 s4, s4, s5
	s_and_b32 s38, s4, -4
	s_sub_i32 s4, 0, s33
	v_readfirstlane_b32 s41, v0
	s_mul_i32 s4, s4, s41
	s_mul_hi_u32 s4, s41, s4
	s_lshl_b32 s6, s9, 1
	s_lshl_b32 s30, s9, 2
	s_ashr_i32 s40, s10, 31
	s_add_i32 s41, s41, s4
	s_mov_b32 s15, s9
	s_waitcnt vmcnt(0) lgkmcnt(0)
	s_barrier
	v_readlane_b32 s28, v17, 0
	s_cmp_lt_i32 s28, 0
	s_cbranch_scc1 .LBB106_12
; %bb.9:
	s_abs_i32 s4, s34
	s_mul_hi_u32 s5, s4, s41
	s_mul_i32 s27, s5, s33
	s_sub_i32 s4, s4, s27
	s_xor_b32 s7, s35, s40
	s_add_i32 s27, s5, 1
	s_sub_i32 s29, s4, s33
	s_cmp_ge_u32 s4, s33
	s_cselect_b32 s5, s27, s5
	s_cselect_b32 s4, s29, s4
	s_add_i32 s27, s5, 1
	s_cmp_ge_u32 s4, s33
	s_cselect_b32 s4, s27, s5
	s_xor_b32 s4, s4, s7
	s_sub_i32 s27, s4, s7
	s_mul_i32 s4, s27, s10
	s_sub_i32 s36, s34, s4
	s_mul_i32 s4, s36, s12
	s_mul_i32 s5, s27, s11
	s_add_i32 s35, s4, s5
	s_cmp_eq_u32 s35, -1
	s_cbranch_scc1 .LBB106_13
; %bb.10:
	s_mul_hi_i32 s5, s35, s15
	s_mul_i32 s4, s35, s15
	s_lshl_b64 s[4:5], s[4:5], 1
	s_add_u32 s4, s20, s4
	s_addc_u32 s5, s21, s5
	s_and_b32 s5, s5, 0xffff
	s_mov_b32 s7, 0x20000
	buffer_load_dwordx4 v[4:7], v16, s[4:7], 0 offen
	s_waitcnt vmcnt(0)
	v_cvt_f32_f16_e32 v0, v4
	v_cvt_f32_f16_sdwa v1, v4 dst_sel:DWORD dst_unused:UNUSED_PAD src0_sel:WORD_1
	v_cvt_f32_f16_e32 v2, v5
	v_cvt_f32_f16_sdwa v3, v5 dst_sel:DWORD dst_unused:UNUSED_PAD src0_sel:WORD_1
	;; [unrolled: 2-line block ×4, first 2 shown]
	s_branch .LBB106_14
.LBB106_11:
                                        ; implicit-def: $sgpr2
	s_branch .LBB106_2
.LBB106_12:
	s_mov_b32 s35, -1
                                        ; implicit-def: $vgpr0_vgpr1_vgpr2_vgpr3_vgpr4_vgpr5_vgpr6_vgpr7
	s_cmp_eq_u32 s8, 1
	s_mov_b32 s42, 1
	s_cbranch_scc0 .LBB106_21
	s_branch .LBB106_35
.LBB106_13:
                                        ; implicit-def: $vgpr0_vgpr1_vgpr2_vgpr3_vgpr4_vgpr5_vgpr6_vgpr7
.LBB106_14:
	s_mul_i32 s4, s28, s9
	s_ashr_i32 s5, s4, 31
	s_lshl_b64 s[4:5], s[4:5], 2
	s_add_u32 s28, s22, s4
	s_addc_u32 s4, s23, s5
	s_and_b32 s29, s4, 0xffff
	s_mov_b32 s31, 0x20000
	buffer_load_dwordx4 v[8:11], v18, s[28:31], 0 offen
	buffer_load_dwordx4 v[12:15], v18, s[28:31], 16 offen
	s_mov_b32 s4, 0x2edbe6ff
	s_waitcnt vmcnt(1)
	v_pk_mul_f32 v[8:9], v[0:1], v[8:9]
	v_pk_mul_f32 v[10:11], v[2:3], v[10:11]
	v_max3_f32 v23, |v8|, s4, |v9|
	s_waitcnt vmcnt(0)
	v_pk_mul_f32 v[12:13], v[4:5], v[12:13]
	v_max3_f32 v23, v23, |v10|, |v11|
	v_pk_mul_f32 v[14:15], v[6:7], v[14:15]
	v_max3_f32 v23, v23, |v12|, |v13|
	v_max3_f32 v23, v23, |v14|, |v15|
	s_nop 1
	v_mov_b32_dpp v24, v23 quad_perm:[1,0,3,2] row_mask:0xf bank_mask:0xf
	v_cmp_gt_f32_e64 s[4:5], v23, v24
	v_cndmask_b32_e64 v23, v24, v23, s[4:5]
	s_nop 1
	v_mov_b32_dpp v24, v23 quad_perm:[2,3,0,1] row_mask:0xf bank_mask:0xf
	v_cmp_gt_f32_e64 s[4:5], v23, v24
	v_cndmask_b32_e64 v23, v24, v23, s[4:5]
	s_nop 1
	v_mov_b32_dpp v24, v23 row_half_mirror row_mask:0xf bank_mask:0xf
	v_cmp_gt_f32_e64 s[4:5], v23, v24
	v_cndmask_b32_e64 v23, v24, v23, s[4:5]
	s_nop 1
	v_mov_b32_dpp v24, v23 row_mirror row_mask:0xf bank_mask:0xf
	v_cmp_gt_f32_e64 s[4:5], v23, v24
	v_cndmask_b32_e64 v23, v24, v23, s[4:5]
	s_nop 1
	v_mov_b32_dpp v24, v23 row_bcast:15 row_mask:0xf bank_mask:0xf
	v_cmp_gt_f32_e64 s[4:5], v23, v24
	v_cndmask_b32_e64 v23, v24, v23, s[4:5]
	s_nop 1
	v_mov_b32_dpp v24, v23 row_bcast:31 row_mask:0xf bank_mask:0xf
	s_and_saveexec_b64 s[28:29], vcc
	s_cbranch_execz .LBB106_16
; %bb.15:
	v_cmp_gt_f32_e64 s[4:5], v23, v24
	v_cndmask_b32_e64 v23, v24, v23, s[4:5]
	ds_write_b32 v19, v23
.LBB106_16:
	s_or_b64 exec, exec, s[28:29]
	s_waitcnt lgkmcnt(0)
	s_barrier
	ds_read_b32 v23, v20
	s_mul_i32 s27, s27, s13
	s_waitcnt lgkmcnt(0)
	v_mov_b32_dpp v24, v23 quad_perm:[1,0,3,2] row_mask:0xf bank_mask:0xf
	v_cmp_gt_f32_e64 s[4:5], v23, v24
	v_cndmask_b32_e64 v23, v24, v23, s[4:5]
	s_nop 1
	v_mov_b32_dpp v24, v23 quad_perm:[2,3,0,1] row_mask:0xf bank_mask:0xf
	v_cmp_gt_f32_e64 s[4:5], v23, v24
	v_cndmask_b32_e64 v23, v24, v23, s[4:5]
	s_mul_i32 s4, s36, s14
	v_mul_f32_e32 v23, 0x3c010204, v23
	s_add_i32 s28, s4, s27
	s_and_saveexec_b64 s[4:5], s[0:1]
	s_cbranch_execz .LBB106_18
; %bb.17:
	s_ashr_i32 s29, s28, 31
	s_lshl_b64 s[36:37], s[28:29], 2
	s_add_u32 s36, s18, s36
	s_addc_u32 s37, s19, s37
	v_mov_b32_e32 v24, 0
	global_store_dword v24, v23, s[36:37]
.LBB106_18:
	s_or_b64 exec, exec, s[4:5]
	s_and_saveexec_b64 s[4:5], s[2:3]
	s_cbranch_execz .LBB106_20
; %bb.19:
	v_rcp_f32_e32 v24, v23
	s_mul_i32 s27, s28, s15
	s_mul_hi_i32 s7, s28, s15
	s_add_u32 s36, s16, s27
	v_mov_b32_e32 v25, v24
	;;#ASMSTART
	v_pk_mul_f32 v[8:9], v[8:9], v[24:25]
	;;#ASMEND
	v_cvt_i32_f32_e32 v23, v8
	v_cvt_i32_f32_sdwa v26, v9 dst_sel:BYTE_1 dst_unused:UNUSED_PAD src0_sel:DWORD
	;;#ASMSTART
	v_pk_mul_f32 v[8:9], v[10:11], v[24:25]
	;;#ASMEND
	v_cvt_i32_f32_e32 v10, v8
	v_cvt_i32_f32_sdwa v11, v9 dst_sel:BYTE_1 dst_unused:UNUSED_PAD src0_sel:DWORD
	;; [unrolled: 5-line block ×4, first 2 shown]
	v_or_b32_sdwa v8, v23, v26 dst_sel:DWORD dst_unused:UNUSED_PAD src0_sel:BYTE_0 src1_sel:DWORD
	v_or_b32_sdwa v10, v10, v11 dst_sel:WORD_1 dst_unused:UNUSED_PAD src0_sel:BYTE_0 src1_sel:DWORD
	s_addc_u32 s7, s17, s7
	v_or_b32_sdwa v8, v8, v10 dst_sel:DWORD dst_unused:UNUSED_PAD src0_sel:WORD_0 src1_sel:DWORD
	v_or_b32_sdwa v10, v12, v13 dst_sel:DWORD dst_unused:UNUSED_PAD src0_sel:BYTE_0 src1_sel:DWORD
	v_or_b32_sdwa v9, v14, v9 dst_sel:WORD_1 dst_unused:UNUSED_PAD src0_sel:BYTE_0 src1_sel:DWORD
	s_and_b32 s37, s7, 0xffff
	s_mov_b32 s39, 0x20000
	v_or_b32_sdwa v9, v10, v9 dst_sel:DWORD dst_unused:UNUSED_PAD src0_sel:WORD_0 src1_sel:DWORD
	buffer_store_dwordx2 v[8:9], v21, s[36:39], 0 offen
	;;#ASMSTART
	s_nop 0
	;;#ASMEND
.LBB106_20:
	s_or_b64 exec, exec, s[4:5]
	s_cmp_eq_u32 s8, 1
	s_mov_b32 s42, 1
	s_cbranch_scc1 .LBB106_35
.LBB106_21:
	v_add_u32_e32 v22, 4, v22
	s_mov_b32 s31, 0x20000
	s_mov_b32 s43, 0x2edbe6ff
	v_mov_b32_e32 v23, 0
	s_branch .LBB106_24
.LBB106_22:                             ;   in Loop: Header=BB106_24 Depth=1
	s_or_b64 exec, exec, s[4:5]
.LBB106_23:                             ;   in Loop: Header=BB106_24 Depth=1
	s_add_i32 s42, s42, 1
	s_cmp_eq_u32 s8, s42
	v_add_u32_e32 v22, 4, v22
	s_cbranch_scc1 .LBB106_35
.LBB106_24:                             ; =>This Inner Loop Header: Depth=1
	s_and_b32 s4, s42, 63
	s_cmp_lg_u32 s4, 0
	s_cbranch_scc1 .LBB106_26
; %bb.25:                               ;   in Loop: Header=BB106_24 Depth=1
	s_mov_b32 s27, s31
	buffer_load_dword v17, v22, s[24:27], 0 offen
	s_waitcnt vmcnt(0)
.LBB106_26:                             ;   in Loop: Header=BB106_24 Depth=1
	v_readlane_b32 s28, v17, s4
	s_cmp_lt_i32 s28, 0
	s_cbranch_scc1 .LBB106_23
; %bb.27:                               ;   in Loop: Header=BB106_24 Depth=1
	s_add_i32 s4, s34, s42
	s_abs_i32 s7, s4
	s_mul_hi_u32 s27, s7, s41
	s_mul_i32 s29, s27, s33
	s_ashr_i32 s5, s4, 31
	s_sub_i32 s7, s7, s29
	s_xor_b32 s5, s5, s40
	s_add_i32 s29, s27, 1
	s_sub_i32 s36, s7, s33
	s_cmp_ge_u32 s7, s33
	s_cselect_b32 s27, s29, s27
	s_cselect_b32 s7, s36, s7
	s_add_i32 s29, s27, 1
	s_cmp_ge_u32 s7, s33
	s_cselect_b32 s7, s29, s27
	s_xor_b32 s7, s7, s5
	s_sub_i32 s27, s7, s5
	s_mul_i32 s5, s27, s10
	s_sub_i32 s36, s4, s5
	s_mul_i32 s29, s36, s12
	s_mul_i32 s4, s27, s11
	s_add_i32 s29, s29, s4
	s_cmp_eq_u32 s29, s35
	s_cbranch_scc1 .LBB106_29
; %bb.28:                               ;   in Loop: Header=BB106_24 Depth=1
	s_mul_hi_i32 s5, s29, s15
	s_mul_i32 s4, s29, s15
	s_lshl_b64 s[4:5], s[4:5], 1
	s_add_u32 s4, s20, s4
	s_addc_u32 s5, s21, s5
	s_and_b32 s5, s5, 0xffff
	s_mov_b32 s7, s31
	buffer_load_dwordx4 v[4:7], v16, s[4:7], 0 offen
	s_mov_b32 s35, s29
	s_waitcnt vmcnt(0)
	v_cvt_f32_f16_e32 v0, v4
	v_cvt_f32_f16_sdwa v1, v4 dst_sel:DWORD dst_unused:UNUSED_PAD src0_sel:WORD_1
	v_cvt_f32_f16_e32 v2, v5
	v_cvt_f32_f16_sdwa v3, v5 dst_sel:DWORD dst_unused:UNUSED_PAD src0_sel:WORD_1
	;; [unrolled: 2-line block ×4, first 2 shown]
.LBB106_29:                             ;   in Loop: Header=BB106_24 Depth=1
	s_mul_i32 s4, s28, s9
	s_ashr_i32 s5, s4, 31
	s_lshl_b64 s[4:5], s[4:5], 2
	s_add_u32 s28, s22, s4
	s_addc_u32 s4, s23, s5
	s_and_b32 s29, s4, 0xffff
	buffer_load_dwordx4 v[8:11], v18, s[28:31], 0 offen
	buffer_load_dwordx4 v[12:15], v18, s[28:31], 16 offen
	s_waitcnt vmcnt(1)
	v_pk_mul_f32 v[8:9], v[0:1], v[8:9]
	v_pk_mul_f32 v[10:11], v[2:3], v[10:11]
	v_max3_f32 v24, |v8|, s43, |v9|
	s_waitcnt vmcnt(0)
	v_pk_mul_f32 v[12:13], v[4:5], v[12:13]
	v_max3_f32 v24, v24, |v10|, |v11|
	v_pk_mul_f32 v[14:15], v[6:7], v[14:15]
	v_max3_f32 v24, v24, |v12|, |v13|
	v_max3_f32 v24, v24, |v14|, |v15|
	s_nop 1
	v_mov_b32_dpp v25, v24 quad_perm:[1,0,3,2] row_mask:0xf bank_mask:0xf
	v_cmp_gt_f32_e64 s[4:5], v24, v25
	v_cndmask_b32_e64 v24, v25, v24, s[4:5]
	s_nop 1
	v_mov_b32_dpp v25, v24 quad_perm:[2,3,0,1] row_mask:0xf bank_mask:0xf
	v_cmp_gt_f32_e64 s[4:5], v24, v25
	v_cndmask_b32_e64 v24, v25, v24, s[4:5]
	s_nop 1
	v_mov_b32_dpp v25, v24 row_half_mirror row_mask:0xf bank_mask:0xf
	v_cmp_gt_f32_e64 s[4:5], v24, v25
	v_cndmask_b32_e64 v24, v25, v24, s[4:5]
	s_nop 1
	v_mov_b32_dpp v25, v24 row_mirror row_mask:0xf bank_mask:0xf
	v_cmp_gt_f32_e64 s[4:5], v24, v25
	v_cndmask_b32_e64 v24, v25, v24, s[4:5]
	s_nop 1
	v_mov_b32_dpp v25, v24 row_bcast:15 row_mask:0xf bank_mask:0xf
	v_cmp_gt_f32_e64 s[4:5], v24, v25
	v_cndmask_b32_e64 v24, v25, v24, s[4:5]
	s_nop 1
	v_mov_b32_dpp v25, v24 row_bcast:31 row_mask:0xf bank_mask:0xf
	s_and_saveexec_b64 s[28:29], vcc
	s_cbranch_execz .LBB106_31
; %bb.30:                               ;   in Loop: Header=BB106_24 Depth=1
	v_cmp_gt_f32_e64 s[4:5], v24, v25
	v_cndmask_b32_e64 v24, v25, v24, s[4:5]
	ds_write_b32 v19, v24
.LBB106_31:                             ;   in Loop: Header=BB106_24 Depth=1
	s_or_b64 exec, exec, s[28:29]
	s_waitcnt lgkmcnt(0)
	s_barrier
	ds_read_b32 v24, v20
	s_mul_i32 s27, s27, s13
	s_waitcnt lgkmcnt(0)
	v_mov_b32_dpp v25, v24 quad_perm:[1,0,3,2] row_mask:0xf bank_mask:0xf
	v_cmp_gt_f32_e64 s[4:5], v24, v25
	v_cndmask_b32_e64 v24, v25, v24, s[4:5]
	s_nop 1
	v_mov_b32_dpp v25, v24 quad_perm:[2,3,0,1] row_mask:0xf bank_mask:0xf
	v_cmp_gt_f32_e64 s[4:5], v24, v25
	v_cndmask_b32_e64 v24, v25, v24, s[4:5]
	s_mul_i32 s4, s36, s14
	v_mul_f32_e32 v24, 0x3c010204, v24
	s_add_i32 s28, s4, s27
	s_and_saveexec_b64 s[4:5], s[0:1]
	s_cbranch_execz .LBB106_33
; %bb.32:                               ;   in Loop: Header=BB106_24 Depth=1
	s_ashr_i32 s29, s28, 31
	s_lshl_b64 s[36:37], s[28:29], 2
	s_add_u32 s36, s18, s36
	s_addc_u32 s37, s19, s37
	global_store_dword v23, v24, s[36:37]
.LBB106_33:                             ;   in Loop: Header=BB106_24 Depth=1
	s_or_b64 exec, exec, s[4:5]
	s_and_saveexec_b64 s[4:5], s[2:3]
	s_cbranch_execz .LBB106_22
; %bb.34:                               ;   in Loop: Header=BB106_24 Depth=1
	v_rcp_f32_e32 v24, v24
	s_mul_i32 s27, s28, s15
	s_mul_hi_i32 s7, s28, s15
	s_add_u32 s36, s16, s27
	v_mov_b32_e32 v25, v24
	;;#ASMSTART
	v_pk_mul_f32 v[8:9], v[8:9], v[24:25]
	;;#ASMEND
	v_cvt_i32_f32_e32 v26, v8
	v_cvt_i32_f32_sdwa v27, v9 dst_sel:BYTE_1 dst_unused:UNUSED_PAD src0_sel:DWORD
	;;#ASMSTART
	v_pk_mul_f32 v[8:9], v[10:11], v[24:25]
	;;#ASMEND
	v_cvt_i32_f32_e32 v10, v8
	v_cvt_i32_f32_sdwa v11, v9 dst_sel:BYTE_1 dst_unused:UNUSED_PAD src0_sel:DWORD
	;; [unrolled: 5-line block ×4, first 2 shown]
	v_or_b32_sdwa v8, v26, v27 dst_sel:DWORD dst_unused:UNUSED_PAD src0_sel:BYTE_0 src1_sel:DWORD
	v_or_b32_sdwa v10, v10, v11 dst_sel:WORD_1 dst_unused:UNUSED_PAD src0_sel:BYTE_0 src1_sel:DWORD
	s_addc_u32 s7, s17, s7
	v_or_b32_sdwa v8, v8, v10 dst_sel:DWORD dst_unused:UNUSED_PAD src0_sel:WORD_0 src1_sel:DWORD
	v_or_b32_sdwa v10, v12, v13 dst_sel:DWORD dst_unused:UNUSED_PAD src0_sel:BYTE_0 src1_sel:DWORD
	v_or_b32_sdwa v9, v14, v9 dst_sel:WORD_1 dst_unused:UNUSED_PAD src0_sel:BYTE_0 src1_sel:DWORD
	s_and_b32 s37, s7, 0xffff
	s_mov_b32 s39, s31
	v_or_b32_sdwa v9, v10, v9 dst_sel:DWORD dst_unused:UNUSED_PAD src0_sel:WORD_0 src1_sel:DWORD
	buffer_store_dwordx2 v[8:9], v21, s[36:39], 0 offen
	;;#ASMSTART
	s_nop 0
	;;#ASMEND
	s_branch .LBB106_22
.LBB106_35:
	s_endpgm
	.section	.rodata,"a",@progbits
	.p2align	6, 0x0
	.amdhsa_kernel _ZN5aiter36smooth_per_token_scaled_quant_kernelIDF16_aLi256ELi8ELb0ELb1ELb0ELi1024EEEvPT0_PfPT_S3_PiS6_iiPKiiiiiiiii
		.amdhsa_group_segment_fixed_size 16
		.amdhsa_private_segment_fixed_size 0
		.amdhsa_kernarg_size 96
		.amdhsa_user_sgpr_count 6
		.amdhsa_user_sgpr_private_segment_buffer 1
		.amdhsa_user_sgpr_dispatch_ptr 0
		.amdhsa_user_sgpr_queue_ptr 0
		.amdhsa_user_sgpr_kernarg_segment_ptr 1
		.amdhsa_user_sgpr_dispatch_id 0
		.amdhsa_user_sgpr_flat_scratch_init 0
		.amdhsa_user_sgpr_kernarg_preload_length 0
		.amdhsa_user_sgpr_kernarg_preload_offset 0
		.amdhsa_user_sgpr_private_segment_size 0
		.amdhsa_uses_dynamic_stack 0
		.amdhsa_system_sgpr_private_segment_wavefront_offset 0
		.amdhsa_system_sgpr_workgroup_id_x 1
		.amdhsa_system_sgpr_workgroup_id_y 0
		.amdhsa_system_sgpr_workgroup_id_z 0
		.amdhsa_system_sgpr_workgroup_info 0
		.amdhsa_system_vgpr_workitem_id 0
		.amdhsa_next_free_vgpr 28
		.amdhsa_next_free_sgpr 44
		.amdhsa_accum_offset 28
		.amdhsa_reserve_vcc 1
		.amdhsa_reserve_flat_scratch 0
		.amdhsa_float_round_mode_32 0
		.amdhsa_float_round_mode_16_64 0
		.amdhsa_float_denorm_mode_32 3
		.amdhsa_float_denorm_mode_16_64 3
		.amdhsa_dx10_clamp 1
		.amdhsa_ieee_mode 1
		.amdhsa_fp16_overflow 0
		.amdhsa_tg_split 0
		.amdhsa_exception_fp_ieee_invalid_op 0
		.amdhsa_exception_fp_denorm_src 0
		.amdhsa_exception_fp_ieee_div_zero 0
		.amdhsa_exception_fp_ieee_overflow 0
		.amdhsa_exception_fp_ieee_underflow 0
		.amdhsa_exception_fp_ieee_inexact 0
		.amdhsa_exception_int_div_zero 0
	.end_amdhsa_kernel
	.section	.text._ZN5aiter36smooth_per_token_scaled_quant_kernelIDF16_aLi256ELi8ELb0ELb1ELb0ELi1024EEEvPT0_PfPT_S3_PiS6_iiPKiiiiiiiii,"axG",@progbits,_ZN5aiter36smooth_per_token_scaled_quant_kernelIDF16_aLi256ELi8ELb0ELb1ELb0ELi1024EEEvPT0_PfPT_S3_PiS6_iiPKiiiiiiiii,comdat
.Lfunc_end106:
	.size	_ZN5aiter36smooth_per_token_scaled_quant_kernelIDF16_aLi256ELi8ELb0ELb1ELb0ELi1024EEEvPT0_PfPT_S3_PiS6_iiPKiiiiiiiii, .Lfunc_end106-_ZN5aiter36smooth_per_token_scaled_quant_kernelIDF16_aLi256ELi8ELb0ELb1ELb0ELi1024EEEvPT0_PfPT_S3_PiS6_iiPKiiiiiiiii
                                        ; -- End function
	.section	.AMDGPU.csdata,"",@progbits
; Kernel info:
; codeLenInByte = 2288
; NumSgprs: 48
; NumVgprs: 28
; NumAgprs: 0
; TotalNumVgprs: 28
; ScratchSize: 0
; MemoryBound: 0
; FloatMode: 240
; IeeeMode: 1
; LDSByteSize: 16 bytes/workgroup (compile time only)
; SGPRBlocks: 5
; VGPRBlocks: 3
; NumSGPRsForWavesPerEU: 48
; NumVGPRsForWavesPerEU: 28
; AccumOffset: 28
; Occupancy: 8
; WaveLimiterHint : 0
; COMPUTE_PGM_RSRC2:SCRATCH_EN: 0
; COMPUTE_PGM_RSRC2:USER_SGPR: 6
; COMPUTE_PGM_RSRC2:TRAP_HANDLER: 0
; COMPUTE_PGM_RSRC2:TGID_X_EN: 1
; COMPUTE_PGM_RSRC2:TGID_Y_EN: 0
; COMPUTE_PGM_RSRC2:TGID_Z_EN: 0
; COMPUTE_PGM_RSRC2:TIDIG_COMP_CNT: 0
; COMPUTE_PGM_RSRC3_GFX90A:ACCUM_OFFSET: 6
; COMPUTE_PGM_RSRC3_GFX90A:TG_SPLIT: 0
	.section	.text._ZN5aiter36smooth_per_token_scaled_quant_kernelItaLi256ELi8ELb0ELb1ELb0ELi1024EEEvPT0_PfPT_S3_PiS6_iiPKiiiiiiiii,"axG",@progbits,_ZN5aiter36smooth_per_token_scaled_quant_kernelItaLi256ELi8ELb0ELb1ELb0ELi1024EEEvPT0_PfPT_S3_PiS6_iiPKiiiiiiiii,comdat
	.protected	_ZN5aiter36smooth_per_token_scaled_quant_kernelItaLi256ELi8ELb0ELb1ELb0ELi1024EEEvPT0_PfPT_S3_PiS6_iiPKiiiiiiiii ; -- Begin function _ZN5aiter36smooth_per_token_scaled_quant_kernelItaLi256ELi8ELb0ELb1ELb0ELi1024EEEvPT0_PfPT_S3_PiS6_iiPKiiiiiiiii
	.globl	_ZN5aiter36smooth_per_token_scaled_quant_kernelItaLi256ELi8ELb0ELb1ELb0ELi1024EEEvPT0_PfPT_S3_PiS6_iiPKiiiiiiiii
	.p2align	8
	.type	_ZN5aiter36smooth_per_token_scaled_quant_kernelItaLi256ELi8ELb0ELb1ELb0ELi1024EEEvPT0_PfPT_S3_PiS6_iiPKiiiiiiiii,@function
_ZN5aiter36smooth_per_token_scaled_quant_kernelItaLi256ELi8ELb0ELb1ELb0ELi1024EEEvPT0_PfPT_S3_PiS6_iiPKiiiiiiiii: ; @_ZN5aiter36smooth_per_token_scaled_quant_kernelItaLi256ELi8ELb0ELb1ELb0ELi1024EEEvPT0_PfPT_S3_PiS6_iiPKiiiiiiiii
; %bb.0:
	s_load_dwordx2 s[2:3], s[4:5], 0x38
	s_load_dwordx8 s[8:15], s[4:5], 0x40
	s_mov_b64 s[0:1], 0
	s_waitcnt lgkmcnt(0)
	s_cmp_lg_u64 s[2:3], 0
	s_cbranch_scc0 .LBB107_11
; %bb.1:
	s_load_dword s2, s[2:3], 0x0
	s_waitcnt lgkmcnt(0)
	s_mul_i32 s2, s2, s8
	s_andn2_b64 vcc, exec, s[0:1]
	s_cbranch_vccnz .LBB107_3
.LBB107_2:
	s_mul_i32 s2, s10, s9
.LBB107_3:
	s_load_dwordx2 s[8:9], s[4:5], 0x30
	s_abs_i32 s1, s2
	s_waitcnt lgkmcnt(0)
	s_abs_i32 s0, s8
	v_cvt_f32_u32_e32 v1, s0
	s_sub_i32 s7, 0, s0
	s_xor_b32 s3, s2, s8
	s_ashr_i32 s3, s3, 31
	v_rcp_iflag_f32_e32 v1, v1
	v_mul_f32_e32 v1, 0x4f7ffffe, v1
	v_cvt_u32_f32_e32 v1, v1
	v_readfirstlane_b32 s15, v1
	s_mul_i32 s7, s7, s15
	s_mul_hi_u32 s7, s15, s7
	s_add_i32 s15, s15, s7
	s_mul_hi_u32 s7, s1, s15
	s_mul_i32 s15, s7, s0
	s_sub_i32 s1, s1, s15
	s_add_i32 s16, s7, 1
	s_sub_i32 s15, s1, s0
	s_cmp_ge_u32 s1, s0
	s_cselect_b32 s7, s16, s7
	s_cselect_b32 s1, s15, s1
	s_add_i32 s15, s7, 1
	s_cmp_ge_u32 s1, s0
	s_cselect_b32 s0, s15, s7
	s_xor_b32 s0, s0, s3
	s_sub_i32 s7, s0, s3
	s_mul_i32 s0, s7, s8
	s_sub_i32 s2, s2, s0
	s_cmp_lt_u32 s6, s2
	s_cselect_b64 s[0:1], -1, 0
	s_add_i32 s8, s7, 1
	s_cmp_ge_u32 s6, s2
	s_cbranch_scc0 .LBB107_5
; %bb.4:
	s_mul_i32 s3, s2, s8
	s_sub_i32 s2, s6, s2
	s_mul_i32 s2, s2, s7
	s_add_i32 s34, s2, s3
	s_cbranch_execz .LBB107_6
	s_branch .LBB107_7
.LBB107_5:
                                        ; implicit-def: $sgpr34
.LBB107_6:
	s_mul_i32 s34, s8, s6
.LBB107_7:
	v_cndmask_b32_e64 v1, 0, 1, s[0:1]
	v_readfirstlane_b32 s0, v1
	s_add_i32 s8, s7, s0
	s_cmp_lt_i32 s8, 1
	s_cbranch_scc1 .LBB107_35
; %bb.8:
	s_load_dwordx2 s[0:1], s[4:5], 0x20
	s_ashr_i32 s35, s34, 31
	s_lshl_b64 s[2:3], s[34:35], 2
	v_and_b32_e32 v1, 63, v0
	s_mov_b32 s27, 0x20000
	s_waitcnt lgkmcnt(0)
	s_add_u32 s24, s0, s2
	s_addc_u32 s0, s1, s3
	s_lshl_b32 s26, s8, 2
	s_and_b32 s25, s0, 0xffff
	v_lshlrev_b32_e32 v22, 2, v1
	buffer_load_dword v17, v22, s[24:27], 0 offen
	v_cmp_eq_u32_e32 vcc, 63, v1
	v_lshrrev_b32_e32 v1, 4, v0
	v_and_b32_e32 v19, 60, v1
	v_and_b32_e32 v1, 3, v0
	s_abs_i32 s33, s10
	v_lshlrev_b32_e32 v20, 2, v1
	v_cvt_f32_u32_e32 v1, s33
	s_add_i32 s2, s9, 7
	s_ashr_i32 s3, s2, 31
	s_lshr_b32 s3, s3, 29
	v_rcp_iflag_f32_e32 v1, v1
	s_add_i32 s2, s2, s3
	s_ashr_i32 s2, s2, 3
	v_lshlrev_b32_e32 v16, 4, v0
	v_lshlrev_b32_e32 v18, 5, v0
	v_cmp_eq_u32_e64 s[0:1], 0, v0
	v_cmp_gt_u32_e64 s[2:3], s2, v0
	v_lshlrev_b32_e32 v21, 3, v0
	v_mul_f32_e32 v0, 0x4f7ffffe, v1
	s_load_dwordx8 s[16:23], s[4:5], 0x0
	s_add_i32 s4, s9, 3
	v_cvt_u32_f32_e32 v0, v0
	s_ashr_i32 s5, s4, 31
	s_lshr_b32 s5, s5, 30
	s_add_i32 s4, s4, s5
	s_and_b32 s38, s4, -4
	s_sub_i32 s4, 0, s33
	v_readfirstlane_b32 s41, v0
	s_mul_i32 s4, s4, s41
	s_mul_hi_u32 s4, s41, s4
	s_lshl_b32 s6, s9, 1
	s_lshl_b32 s30, s9, 2
	s_ashr_i32 s40, s10, 31
	s_add_i32 s41, s41, s4
	s_mov_b32 s15, s9
	s_waitcnt vmcnt(0) lgkmcnt(0)
	s_barrier
	v_readlane_b32 s28, v17, 0
	s_cmp_lt_i32 s28, 0
	s_cbranch_scc1 .LBB107_12
; %bb.9:
	s_abs_i32 s4, s34
	s_mul_hi_u32 s5, s4, s41
	s_mul_i32 s27, s5, s33
	s_sub_i32 s4, s4, s27
	s_xor_b32 s7, s35, s40
	s_add_i32 s27, s5, 1
	s_sub_i32 s29, s4, s33
	s_cmp_ge_u32 s4, s33
	s_cselect_b32 s5, s27, s5
	s_cselect_b32 s4, s29, s4
	s_add_i32 s27, s5, 1
	s_cmp_ge_u32 s4, s33
	s_cselect_b32 s4, s27, s5
	s_xor_b32 s4, s4, s7
	s_sub_i32 s27, s4, s7
	s_mul_i32 s4, s27, s10
	s_sub_i32 s36, s34, s4
	s_mul_i32 s4, s36, s12
	s_mul_i32 s5, s27, s11
	s_add_i32 s35, s4, s5
	s_cmp_eq_u32 s35, -1
	s_cbranch_scc1 .LBB107_13
; %bb.10:
	s_mul_hi_i32 s5, s35, s15
	s_mul_i32 s4, s35, s15
	s_lshl_b64 s[4:5], s[4:5], 1
	s_add_u32 s4, s20, s4
	s_addc_u32 s5, s21, s5
	s_and_b32 s5, s5, 0xffff
	s_mov_b32 s7, 0x20000
	buffer_load_dwordx4 v[6:9], v16, s[4:7], 0 offen
	s_waitcnt vmcnt(0)
	v_cvt_f32_u32_sdwa v1, v6 dst_sel:DWORD dst_unused:UNUSED_PAD src0_sel:WORD_1
	v_cvt_f32_u32_sdwa v0, v6 dst_sel:DWORD dst_unused:UNUSED_PAD src0_sel:WORD_0
	v_cvt_f32_u32_sdwa v3, v7 dst_sel:DWORD dst_unused:UNUSED_PAD src0_sel:WORD_1
	v_cvt_f32_u32_sdwa v2, v7 dst_sel:DWORD dst_unused:UNUSED_PAD src0_sel:WORD_0
	;; [unrolled: 2-line block ×4, first 2 shown]
	s_branch .LBB107_14
.LBB107_11:
                                        ; implicit-def: $sgpr2
	s_branch .LBB107_2
.LBB107_12:
	s_mov_b32 s35, -1
                                        ; implicit-def: $vgpr0_vgpr1_vgpr2_vgpr3_vgpr4_vgpr5_vgpr6_vgpr7
	s_cmp_eq_u32 s8, 1
	s_mov_b32 s42, 1
	s_cbranch_scc0 .LBB107_21
	s_branch .LBB107_35
.LBB107_13:
                                        ; implicit-def: $vgpr0_vgpr1_vgpr2_vgpr3_vgpr4_vgpr5_vgpr6_vgpr7
.LBB107_14:
	s_mul_i32 s4, s28, s9
	s_ashr_i32 s5, s4, 31
	s_lshl_b64 s[4:5], s[4:5], 2
	s_add_u32 s28, s22, s4
	s_addc_u32 s4, s23, s5
	s_and_b32 s29, s4, 0xffff
	s_mov_b32 s31, 0x20000
	buffer_load_dwordx4 v[8:11], v18, s[28:31], 0 offen
	buffer_load_dwordx4 v[12:15], v18, s[28:31], 16 offen
	s_mov_b32 s4, 0x2edbe6ff
	s_waitcnt vmcnt(1)
	v_pk_mul_f32 v[8:9], v[0:1], v[8:9]
	v_pk_mul_f32 v[10:11], v[2:3], v[10:11]
	v_max3_f32 v23, |v8|, s4, |v9|
	s_waitcnt vmcnt(0)
	v_pk_mul_f32 v[12:13], v[4:5], v[12:13]
	v_max3_f32 v23, v23, |v10|, |v11|
	v_pk_mul_f32 v[14:15], v[6:7], v[14:15]
	v_max3_f32 v23, v23, |v12|, |v13|
	v_max3_f32 v23, v23, |v14|, |v15|
	s_nop 1
	v_mov_b32_dpp v24, v23 quad_perm:[1,0,3,2] row_mask:0xf bank_mask:0xf
	v_cmp_gt_f32_e64 s[4:5], v23, v24
	v_cndmask_b32_e64 v23, v24, v23, s[4:5]
	s_nop 1
	v_mov_b32_dpp v24, v23 quad_perm:[2,3,0,1] row_mask:0xf bank_mask:0xf
	v_cmp_gt_f32_e64 s[4:5], v23, v24
	v_cndmask_b32_e64 v23, v24, v23, s[4:5]
	s_nop 1
	v_mov_b32_dpp v24, v23 row_half_mirror row_mask:0xf bank_mask:0xf
	v_cmp_gt_f32_e64 s[4:5], v23, v24
	v_cndmask_b32_e64 v23, v24, v23, s[4:5]
	s_nop 1
	v_mov_b32_dpp v24, v23 row_mirror row_mask:0xf bank_mask:0xf
	v_cmp_gt_f32_e64 s[4:5], v23, v24
	v_cndmask_b32_e64 v23, v24, v23, s[4:5]
	s_nop 1
	v_mov_b32_dpp v24, v23 row_bcast:15 row_mask:0xf bank_mask:0xf
	v_cmp_gt_f32_e64 s[4:5], v23, v24
	v_cndmask_b32_e64 v23, v24, v23, s[4:5]
	s_nop 1
	v_mov_b32_dpp v24, v23 row_bcast:31 row_mask:0xf bank_mask:0xf
	s_and_saveexec_b64 s[28:29], vcc
	s_cbranch_execz .LBB107_16
; %bb.15:
	v_cmp_gt_f32_e64 s[4:5], v23, v24
	v_cndmask_b32_e64 v23, v24, v23, s[4:5]
	ds_write_b32 v19, v23
.LBB107_16:
	s_or_b64 exec, exec, s[28:29]
	s_waitcnt lgkmcnt(0)
	s_barrier
	ds_read_b32 v23, v20
	s_mul_i32 s27, s27, s13
	s_waitcnt lgkmcnt(0)
	v_mov_b32_dpp v24, v23 quad_perm:[1,0,3,2] row_mask:0xf bank_mask:0xf
	v_cmp_gt_f32_e64 s[4:5], v23, v24
	v_cndmask_b32_e64 v23, v24, v23, s[4:5]
	s_nop 1
	v_mov_b32_dpp v24, v23 quad_perm:[2,3,0,1] row_mask:0xf bank_mask:0xf
	v_cmp_gt_f32_e64 s[4:5], v23, v24
	v_cndmask_b32_e64 v23, v24, v23, s[4:5]
	s_mul_i32 s4, s36, s14
	v_mul_f32_e32 v23, 0x3c010204, v23
	s_add_i32 s28, s4, s27
	s_and_saveexec_b64 s[4:5], s[0:1]
	s_cbranch_execz .LBB107_18
; %bb.17:
	s_ashr_i32 s29, s28, 31
	s_lshl_b64 s[36:37], s[28:29], 2
	s_add_u32 s36, s18, s36
	s_addc_u32 s37, s19, s37
	v_mov_b32_e32 v24, 0
	global_store_dword v24, v23, s[36:37]
.LBB107_18:
	s_or_b64 exec, exec, s[4:5]
	s_and_saveexec_b64 s[4:5], s[2:3]
	s_cbranch_execz .LBB107_20
; %bb.19:
	v_rcp_f32_e32 v24, v23
	s_mul_i32 s27, s28, s15
	s_mul_hi_i32 s7, s28, s15
	s_add_u32 s36, s16, s27
	v_mov_b32_e32 v25, v24
	;;#ASMSTART
	v_pk_mul_f32 v[8:9], v[8:9], v[24:25]
	;;#ASMEND
	v_cvt_i32_f32_e32 v23, v8
	v_cvt_i32_f32_sdwa v26, v9 dst_sel:BYTE_1 dst_unused:UNUSED_PAD src0_sel:DWORD
	;;#ASMSTART
	v_pk_mul_f32 v[8:9], v[10:11], v[24:25]
	;;#ASMEND
	v_cvt_i32_f32_e32 v10, v8
	v_cvt_i32_f32_sdwa v11, v9 dst_sel:BYTE_1 dst_unused:UNUSED_PAD src0_sel:DWORD
	;;#ASMSTART
	v_pk_mul_f32 v[8:9], v[12:13], v[24:25]
	;;#ASMEND
	v_cvt_i32_f32_e32 v12, v8
	v_cvt_i32_f32_sdwa v13, v9 dst_sel:BYTE_1 dst_unused:UNUSED_PAD src0_sel:DWORD
	;;#ASMSTART
	v_pk_mul_f32 v[8:9], v[14:15], v[24:25]
	;;#ASMEND
	v_cvt_i32_f32_e32 v14, v8
	v_cvt_i32_f32_sdwa v9, v9 dst_sel:BYTE_1 dst_unused:UNUSED_PAD src0_sel:DWORD
	v_or_b32_sdwa v8, v23, v26 dst_sel:DWORD dst_unused:UNUSED_PAD src0_sel:BYTE_0 src1_sel:DWORD
	v_or_b32_sdwa v10, v10, v11 dst_sel:WORD_1 dst_unused:UNUSED_PAD src0_sel:BYTE_0 src1_sel:DWORD
	s_addc_u32 s7, s17, s7
	v_or_b32_sdwa v8, v8, v10 dst_sel:DWORD dst_unused:UNUSED_PAD src0_sel:WORD_0 src1_sel:DWORD
	v_or_b32_sdwa v10, v12, v13 dst_sel:DWORD dst_unused:UNUSED_PAD src0_sel:BYTE_0 src1_sel:DWORD
	v_or_b32_sdwa v9, v14, v9 dst_sel:WORD_1 dst_unused:UNUSED_PAD src0_sel:BYTE_0 src1_sel:DWORD
	s_and_b32 s37, s7, 0xffff
	s_mov_b32 s39, 0x20000
	v_or_b32_sdwa v9, v10, v9 dst_sel:DWORD dst_unused:UNUSED_PAD src0_sel:WORD_0 src1_sel:DWORD
	buffer_store_dwordx2 v[8:9], v21, s[36:39], 0 offen
	;;#ASMSTART
	s_nop 0
	;;#ASMEND
.LBB107_20:
	s_or_b64 exec, exec, s[4:5]
	s_cmp_eq_u32 s8, 1
	s_mov_b32 s42, 1
	s_cbranch_scc1 .LBB107_35
.LBB107_21:
	v_add_u32_e32 v22, 4, v22
	s_mov_b32 s31, 0x20000
	s_mov_b32 s43, 0x2edbe6ff
	v_mov_b32_e32 v23, 0
	s_branch .LBB107_24
.LBB107_22:                             ;   in Loop: Header=BB107_24 Depth=1
	s_or_b64 exec, exec, s[4:5]
.LBB107_23:                             ;   in Loop: Header=BB107_24 Depth=1
	s_add_i32 s42, s42, 1
	s_cmp_eq_u32 s8, s42
	v_add_u32_e32 v22, 4, v22
	s_cbranch_scc1 .LBB107_35
.LBB107_24:                             ; =>This Inner Loop Header: Depth=1
	s_and_b32 s4, s42, 63
	s_cmp_lg_u32 s4, 0
	s_cbranch_scc1 .LBB107_26
; %bb.25:                               ;   in Loop: Header=BB107_24 Depth=1
	s_mov_b32 s27, s31
	buffer_load_dword v17, v22, s[24:27], 0 offen
	s_waitcnt vmcnt(0)
.LBB107_26:                             ;   in Loop: Header=BB107_24 Depth=1
	v_readlane_b32 s28, v17, s4
	s_cmp_lt_i32 s28, 0
	s_cbranch_scc1 .LBB107_23
; %bb.27:                               ;   in Loop: Header=BB107_24 Depth=1
	s_add_i32 s4, s34, s42
	s_abs_i32 s7, s4
	s_mul_hi_u32 s27, s7, s41
	s_mul_i32 s29, s27, s33
	s_ashr_i32 s5, s4, 31
	s_sub_i32 s7, s7, s29
	s_xor_b32 s5, s5, s40
	s_add_i32 s29, s27, 1
	s_sub_i32 s36, s7, s33
	s_cmp_ge_u32 s7, s33
	s_cselect_b32 s27, s29, s27
	s_cselect_b32 s7, s36, s7
	s_add_i32 s29, s27, 1
	s_cmp_ge_u32 s7, s33
	s_cselect_b32 s7, s29, s27
	s_xor_b32 s7, s7, s5
	s_sub_i32 s27, s7, s5
	s_mul_i32 s5, s27, s10
	s_sub_i32 s36, s4, s5
	s_mul_i32 s29, s36, s12
	s_mul_i32 s4, s27, s11
	s_add_i32 s29, s29, s4
	s_cmp_eq_u32 s29, s35
	s_cbranch_scc1 .LBB107_29
; %bb.28:                               ;   in Loop: Header=BB107_24 Depth=1
	s_mul_hi_i32 s5, s29, s15
	s_mul_i32 s4, s29, s15
	s_lshl_b64 s[4:5], s[4:5], 1
	s_add_u32 s4, s20, s4
	s_addc_u32 s5, s21, s5
	s_and_b32 s5, s5, 0xffff
	s_mov_b32 s7, s31
	buffer_load_dwordx4 v[6:9], v16, s[4:7], 0 offen
	s_mov_b32 s35, s29
	s_waitcnt vmcnt(0)
	v_cvt_f32_u32_sdwa v1, v6 dst_sel:DWORD dst_unused:UNUSED_PAD src0_sel:WORD_1
	v_cvt_f32_u32_sdwa v0, v6 dst_sel:DWORD dst_unused:UNUSED_PAD src0_sel:WORD_0
	v_cvt_f32_u32_sdwa v3, v7 dst_sel:DWORD dst_unused:UNUSED_PAD src0_sel:WORD_1
	v_cvt_f32_u32_sdwa v2, v7 dst_sel:DWORD dst_unused:UNUSED_PAD src0_sel:WORD_0
	;; [unrolled: 2-line block ×4, first 2 shown]
.LBB107_29:                             ;   in Loop: Header=BB107_24 Depth=1
	s_mul_i32 s4, s28, s9
	s_ashr_i32 s5, s4, 31
	s_lshl_b64 s[4:5], s[4:5], 2
	s_add_u32 s28, s22, s4
	s_addc_u32 s4, s23, s5
	s_and_b32 s29, s4, 0xffff
	buffer_load_dwordx4 v[8:11], v18, s[28:31], 0 offen
	buffer_load_dwordx4 v[12:15], v18, s[28:31], 16 offen
	s_waitcnt vmcnt(1)
	v_pk_mul_f32 v[8:9], v[0:1], v[8:9]
	v_pk_mul_f32 v[10:11], v[2:3], v[10:11]
	v_max3_f32 v24, |v8|, s43, |v9|
	s_waitcnt vmcnt(0)
	v_pk_mul_f32 v[12:13], v[4:5], v[12:13]
	v_max3_f32 v24, v24, |v10|, |v11|
	v_pk_mul_f32 v[14:15], v[6:7], v[14:15]
	v_max3_f32 v24, v24, |v12|, |v13|
	v_max3_f32 v24, v24, |v14|, |v15|
	s_nop 1
	v_mov_b32_dpp v25, v24 quad_perm:[1,0,3,2] row_mask:0xf bank_mask:0xf
	v_cmp_gt_f32_e64 s[4:5], v24, v25
	v_cndmask_b32_e64 v24, v25, v24, s[4:5]
	s_nop 1
	v_mov_b32_dpp v25, v24 quad_perm:[2,3,0,1] row_mask:0xf bank_mask:0xf
	v_cmp_gt_f32_e64 s[4:5], v24, v25
	v_cndmask_b32_e64 v24, v25, v24, s[4:5]
	s_nop 1
	v_mov_b32_dpp v25, v24 row_half_mirror row_mask:0xf bank_mask:0xf
	v_cmp_gt_f32_e64 s[4:5], v24, v25
	v_cndmask_b32_e64 v24, v25, v24, s[4:5]
	s_nop 1
	v_mov_b32_dpp v25, v24 row_mirror row_mask:0xf bank_mask:0xf
	v_cmp_gt_f32_e64 s[4:5], v24, v25
	v_cndmask_b32_e64 v24, v25, v24, s[4:5]
	s_nop 1
	v_mov_b32_dpp v25, v24 row_bcast:15 row_mask:0xf bank_mask:0xf
	v_cmp_gt_f32_e64 s[4:5], v24, v25
	v_cndmask_b32_e64 v24, v25, v24, s[4:5]
	s_nop 1
	v_mov_b32_dpp v25, v24 row_bcast:31 row_mask:0xf bank_mask:0xf
	s_and_saveexec_b64 s[28:29], vcc
	s_cbranch_execz .LBB107_31
; %bb.30:                               ;   in Loop: Header=BB107_24 Depth=1
	v_cmp_gt_f32_e64 s[4:5], v24, v25
	v_cndmask_b32_e64 v24, v25, v24, s[4:5]
	ds_write_b32 v19, v24
.LBB107_31:                             ;   in Loop: Header=BB107_24 Depth=1
	s_or_b64 exec, exec, s[28:29]
	s_waitcnt lgkmcnt(0)
	s_barrier
	ds_read_b32 v24, v20
	s_mul_i32 s27, s27, s13
	s_waitcnt lgkmcnt(0)
	v_mov_b32_dpp v25, v24 quad_perm:[1,0,3,2] row_mask:0xf bank_mask:0xf
	v_cmp_gt_f32_e64 s[4:5], v24, v25
	v_cndmask_b32_e64 v24, v25, v24, s[4:5]
	s_nop 1
	v_mov_b32_dpp v25, v24 quad_perm:[2,3,0,1] row_mask:0xf bank_mask:0xf
	v_cmp_gt_f32_e64 s[4:5], v24, v25
	v_cndmask_b32_e64 v24, v25, v24, s[4:5]
	s_mul_i32 s4, s36, s14
	v_mul_f32_e32 v24, 0x3c010204, v24
	s_add_i32 s28, s4, s27
	s_and_saveexec_b64 s[4:5], s[0:1]
	s_cbranch_execz .LBB107_33
; %bb.32:                               ;   in Loop: Header=BB107_24 Depth=1
	s_ashr_i32 s29, s28, 31
	s_lshl_b64 s[36:37], s[28:29], 2
	s_add_u32 s36, s18, s36
	s_addc_u32 s37, s19, s37
	global_store_dword v23, v24, s[36:37]
.LBB107_33:                             ;   in Loop: Header=BB107_24 Depth=1
	s_or_b64 exec, exec, s[4:5]
	s_and_saveexec_b64 s[4:5], s[2:3]
	s_cbranch_execz .LBB107_22
; %bb.34:                               ;   in Loop: Header=BB107_24 Depth=1
	v_rcp_f32_e32 v24, v24
	s_mul_i32 s27, s28, s15
	s_mul_hi_i32 s7, s28, s15
	s_add_u32 s36, s16, s27
	v_mov_b32_e32 v25, v24
	;;#ASMSTART
	v_pk_mul_f32 v[8:9], v[8:9], v[24:25]
	;;#ASMEND
	v_cvt_i32_f32_e32 v26, v8
	v_cvt_i32_f32_sdwa v27, v9 dst_sel:BYTE_1 dst_unused:UNUSED_PAD src0_sel:DWORD
	;;#ASMSTART
	v_pk_mul_f32 v[8:9], v[10:11], v[24:25]
	;;#ASMEND
	v_cvt_i32_f32_e32 v10, v8
	v_cvt_i32_f32_sdwa v11, v9 dst_sel:BYTE_1 dst_unused:UNUSED_PAD src0_sel:DWORD
	;; [unrolled: 5-line block ×4, first 2 shown]
	v_or_b32_sdwa v8, v26, v27 dst_sel:DWORD dst_unused:UNUSED_PAD src0_sel:BYTE_0 src1_sel:DWORD
	v_or_b32_sdwa v10, v10, v11 dst_sel:WORD_1 dst_unused:UNUSED_PAD src0_sel:BYTE_0 src1_sel:DWORD
	s_addc_u32 s7, s17, s7
	v_or_b32_sdwa v8, v8, v10 dst_sel:DWORD dst_unused:UNUSED_PAD src0_sel:WORD_0 src1_sel:DWORD
	v_or_b32_sdwa v10, v12, v13 dst_sel:DWORD dst_unused:UNUSED_PAD src0_sel:BYTE_0 src1_sel:DWORD
	v_or_b32_sdwa v9, v14, v9 dst_sel:WORD_1 dst_unused:UNUSED_PAD src0_sel:BYTE_0 src1_sel:DWORD
	s_and_b32 s37, s7, 0xffff
	s_mov_b32 s39, s31
	v_or_b32_sdwa v9, v10, v9 dst_sel:DWORD dst_unused:UNUSED_PAD src0_sel:WORD_0 src1_sel:DWORD
	buffer_store_dwordx2 v[8:9], v21, s[36:39], 0 offen
	;;#ASMSTART
	s_nop 0
	;;#ASMEND
	s_branch .LBB107_22
.LBB107_35:
	s_endpgm
	.section	.rodata,"a",@progbits
	.p2align	6, 0x0
	.amdhsa_kernel _ZN5aiter36smooth_per_token_scaled_quant_kernelItaLi256ELi8ELb0ELb1ELb0ELi1024EEEvPT0_PfPT_S3_PiS6_iiPKiiiiiiiii
		.amdhsa_group_segment_fixed_size 16
		.amdhsa_private_segment_fixed_size 0
		.amdhsa_kernarg_size 96
		.amdhsa_user_sgpr_count 6
		.amdhsa_user_sgpr_private_segment_buffer 1
		.amdhsa_user_sgpr_dispatch_ptr 0
		.amdhsa_user_sgpr_queue_ptr 0
		.amdhsa_user_sgpr_kernarg_segment_ptr 1
		.amdhsa_user_sgpr_dispatch_id 0
		.amdhsa_user_sgpr_flat_scratch_init 0
		.amdhsa_user_sgpr_kernarg_preload_length 0
		.amdhsa_user_sgpr_kernarg_preload_offset 0
		.amdhsa_user_sgpr_private_segment_size 0
		.amdhsa_uses_dynamic_stack 0
		.amdhsa_system_sgpr_private_segment_wavefront_offset 0
		.amdhsa_system_sgpr_workgroup_id_x 1
		.amdhsa_system_sgpr_workgroup_id_y 0
		.amdhsa_system_sgpr_workgroup_id_z 0
		.amdhsa_system_sgpr_workgroup_info 0
		.amdhsa_system_vgpr_workitem_id 0
		.amdhsa_next_free_vgpr 28
		.amdhsa_next_free_sgpr 44
		.amdhsa_accum_offset 28
		.amdhsa_reserve_vcc 1
		.amdhsa_reserve_flat_scratch 0
		.amdhsa_float_round_mode_32 0
		.amdhsa_float_round_mode_16_64 0
		.amdhsa_float_denorm_mode_32 3
		.amdhsa_float_denorm_mode_16_64 3
		.amdhsa_dx10_clamp 1
		.amdhsa_ieee_mode 1
		.amdhsa_fp16_overflow 0
		.amdhsa_tg_split 0
		.amdhsa_exception_fp_ieee_invalid_op 0
		.amdhsa_exception_fp_denorm_src 0
		.amdhsa_exception_fp_ieee_div_zero 0
		.amdhsa_exception_fp_ieee_overflow 0
		.amdhsa_exception_fp_ieee_underflow 0
		.amdhsa_exception_fp_ieee_inexact 0
		.amdhsa_exception_int_div_zero 0
	.end_amdhsa_kernel
	.section	.text._ZN5aiter36smooth_per_token_scaled_quant_kernelItaLi256ELi8ELb0ELb1ELb0ELi1024EEEvPT0_PfPT_S3_PiS6_iiPKiiiiiiiii,"axG",@progbits,_ZN5aiter36smooth_per_token_scaled_quant_kernelItaLi256ELi8ELb0ELb1ELb0ELi1024EEEvPT0_PfPT_S3_PiS6_iiPKiiiiiiiii,comdat
.Lfunc_end107:
	.size	_ZN5aiter36smooth_per_token_scaled_quant_kernelItaLi256ELi8ELb0ELb1ELb0ELi1024EEEvPT0_PfPT_S3_PiS6_iiPKiiiiiiiii, .Lfunc_end107-_ZN5aiter36smooth_per_token_scaled_quant_kernelItaLi256ELi8ELb0ELb1ELb0ELi1024EEEvPT0_PfPT_S3_PiS6_iiPKiiiiiiiii
                                        ; -- End function
	.section	.AMDGPU.csdata,"",@progbits
; Kernel info:
; codeLenInByte = 2320
; NumSgprs: 48
; NumVgprs: 28
; NumAgprs: 0
; TotalNumVgprs: 28
; ScratchSize: 0
; MemoryBound: 0
; FloatMode: 240
; IeeeMode: 1
; LDSByteSize: 16 bytes/workgroup (compile time only)
; SGPRBlocks: 5
; VGPRBlocks: 3
; NumSGPRsForWavesPerEU: 48
; NumVGPRsForWavesPerEU: 28
; AccumOffset: 28
; Occupancy: 8
; WaveLimiterHint : 0
; COMPUTE_PGM_RSRC2:SCRATCH_EN: 0
; COMPUTE_PGM_RSRC2:USER_SGPR: 6
; COMPUTE_PGM_RSRC2:TRAP_HANDLER: 0
; COMPUTE_PGM_RSRC2:TGID_X_EN: 1
; COMPUTE_PGM_RSRC2:TGID_Y_EN: 0
; COMPUTE_PGM_RSRC2:TGID_Z_EN: 0
; COMPUTE_PGM_RSRC2:TIDIG_COMP_CNT: 0
; COMPUTE_PGM_RSRC3_GFX90A:ACCUM_OFFSET: 6
; COMPUTE_PGM_RSRC3_GFX90A:TG_SPLIT: 0
	.section	.text._ZN5aiter36smooth_per_token_scaled_quant_kernelIDF16_aLi256ELi8ELb0ELb0ELb0ELi1024EEEvPT0_PfPT_S3_PiS6_iiPKiiiiiiiii,"axG",@progbits,_ZN5aiter36smooth_per_token_scaled_quant_kernelIDF16_aLi256ELi8ELb0ELb0ELb0ELi1024EEEvPT0_PfPT_S3_PiS6_iiPKiiiiiiiii,comdat
	.protected	_ZN5aiter36smooth_per_token_scaled_quant_kernelIDF16_aLi256ELi8ELb0ELb0ELb0ELi1024EEEvPT0_PfPT_S3_PiS6_iiPKiiiiiiiii ; -- Begin function _ZN5aiter36smooth_per_token_scaled_quant_kernelIDF16_aLi256ELi8ELb0ELb0ELb0ELi1024EEEvPT0_PfPT_S3_PiS6_iiPKiiiiiiiii
	.globl	_ZN5aiter36smooth_per_token_scaled_quant_kernelIDF16_aLi256ELi8ELb0ELb0ELb0ELi1024EEEvPT0_PfPT_S3_PiS6_iiPKiiiiiiiii
	.p2align	8
	.type	_ZN5aiter36smooth_per_token_scaled_quant_kernelIDF16_aLi256ELi8ELb0ELb0ELb0ELi1024EEEvPT0_PfPT_S3_PiS6_iiPKiiiiiiiii,@function
_ZN5aiter36smooth_per_token_scaled_quant_kernelIDF16_aLi256ELi8ELb0ELb0ELb0ELi1024EEEvPT0_PfPT_S3_PiS6_iiPKiiiiiiiii: ; @_ZN5aiter36smooth_per_token_scaled_quant_kernelIDF16_aLi256ELi8ELb0ELb0ELb0ELi1024EEEvPT0_PfPT_S3_PiS6_iiPKiiiiiiiii
; %bb.0:
	s_load_dwordx2 s[2:3], s[4:5], 0x38
	s_load_dwordx8 s[8:15], s[4:5], 0x40
	s_mov_b64 s[0:1], 0
	s_waitcnt lgkmcnt(0)
	s_cmp_lg_u64 s[2:3], 0
	s_cbranch_scc0 .LBB108_19
; %bb.1:
	s_load_dword s2, s[2:3], 0x0
	s_waitcnt lgkmcnt(0)
	s_mul_i32 s2, s2, s8
	s_andn2_b64 vcc, exec, s[0:1]
	s_cbranch_vccnz .LBB108_3
.LBB108_2:
	s_mul_i32 s2, s10, s9
.LBB108_3:
	s_load_dwordx2 s[8:9], s[4:5], 0x30
	s_abs_i32 s1, s2
	s_waitcnt lgkmcnt(0)
	s_abs_i32 s0, s8
	v_cvt_f32_u32_e32 v1, s0
	s_sub_i32 s7, 0, s0
	s_xor_b32 s3, s2, s8
	s_ashr_i32 s3, s3, 31
	v_rcp_iflag_f32_e32 v1, v1
	v_mul_f32_e32 v1, 0x4f7ffffe, v1
	v_cvt_u32_f32_e32 v1, v1
	v_readfirstlane_b32 s15, v1
	s_mul_i32 s7, s7, s15
	s_mul_hi_u32 s7, s15, s7
	s_add_i32 s15, s15, s7
	s_mul_hi_u32 s7, s1, s15
	s_mul_i32 s15, s7, s0
	s_sub_i32 s1, s1, s15
	s_add_i32 s16, s7, 1
	s_sub_i32 s15, s1, s0
	s_cmp_ge_u32 s1, s0
	s_cselect_b32 s7, s16, s7
	s_cselect_b32 s1, s15, s1
	s_add_i32 s15, s7, 1
	s_cmp_ge_u32 s1, s0
	s_cselect_b32 s0, s15, s7
	s_xor_b32 s0, s0, s3
	s_sub_i32 s7, s0, s3
	s_mul_i32 s0, s7, s8
	s_sub_i32 s2, s2, s0
	s_cmp_lt_u32 s6, s2
	s_cselect_b64 s[0:1], -1, 0
	s_add_i32 s8, s7, 1
	s_cmp_ge_u32 s6, s2
	s_cbranch_scc0 .LBB108_5
; %bb.4:
	s_mul_i32 s3, s2, s8
	s_sub_i32 s2, s6, s2
	s_mul_i32 s2, s2, s7
	s_add_i32 s15, s2, s3
	s_cbranch_execz .LBB108_6
	s_branch .LBB108_7
.LBB108_5:
                                        ; implicit-def: $sgpr15
.LBB108_6:
	s_mul_i32 s15, s8, s6
.LBB108_7:
	v_cndmask_b32_e64 v1, 0, 1, s[0:1]
	v_readfirstlane_b32 s0, v1
	s_add_i32 s33, s7, s0
	s_cmp_lt_i32 s33, 1
	s_cbranch_scc1 .LBB108_18
; %bb.8:
	v_and_b32_e32 v1, 63, v0
	v_cmp_eq_u32_e32 vcc, 63, v1
	v_lshrrev_b32_e32 v1, 4, v0
	v_and_b32_e32 v22, 60, v1
	v_and_b32_e32 v1, 3, v0
	s_abs_i32 s35, s10
	v_lshlrev_b32_e32 v23, 2, v1
	v_cvt_f32_u32_e32 v1, s35
	s_load_dwordx8 s[16:23], s[4:5], 0x0
	s_add_i32 s4, s9, 3
	s_add_i32 s2, s9, 7
	v_rcp_iflag_f32_e32 v1, v1
	s_ashr_i32 s5, s4, 31
	s_ashr_i32 s3, s2, 31
	s_lshr_b32 s5, s5, 30
	v_mul_f32_e32 v1, 0x4f7ffffe, v1
	v_cvt_u32_f32_e32 v1, v1
	s_lshr_b32 s3, s3, 29
	s_add_i32 s4, s4, s5
	s_add_i32 s2, s2, s3
	s_and_b32 s30, s4, -4
	s_sub_i32 s4, 0, s35
	v_readfirstlane_b32 s5, v1
	s_ashr_i32 s2, s2, 3
	s_mul_i32 s4, s4, s5
	v_lshlrev_b32_e32 v20, 4, v0
	s_mov_b32 s7, 0x20000
	s_waitcnt lgkmcnt(0)
	s_and_b32 s23, s23, 0xffff
	v_lshlrev_b32_e32 v21, 5, v0
	v_cmp_eq_u32_e64 s[0:1], 0, v0
	v_cmp_gt_u32_e64 s[2:3], s2, v0
	v_lshlrev_b32_e32 v24, 3, v0
	s_mul_hi_u32 s4, s5, s4
                                        ; implicit-def: $vgpr0_vgpr1_vgpr2_vgpr3_vgpr4_vgpr5_vgpr6_vgpr7
	s_mov_b32 s34, s9
	s_lshl_b32 s6, s9, 1
	s_lshl_b32 s26, s9, 2
	s_mov_b32 s27, s7
	s_ashr_i32 s36, s10, 31
	s_add_i32 s37, s5, s4
	s_mov_b32 s38, -1
	s_mov_b32 s24, s22
	s_mov_b32 s25, s23
	;; [unrolled: 1-line block ×3, first 2 shown]
	v_mov_b32_e32 v25, 0
                                        ; implicit-def: $vgpr4_vgpr5_vgpr6_vgpr7_vgpr8_vgpr9_vgpr10_vgpr11
                                        ; implicit-def: $vgpr18
                                        ; implicit-def: $vgpr10_vgpr11_vgpr12_vgpr13_vgpr14_vgpr15_vgpr16_vgpr17
	s_branch .LBB108_10
.LBB108_9:                              ;   in Loop: Header=BB108_10 Depth=1
	s_or_b64 exec, exec, s[4:5]
	s_add_i32 s33, s33, -1
	s_add_i32 s15, s15, 1
	s_cmp_eq_u32 s33, 0
	s_cbranch_scc1 .LBB108_18
.LBB108_10:                             ; =>This Inner Loop Header: Depth=1
	s_abs_i32 s5, s15
	s_mul_hi_u32 s8, s5, s37
	s_mul_i32 s9, s8, s35
	s_ashr_i32 s4, s15, 31
	s_sub_i32 s5, s5, s9
	s_xor_b32 s4, s4, s36
	s_add_i32 s9, s8, 1
	s_sub_i32 s23, s5, s35
	s_cmp_ge_u32 s5, s35
	s_cselect_b32 s8, s9, s8
	s_cselect_b32 s5, s23, s5
	s_add_i32 s9, s8, 1
	s_cmp_ge_u32 s5, s35
	s_cselect_b32 s5, s9, s8
	s_xor_b32 s5, s5, s4
	s_sub_i32 s23, s5, s4
	s_mul_i32 s4, s23, s10
	s_sub_i32 s28, s15, s4
	s_mul_i32 s8, s28, s12
	s_mul_i32 s4, s23, s11
	s_add_i32 s8, s8, s4
	s_cmp_eq_u32 s8, s38
	s_cbranch_scc1 .LBB108_12
; %bb.11:                               ;   in Loop: Header=BB108_10 Depth=1
	s_mul_hi_i32 s5, s8, s34
	s_mul_i32 s4, s8, s34
	s_lshl_b64 s[4:5], s[4:5], 1
	s_add_u32 s4, s20, s4
	s_addc_u32 s5, s21, s5
	s_and_b32 s5, s5, 0xffff
	buffer_load_dwordx4 v[2:5], v20, s[4:7], 0 offen
	s_mov_b32 s38, s8
	s_waitcnt vmcnt(0)
	v_cvt_f32_f16_e32 v18, v2
	v_cvt_f32_f16_sdwa v19, v2 dst_sel:DWORD dst_unused:UNUSED_PAD src0_sel:WORD_1
	v_cvt_f32_f16_e32 v2, v3
	v_cvt_f32_f16_sdwa v3, v3 dst_sel:DWORD dst_unused:UNUSED_PAD src0_sel:WORD_1
	;; [unrolled: 2-line block ×4, first 2 shown]
.LBB108_12:                             ;   in Loop: Header=BB108_10 Depth=1
	buffer_load_dwordx4 v[4:7], v21, s[24:27], 0 offen
	buffer_load_dwordx4 v[10:13], v21, s[24:27], 16 offen
	s_waitcnt vmcnt(1)
	v_pk_mul_f32 v[0:1], v[18:19], v[4:5]
	v_pk_mul_f32 v[4:5], v[2:3], v[6:7]
	s_waitcnt vmcnt(0)
	v_pk_mul_f32 v[6:7], v[8:9], v[10:11]
	v_pk_mul_f32 v[10:11], v[16:17], v[12:13]
	v_max3_f32 v12, |v0|, s22, |v1|
	v_max3_f32 v12, v12, |v4|, |v5|
	v_max3_f32 v12, v12, |v6|, |v7|
	;; [unrolled: 1-line block ×3, first 2 shown]
	s_nop 1
	v_mov_b32_dpp v13, v12 quad_perm:[1,0,3,2] row_mask:0xf bank_mask:0xf
	v_cmp_gt_f32_e64 s[4:5], v12, v13
	v_cndmask_b32_e64 v12, v13, v12, s[4:5]
	s_nop 1
	v_mov_b32_dpp v13, v12 quad_perm:[2,3,0,1] row_mask:0xf bank_mask:0xf
	v_cmp_gt_f32_e64 s[4:5], v12, v13
	v_cndmask_b32_e64 v12, v13, v12, s[4:5]
	s_nop 1
	v_mov_b32_dpp v13, v12 row_half_mirror row_mask:0xf bank_mask:0xf
	v_cmp_gt_f32_e64 s[4:5], v12, v13
	v_cndmask_b32_e64 v12, v13, v12, s[4:5]
	s_nop 1
	v_mov_b32_dpp v13, v12 row_mirror row_mask:0xf bank_mask:0xf
	v_cmp_gt_f32_e64 s[4:5], v12, v13
	v_cndmask_b32_e64 v12, v13, v12, s[4:5]
	s_nop 1
	v_mov_b32_dpp v13, v12 row_bcast:15 row_mask:0xf bank_mask:0xf
	v_cmp_gt_f32_e64 s[4:5], v12, v13
	v_cndmask_b32_e64 v12, v13, v12, s[4:5]
	s_nop 1
	v_mov_b32_dpp v13, v12 row_bcast:31 row_mask:0xf bank_mask:0xf
	s_and_saveexec_b64 s[8:9], vcc
	s_cbranch_execz .LBB108_14
; %bb.13:                               ;   in Loop: Header=BB108_10 Depth=1
	v_cmp_gt_f32_e64 s[4:5], v12, v13
	v_cndmask_b32_e64 v12, v13, v12, s[4:5]
	ds_write_b32 v22, v12
.LBB108_14:                             ;   in Loop: Header=BB108_10 Depth=1
	s_or_b64 exec, exec, s[8:9]
	s_waitcnt lgkmcnt(0)
	s_barrier
	ds_read_b32 v12, v23
	s_mul_i32 s23, s23, s13
	s_waitcnt lgkmcnt(0)
	v_mov_b32_dpp v13, v12 quad_perm:[1,0,3,2] row_mask:0xf bank_mask:0xf
	v_cmp_gt_f32_e64 s[4:5], v12, v13
	v_cndmask_b32_e64 v12, v13, v12, s[4:5]
	s_nop 1
	v_mov_b32_dpp v13, v12 quad_perm:[2,3,0,1] row_mask:0xf bank_mask:0xf
	v_cmp_gt_f32_e64 s[4:5], v12, v13
	v_cndmask_b32_e64 v12, v13, v12, s[4:5]
	s_mul_i32 s4, s28, s14
	v_mul_f32_e32 v12, 0x3c010204, v12
	s_add_i32 s8, s4, s23
	s_and_saveexec_b64 s[4:5], s[0:1]
	s_cbranch_execz .LBB108_16
; %bb.15:                               ;   in Loop: Header=BB108_10 Depth=1
	s_ashr_i32 s9, s8, 31
	s_lshl_b64 s[28:29], s[8:9], 2
	s_add_u32 s28, s18, s28
	s_addc_u32 s29, s19, s29
	global_store_dword v25, v12, s[28:29]
.LBB108_16:                             ;   in Loop: Header=BB108_10 Depth=1
	s_or_b64 exec, exec, s[4:5]
	s_and_saveexec_b64 s[4:5], s[2:3]
	s_cbranch_execz .LBB108_9
; %bb.17:                               ;   in Loop: Header=BB108_10 Depth=1
	v_rcp_f32_e32 v12, v12
	s_mul_hi_i32 s9, s8, s34
	s_mul_i32 s8, s8, s34
	s_add_u32 s28, s16, s8
	v_mov_b32_e32 v13, v12
	;;#ASMSTART
	v_pk_mul_f32 v[0:1], v[0:1], v[12:13]
	;;#ASMEND
	v_cvt_i32_f32_e32 v14, v0
	v_cvt_i32_f32_sdwa v15, v1 dst_sel:BYTE_1 dst_unused:UNUSED_PAD src0_sel:DWORD
	;;#ASMSTART
	v_pk_mul_f32 v[0:1], v[4:5], v[12:13]
	;;#ASMEND
	v_cvt_i32_f32_e32 v4, v0
	v_cvt_i32_f32_sdwa v5, v1 dst_sel:BYTE_1 dst_unused:UNUSED_PAD src0_sel:DWORD
	;; [unrolled: 5-line block ×4, first 2 shown]
	v_or_b32_sdwa v0, v14, v15 dst_sel:DWORD dst_unused:UNUSED_PAD src0_sel:BYTE_0 src1_sel:DWORD
	v_or_b32_sdwa v4, v4, v5 dst_sel:WORD_1 dst_unused:UNUSED_PAD src0_sel:BYTE_0 src1_sel:DWORD
	s_addc_u32 s8, s17, s9
	v_or_b32_sdwa v0, v0, v4 dst_sel:DWORD dst_unused:UNUSED_PAD src0_sel:WORD_0 src1_sel:DWORD
	v_or_b32_sdwa v4, v6, v7 dst_sel:DWORD dst_unused:UNUSED_PAD src0_sel:BYTE_0 src1_sel:DWORD
	v_or_b32_sdwa v1, v10, v1 dst_sel:WORD_1 dst_unused:UNUSED_PAD src0_sel:BYTE_0 src1_sel:DWORD
	s_and_b32 s29, s8, 0xffff
	s_mov_b32 s31, s7
	v_or_b32_sdwa v1, v4, v1 dst_sel:DWORD dst_unused:UNUSED_PAD src0_sel:WORD_0 src1_sel:DWORD
	buffer_store_dwordx2 v[0:1], v24, s[28:31], 0 offen
	;;#ASMSTART
	s_nop 0
	;;#ASMEND
	s_branch .LBB108_9
.LBB108_18:
	s_endpgm
.LBB108_19:
                                        ; implicit-def: $sgpr2
	s_branch .LBB108_2
	.section	.rodata,"a",@progbits
	.p2align	6, 0x0
	.amdhsa_kernel _ZN5aiter36smooth_per_token_scaled_quant_kernelIDF16_aLi256ELi8ELb0ELb0ELb0ELi1024EEEvPT0_PfPT_S3_PiS6_iiPKiiiiiiiii
		.amdhsa_group_segment_fixed_size 16
		.amdhsa_private_segment_fixed_size 0
		.amdhsa_kernarg_size 96
		.amdhsa_user_sgpr_count 6
		.amdhsa_user_sgpr_private_segment_buffer 1
		.amdhsa_user_sgpr_dispatch_ptr 0
		.amdhsa_user_sgpr_queue_ptr 0
		.amdhsa_user_sgpr_kernarg_segment_ptr 1
		.amdhsa_user_sgpr_dispatch_id 0
		.amdhsa_user_sgpr_flat_scratch_init 0
		.amdhsa_user_sgpr_kernarg_preload_length 0
		.amdhsa_user_sgpr_kernarg_preload_offset 0
		.amdhsa_user_sgpr_private_segment_size 0
		.amdhsa_uses_dynamic_stack 0
		.amdhsa_system_sgpr_private_segment_wavefront_offset 0
		.amdhsa_system_sgpr_workgroup_id_x 1
		.amdhsa_system_sgpr_workgroup_id_y 0
		.amdhsa_system_sgpr_workgroup_id_z 0
		.amdhsa_system_sgpr_workgroup_info 0
		.amdhsa_system_vgpr_workitem_id 0
		.amdhsa_next_free_vgpr 26
		.amdhsa_next_free_sgpr 39
		.amdhsa_accum_offset 28
		.amdhsa_reserve_vcc 1
		.amdhsa_reserve_flat_scratch 0
		.amdhsa_float_round_mode_32 0
		.amdhsa_float_round_mode_16_64 0
		.amdhsa_float_denorm_mode_32 3
		.amdhsa_float_denorm_mode_16_64 3
		.amdhsa_dx10_clamp 1
		.amdhsa_ieee_mode 1
		.amdhsa_fp16_overflow 0
		.amdhsa_tg_split 0
		.amdhsa_exception_fp_ieee_invalid_op 0
		.amdhsa_exception_fp_denorm_src 0
		.amdhsa_exception_fp_ieee_div_zero 0
		.amdhsa_exception_fp_ieee_overflow 0
		.amdhsa_exception_fp_ieee_underflow 0
		.amdhsa_exception_fp_ieee_inexact 0
		.amdhsa_exception_int_div_zero 0
	.end_amdhsa_kernel
	.section	.text._ZN5aiter36smooth_per_token_scaled_quant_kernelIDF16_aLi256ELi8ELb0ELb0ELb0ELi1024EEEvPT0_PfPT_S3_PiS6_iiPKiiiiiiiii,"axG",@progbits,_ZN5aiter36smooth_per_token_scaled_quant_kernelIDF16_aLi256ELi8ELb0ELb0ELb0ELi1024EEEvPT0_PfPT_S3_PiS6_iiPKiiiiiiiii,comdat
.Lfunc_end108:
	.size	_ZN5aiter36smooth_per_token_scaled_quant_kernelIDF16_aLi256ELi8ELb0ELb0ELb0ELi1024EEEvPT0_PfPT_S3_PiS6_iiPKiiiiiiiii, .Lfunc_end108-_ZN5aiter36smooth_per_token_scaled_quant_kernelIDF16_aLi256ELi8ELb0ELb0ELb0ELi1024EEEvPT0_PfPT_S3_PiS6_iiPKiiiiiiiii
                                        ; -- End function
	.section	.AMDGPU.csdata,"",@progbits
; Kernel info:
; codeLenInByte = 1280
; NumSgprs: 43
; NumVgprs: 26
; NumAgprs: 0
; TotalNumVgprs: 26
; ScratchSize: 0
; MemoryBound: 0
; FloatMode: 240
; IeeeMode: 1
; LDSByteSize: 16 bytes/workgroup (compile time only)
; SGPRBlocks: 5
; VGPRBlocks: 3
; NumSGPRsForWavesPerEU: 43
; NumVGPRsForWavesPerEU: 26
; AccumOffset: 28
; Occupancy: 8
; WaveLimiterHint : 0
; COMPUTE_PGM_RSRC2:SCRATCH_EN: 0
; COMPUTE_PGM_RSRC2:USER_SGPR: 6
; COMPUTE_PGM_RSRC2:TRAP_HANDLER: 0
; COMPUTE_PGM_RSRC2:TGID_X_EN: 1
; COMPUTE_PGM_RSRC2:TGID_Y_EN: 0
; COMPUTE_PGM_RSRC2:TGID_Z_EN: 0
; COMPUTE_PGM_RSRC2:TIDIG_COMP_CNT: 0
; COMPUTE_PGM_RSRC3_GFX90A:ACCUM_OFFSET: 6
; COMPUTE_PGM_RSRC3_GFX90A:TG_SPLIT: 0
	.section	.text._ZN5aiter36smooth_per_token_scaled_quant_kernelItaLi256ELi8ELb0ELb0ELb0ELi1024EEEvPT0_PfPT_S3_PiS6_iiPKiiiiiiiii,"axG",@progbits,_ZN5aiter36smooth_per_token_scaled_quant_kernelItaLi256ELi8ELb0ELb0ELb0ELi1024EEEvPT0_PfPT_S3_PiS6_iiPKiiiiiiiii,comdat
	.protected	_ZN5aiter36smooth_per_token_scaled_quant_kernelItaLi256ELi8ELb0ELb0ELb0ELi1024EEEvPT0_PfPT_S3_PiS6_iiPKiiiiiiiii ; -- Begin function _ZN5aiter36smooth_per_token_scaled_quant_kernelItaLi256ELi8ELb0ELb0ELb0ELi1024EEEvPT0_PfPT_S3_PiS6_iiPKiiiiiiiii
	.globl	_ZN5aiter36smooth_per_token_scaled_quant_kernelItaLi256ELi8ELb0ELb0ELb0ELi1024EEEvPT0_PfPT_S3_PiS6_iiPKiiiiiiiii
	.p2align	8
	.type	_ZN5aiter36smooth_per_token_scaled_quant_kernelItaLi256ELi8ELb0ELb0ELb0ELi1024EEEvPT0_PfPT_S3_PiS6_iiPKiiiiiiiii,@function
_ZN5aiter36smooth_per_token_scaled_quant_kernelItaLi256ELi8ELb0ELb0ELb0ELi1024EEEvPT0_PfPT_S3_PiS6_iiPKiiiiiiiii: ; @_ZN5aiter36smooth_per_token_scaled_quant_kernelItaLi256ELi8ELb0ELb0ELb0ELi1024EEEvPT0_PfPT_S3_PiS6_iiPKiiiiiiiii
; %bb.0:
	s_load_dwordx2 s[2:3], s[4:5], 0x38
	s_load_dwordx8 s[8:15], s[4:5], 0x40
	s_mov_b64 s[0:1], 0
	s_waitcnt lgkmcnt(0)
	s_cmp_lg_u64 s[2:3], 0
	s_cbranch_scc0 .LBB109_19
; %bb.1:
	s_load_dword s2, s[2:3], 0x0
	s_waitcnt lgkmcnt(0)
	s_mul_i32 s2, s2, s8
	s_andn2_b64 vcc, exec, s[0:1]
	s_cbranch_vccnz .LBB109_3
.LBB109_2:
	s_mul_i32 s2, s10, s9
.LBB109_3:
	s_load_dwordx2 s[8:9], s[4:5], 0x30
	s_abs_i32 s1, s2
	s_waitcnt lgkmcnt(0)
	s_abs_i32 s0, s8
	v_cvt_f32_u32_e32 v1, s0
	s_sub_i32 s7, 0, s0
	s_xor_b32 s3, s2, s8
	s_ashr_i32 s3, s3, 31
	v_rcp_iflag_f32_e32 v1, v1
	v_mul_f32_e32 v1, 0x4f7ffffe, v1
	v_cvt_u32_f32_e32 v1, v1
	v_readfirstlane_b32 s15, v1
	s_mul_i32 s7, s7, s15
	s_mul_hi_u32 s7, s15, s7
	s_add_i32 s15, s15, s7
	s_mul_hi_u32 s7, s1, s15
	s_mul_i32 s15, s7, s0
	s_sub_i32 s1, s1, s15
	s_add_i32 s16, s7, 1
	s_sub_i32 s15, s1, s0
	s_cmp_ge_u32 s1, s0
	s_cselect_b32 s7, s16, s7
	s_cselect_b32 s1, s15, s1
	s_add_i32 s15, s7, 1
	s_cmp_ge_u32 s1, s0
	s_cselect_b32 s0, s15, s7
	s_xor_b32 s0, s0, s3
	s_sub_i32 s7, s0, s3
	s_mul_i32 s0, s7, s8
	s_sub_i32 s2, s2, s0
	s_cmp_lt_u32 s6, s2
	s_cselect_b64 s[0:1], -1, 0
	s_add_i32 s8, s7, 1
	s_cmp_ge_u32 s6, s2
	s_cbranch_scc0 .LBB109_5
; %bb.4:
	s_mul_i32 s3, s2, s8
	s_sub_i32 s2, s6, s2
	s_mul_i32 s2, s2, s7
	s_add_i32 s15, s2, s3
	s_cbranch_execz .LBB109_6
	s_branch .LBB109_7
.LBB109_5:
                                        ; implicit-def: $sgpr15
.LBB109_6:
	s_mul_i32 s15, s8, s6
.LBB109_7:
	v_cndmask_b32_e64 v1, 0, 1, s[0:1]
	v_readfirstlane_b32 s0, v1
	s_add_i32 s33, s7, s0
	s_cmp_lt_i32 s33, 1
	s_cbranch_scc1 .LBB109_18
; %bb.8:
	v_and_b32_e32 v1, 63, v0
	v_cmp_eq_u32_e32 vcc, 63, v1
	v_lshrrev_b32_e32 v1, 4, v0
	v_and_b32_e32 v22, 60, v1
	v_and_b32_e32 v1, 3, v0
	s_abs_i32 s35, s10
	v_lshlrev_b32_e32 v23, 2, v1
	v_cvt_f32_u32_e32 v1, s35
	s_load_dwordx8 s[16:23], s[4:5], 0x0
	s_add_i32 s4, s9, 3
	s_add_i32 s2, s9, 7
	v_rcp_iflag_f32_e32 v1, v1
	s_ashr_i32 s5, s4, 31
	s_ashr_i32 s3, s2, 31
	s_lshr_b32 s5, s5, 30
	v_mul_f32_e32 v1, 0x4f7ffffe, v1
	v_cvt_u32_f32_e32 v1, v1
	s_lshr_b32 s3, s3, 29
	s_add_i32 s4, s4, s5
	s_add_i32 s2, s2, s3
	s_and_b32 s30, s4, -4
	s_sub_i32 s4, 0, s35
	v_readfirstlane_b32 s5, v1
	s_ashr_i32 s2, s2, 3
	s_mul_i32 s4, s4, s5
	v_lshlrev_b32_e32 v20, 4, v0
	s_mov_b32 s7, 0x20000
	s_waitcnt lgkmcnt(0)
	s_and_b32 s23, s23, 0xffff
	v_lshlrev_b32_e32 v21, 5, v0
	v_cmp_eq_u32_e64 s[0:1], 0, v0
	v_cmp_gt_u32_e64 s[2:3], s2, v0
	v_lshlrev_b32_e32 v24, 3, v0
	s_mul_hi_u32 s4, s5, s4
                                        ; implicit-def: $vgpr0_vgpr1_vgpr2_vgpr3_vgpr4_vgpr5_vgpr6_vgpr7
	s_mov_b32 s34, s9
	s_lshl_b32 s6, s9, 1
	s_lshl_b32 s26, s9, 2
	s_mov_b32 s27, s7
	s_ashr_i32 s36, s10, 31
	s_add_i32 s37, s5, s4
	s_mov_b32 s38, -1
	s_mov_b32 s24, s22
	s_mov_b32 s25, s23
	;; [unrolled: 1-line block ×3, first 2 shown]
	v_mov_b32_e32 v25, 0
                                        ; implicit-def: $vgpr4_vgpr5_vgpr6_vgpr7_vgpr8_vgpr9_vgpr10_vgpr11
                                        ; implicit-def: $vgpr18
                                        ; implicit-def: $vgpr10_vgpr11_vgpr12_vgpr13_vgpr14_vgpr15_vgpr16_vgpr17
	s_branch .LBB109_10
.LBB109_9:                              ;   in Loop: Header=BB109_10 Depth=1
	s_or_b64 exec, exec, s[4:5]
	s_add_i32 s33, s33, -1
	s_add_i32 s15, s15, 1
	s_cmp_eq_u32 s33, 0
	s_cbranch_scc1 .LBB109_18
.LBB109_10:                             ; =>This Inner Loop Header: Depth=1
	s_abs_i32 s5, s15
	s_mul_hi_u32 s8, s5, s37
	s_mul_i32 s9, s8, s35
	s_ashr_i32 s4, s15, 31
	s_sub_i32 s5, s5, s9
	s_xor_b32 s4, s4, s36
	s_add_i32 s9, s8, 1
	s_sub_i32 s23, s5, s35
	s_cmp_ge_u32 s5, s35
	s_cselect_b32 s8, s9, s8
	s_cselect_b32 s5, s23, s5
	s_add_i32 s9, s8, 1
	s_cmp_ge_u32 s5, s35
	s_cselect_b32 s5, s9, s8
	s_xor_b32 s5, s5, s4
	s_sub_i32 s23, s5, s4
	s_mul_i32 s4, s23, s10
	s_sub_i32 s28, s15, s4
	s_mul_i32 s8, s28, s12
	s_mul_i32 s4, s23, s11
	s_add_i32 s8, s8, s4
	s_cmp_eq_u32 s8, s38
	s_cbranch_scc1 .LBB109_12
; %bb.11:                               ;   in Loop: Header=BB109_10 Depth=1
	s_mul_hi_i32 s5, s8, s34
	s_mul_i32 s4, s8, s34
	s_lshl_b64 s[4:5], s[4:5], 1
	s_add_u32 s4, s20, s4
	s_addc_u32 s5, s21, s5
	s_and_b32 s5, s5, 0xffff
	buffer_load_dwordx4 v[4:7], v20, s[4:7], 0 offen
	s_mov_b32 s38, s8
	s_waitcnt vmcnt(0)
	v_cvt_f32_u32_sdwa v19, v4 dst_sel:DWORD dst_unused:UNUSED_PAD src0_sel:WORD_1
	v_cvt_f32_u32_sdwa v18, v4 dst_sel:DWORD dst_unused:UNUSED_PAD src0_sel:WORD_0
	v_cvt_f32_u32_sdwa v3, v5 dst_sel:DWORD dst_unused:UNUSED_PAD src0_sel:WORD_1
	v_cvt_f32_u32_sdwa v2, v5 dst_sel:DWORD dst_unused:UNUSED_PAD src0_sel:WORD_0
	;; [unrolled: 2-line block ×4, first 2 shown]
.LBB109_12:                             ;   in Loop: Header=BB109_10 Depth=1
	buffer_load_dwordx4 v[4:7], v21, s[24:27], 0 offen
	buffer_load_dwordx4 v[10:13], v21, s[24:27], 16 offen
	s_waitcnt vmcnt(1)
	v_pk_mul_f32 v[0:1], v[18:19], v[4:5]
	v_pk_mul_f32 v[4:5], v[2:3], v[6:7]
	s_waitcnt vmcnt(0)
	v_pk_mul_f32 v[6:7], v[8:9], v[10:11]
	v_pk_mul_f32 v[10:11], v[16:17], v[12:13]
	v_max3_f32 v12, |v0|, s22, |v1|
	v_max3_f32 v12, v12, |v4|, |v5|
	v_max3_f32 v12, v12, |v6|, |v7|
	;; [unrolled: 1-line block ×3, first 2 shown]
	s_nop 1
	v_mov_b32_dpp v13, v12 quad_perm:[1,0,3,2] row_mask:0xf bank_mask:0xf
	v_cmp_gt_f32_e64 s[4:5], v12, v13
	v_cndmask_b32_e64 v12, v13, v12, s[4:5]
	s_nop 1
	v_mov_b32_dpp v13, v12 quad_perm:[2,3,0,1] row_mask:0xf bank_mask:0xf
	v_cmp_gt_f32_e64 s[4:5], v12, v13
	v_cndmask_b32_e64 v12, v13, v12, s[4:5]
	s_nop 1
	v_mov_b32_dpp v13, v12 row_half_mirror row_mask:0xf bank_mask:0xf
	v_cmp_gt_f32_e64 s[4:5], v12, v13
	v_cndmask_b32_e64 v12, v13, v12, s[4:5]
	s_nop 1
	v_mov_b32_dpp v13, v12 row_mirror row_mask:0xf bank_mask:0xf
	v_cmp_gt_f32_e64 s[4:5], v12, v13
	v_cndmask_b32_e64 v12, v13, v12, s[4:5]
	s_nop 1
	v_mov_b32_dpp v13, v12 row_bcast:15 row_mask:0xf bank_mask:0xf
	v_cmp_gt_f32_e64 s[4:5], v12, v13
	v_cndmask_b32_e64 v12, v13, v12, s[4:5]
	s_nop 1
	v_mov_b32_dpp v13, v12 row_bcast:31 row_mask:0xf bank_mask:0xf
	s_and_saveexec_b64 s[8:9], vcc
	s_cbranch_execz .LBB109_14
; %bb.13:                               ;   in Loop: Header=BB109_10 Depth=1
	v_cmp_gt_f32_e64 s[4:5], v12, v13
	v_cndmask_b32_e64 v12, v13, v12, s[4:5]
	ds_write_b32 v22, v12
.LBB109_14:                             ;   in Loop: Header=BB109_10 Depth=1
	s_or_b64 exec, exec, s[8:9]
	s_waitcnt lgkmcnt(0)
	s_barrier
	ds_read_b32 v12, v23
	s_mul_i32 s23, s23, s13
	s_waitcnt lgkmcnt(0)
	v_mov_b32_dpp v13, v12 quad_perm:[1,0,3,2] row_mask:0xf bank_mask:0xf
	v_cmp_gt_f32_e64 s[4:5], v12, v13
	v_cndmask_b32_e64 v12, v13, v12, s[4:5]
	s_nop 1
	v_mov_b32_dpp v13, v12 quad_perm:[2,3,0,1] row_mask:0xf bank_mask:0xf
	v_cmp_gt_f32_e64 s[4:5], v12, v13
	v_cndmask_b32_e64 v12, v13, v12, s[4:5]
	s_mul_i32 s4, s28, s14
	v_mul_f32_e32 v12, 0x3c010204, v12
	s_add_i32 s8, s4, s23
	s_and_saveexec_b64 s[4:5], s[0:1]
	s_cbranch_execz .LBB109_16
; %bb.15:                               ;   in Loop: Header=BB109_10 Depth=1
	s_ashr_i32 s9, s8, 31
	s_lshl_b64 s[28:29], s[8:9], 2
	s_add_u32 s28, s18, s28
	s_addc_u32 s29, s19, s29
	global_store_dword v25, v12, s[28:29]
.LBB109_16:                             ;   in Loop: Header=BB109_10 Depth=1
	s_or_b64 exec, exec, s[4:5]
	s_and_saveexec_b64 s[4:5], s[2:3]
	s_cbranch_execz .LBB109_9
; %bb.17:                               ;   in Loop: Header=BB109_10 Depth=1
	v_rcp_f32_e32 v12, v12
	s_mul_hi_i32 s9, s8, s34
	s_mul_i32 s8, s8, s34
	s_add_u32 s28, s16, s8
	v_mov_b32_e32 v13, v12
	;;#ASMSTART
	v_pk_mul_f32 v[0:1], v[0:1], v[12:13]
	;;#ASMEND
	v_cvt_i32_f32_e32 v14, v0
	v_cvt_i32_f32_sdwa v15, v1 dst_sel:BYTE_1 dst_unused:UNUSED_PAD src0_sel:DWORD
	;;#ASMSTART
	v_pk_mul_f32 v[0:1], v[4:5], v[12:13]
	;;#ASMEND
	v_cvt_i32_f32_e32 v4, v0
	v_cvt_i32_f32_sdwa v5, v1 dst_sel:BYTE_1 dst_unused:UNUSED_PAD src0_sel:DWORD
	;; [unrolled: 5-line block ×4, first 2 shown]
	v_or_b32_sdwa v0, v14, v15 dst_sel:DWORD dst_unused:UNUSED_PAD src0_sel:BYTE_0 src1_sel:DWORD
	v_or_b32_sdwa v4, v4, v5 dst_sel:WORD_1 dst_unused:UNUSED_PAD src0_sel:BYTE_0 src1_sel:DWORD
	s_addc_u32 s8, s17, s9
	v_or_b32_sdwa v0, v0, v4 dst_sel:DWORD dst_unused:UNUSED_PAD src0_sel:WORD_0 src1_sel:DWORD
	v_or_b32_sdwa v4, v6, v7 dst_sel:DWORD dst_unused:UNUSED_PAD src0_sel:BYTE_0 src1_sel:DWORD
	v_or_b32_sdwa v1, v10, v1 dst_sel:WORD_1 dst_unused:UNUSED_PAD src0_sel:BYTE_0 src1_sel:DWORD
	s_and_b32 s29, s8, 0xffff
	s_mov_b32 s31, s7
	v_or_b32_sdwa v1, v4, v1 dst_sel:DWORD dst_unused:UNUSED_PAD src0_sel:WORD_0 src1_sel:DWORD
	buffer_store_dwordx2 v[0:1], v24, s[28:31], 0 offen
	;;#ASMSTART
	s_nop 0
	;;#ASMEND
	s_branch .LBB109_9
.LBB109_18:
	s_endpgm
.LBB109_19:
                                        ; implicit-def: $sgpr2
	s_branch .LBB109_2
	.section	.rodata,"a",@progbits
	.p2align	6, 0x0
	.amdhsa_kernel _ZN5aiter36smooth_per_token_scaled_quant_kernelItaLi256ELi8ELb0ELb0ELb0ELi1024EEEvPT0_PfPT_S3_PiS6_iiPKiiiiiiiii
		.amdhsa_group_segment_fixed_size 16
		.amdhsa_private_segment_fixed_size 0
		.amdhsa_kernarg_size 96
		.amdhsa_user_sgpr_count 6
		.amdhsa_user_sgpr_private_segment_buffer 1
		.amdhsa_user_sgpr_dispatch_ptr 0
		.amdhsa_user_sgpr_queue_ptr 0
		.amdhsa_user_sgpr_kernarg_segment_ptr 1
		.amdhsa_user_sgpr_dispatch_id 0
		.amdhsa_user_sgpr_flat_scratch_init 0
		.amdhsa_user_sgpr_kernarg_preload_length 0
		.amdhsa_user_sgpr_kernarg_preload_offset 0
		.amdhsa_user_sgpr_private_segment_size 0
		.amdhsa_uses_dynamic_stack 0
		.amdhsa_system_sgpr_private_segment_wavefront_offset 0
		.amdhsa_system_sgpr_workgroup_id_x 1
		.amdhsa_system_sgpr_workgroup_id_y 0
		.amdhsa_system_sgpr_workgroup_id_z 0
		.amdhsa_system_sgpr_workgroup_info 0
		.amdhsa_system_vgpr_workitem_id 0
		.amdhsa_next_free_vgpr 26
		.amdhsa_next_free_sgpr 39
		.amdhsa_accum_offset 28
		.amdhsa_reserve_vcc 1
		.amdhsa_reserve_flat_scratch 0
		.amdhsa_float_round_mode_32 0
		.amdhsa_float_round_mode_16_64 0
		.amdhsa_float_denorm_mode_32 3
		.amdhsa_float_denorm_mode_16_64 3
		.amdhsa_dx10_clamp 1
		.amdhsa_ieee_mode 1
		.amdhsa_fp16_overflow 0
		.amdhsa_tg_split 0
		.amdhsa_exception_fp_ieee_invalid_op 0
		.amdhsa_exception_fp_denorm_src 0
		.amdhsa_exception_fp_ieee_div_zero 0
		.amdhsa_exception_fp_ieee_overflow 0
		.amdhsa_exception_fp_ieee_underflow 0
		.amdhsa_exception_fp_ieee_inexact 0
		.amdhsa_exception_int_div_zero 0
	.end_amdhsa_kernel
	.section	.text._ZN5aiter36smooth_per_token_scaled_quant_kernelItaLi256ELi8ELb0ELb0ELb0ELi1024EEEvPT0_PfPT_S3_PiS6_iiPKiiiiiiiii,"axG",@progbits,_ZN5aiter36smooth_per_token_scaled_quant_kernelItaLi256ELi8ELb0ELb0ELb0ELi1024EEEvPT0_PfPT_S3_PiS6_iiPKiiiiiiiii,comdat
.Lfunc_end109:
	.size	_ZN5aiter36smooth_per_token_scaled_quant_kernelItaLi256ELi8ELb0ELb0ELb0ELi1024EEEvPT0_PfPT_S3_PiS6_iiPKiiiiiiiii, .Lfunc_end109-_ZN5aiter36smooth_per_token_scaled_quant_kernelItaLi256ELi8ELb0ELb0ELb0ELi1024EEEvPT0_PfPT_S3_PiS6_iiPKiiiiiiiii
                                        ; -- End function
	.section	.AMDGPU.csdata,"",@progbits
; Kernel info:
; codeLenInByte = 1296
; NumSgprs: 43
; NumVgprs: 26
; NumAgprs: 0
; TotalNumVgprs: 26
; ScratchSize: 0
; MemoryBound: 0
; FloatMode: 240
; IeeeMode: 1
; LDSByteSize: 16 bytes/workgroup (compile time only)
; SGPRBlocks: 5
; VGPRBlocks: 3
; NumSGPRsForWavesPerEU: 43
; NumVGPRsForWavesPerEU: 26
; AccumOffset: 28
; Occupancy: 8
; WaveLimiterHint : 0
; COMPUTE_PGM_RSRC2:SCRATCH_EN: 0
; COMPUTE_PGM_RSRC2:USER_SGPR: 6
; COMPUTE_PGM_RSRC2:TRAP_HANDLER: 0
; COMPUTE_PGM_RSRC2:TGID_X_EN: 1
; COMPUTE_PGM_RSRC2:TGID_Y_EN: 0
; COMPUTE_PGM_RSRC2:TGID_Z_EN: 0
; COMPUTE_PGM_RSRC2:TIDIG_COMP_CNT: 0
; COMPUTE_PGM_RSRC3_GFX90A:ACCUM_OFFSET: 6
; COMPUTE_PGM_RSRC3_GFX90A:TG_SPLIT: 0
	.section	.text._ZN5aiter36smooth_per_token_scaled_quant_kernelIDF16_aLi256ELi16ELb1ELb1ELb1ELi1024EEEvPT0_PfPT_S3_PiS6_iiPKiiiiiiiii,"axG",@progbits,_ZN5aiter36smooth_per_token_scaled_quant_kernelIDF16_aLi256ELi16ELb1ELb1ELb1ELi1024EEEvPT0_PfPT_S3_PiS6_iiPKiiiiiiiii,comdat
	.protected	_ZN5aiter36smooth_per_token_scaled_quant_kernelIDF16_aLi256ELi16ELb1ELb1ELb1ELi1024EEEvPT0_PfPT_S3_PiS6_iiPKiiiiiiiii ; -- Begin function _ZN5aiter36smooth_per_token_scaled_quant_kernelIDF16_aLi256ELi16ELb1ELb1ELb1ELi1024EEEvPT0_PfPT_S3_PiS6_iiPKiiiiiiiii
	.globl	_ZN5aiter36smooth_per_token_scaled_quant_kernelIDF16_aLi256ELi16ELb1ELb1ELb1ELi1024EEEvPT0_PfPT_S3_PiS6_iiPKiiiiiiiii
	.p2align	8
	.type	_ZN5aiter36smooth_per_token_scaled_quant_kernelIDF16_aLi256ELi16ELb1ELb1ELb1ELi1024EEEvPT0_PfPT_S3_PiS6_iiPKiiiiiiiii,@function
_ZN5aiter36smooth_per_token_scaled_quant_kernelIDF16_aLi256ELi16ELb1ELb1ELb1ELi1024EEEvPT0_PfPT_S3_PiS6_iiPKiiiiiiiii: ; @_ZN5aiter36smooth_per_token_scaled_quant_kernelIDF16_aLi256ELi16ELb1ELb1ELb1ELi1024EEEvPT0_PfPT_S3_PiS6_iiPKiiiiiiiii
; %bb.0:
	s_load_dwordx2 s[16:17], s[4:5], 0x38
	s_load_dwordx2 s[0:1], s[4:5], 0x28
	s_load_dwordx8 s[8:15], s[4:5], 0x40
	s_mov_b64 s[2:3], 0
	s_waitcnt lgkmcnt(0)
	s_cmp_lg_u64 s[16:17], 0
	s_cbranch_scc0 .LBB110_11
; %bb.1:
	s_load_dword s7, s[16:17], 0x0
	s_waitcnt lgkmcnt(0)
	s_mul_i32 s7, s7, s8
	s_andn2_b64 vcc, exec, s[2:3]
	s_cbranch_vccnz .LBB110_3
.LBB110_2:
	s_mul_i32 s7, s10, s9
.LBB110_3:
	s_load_dwordx2 s[34:35], s[4:5], 0x30
	v_and_b32_e32 v1, 0x3c0, v0
	v_lshlrev_b32_e32 v1, 2, v1
	v_lshlrev_b32_e32 v2, 2, v0
	v_readfirstlane_b32 s8, v1
	v_add_u32_e32 v3, 0x400, v1
	s_lshl_b32 s2, s15, 2
	s_and_b32 s1, s1, 0xffff
	s_mov_b32 s3, 0x20000
	;;#ASMSTART
	s_mov_b32 m0 s8
	buffer_load_dword v2, s[0:3], 0 offen offset:0 lds
	
	;;#ASMEND
	v_readfirstlane_b32 s8, v3
	v_add_u32_e32 v3, 0x400, v2
	;;#ASMSTART
	s_mov_b32 m0 s8
	buffer_load_dword v3, s[0:3], 0 offen offset:0 lds
	
	;;#ASMEND
	v_add_u32_e32 v3, 0x800, v1
	s_waitcnt lgkmcnt(0)
	s_abs_i32 s15, s34
	v_readfirstlane_b32 s8, v3
	v_cvt_f32_u32_e32 v3, s15
	v_add_u32_e32 v1, 0xc00, v1
	v_add_u32_e32 v4, 0x800, v2
	v_readfirstlane_b32 s18, v1
	v_rcp_iflag_f32_e32 v3, v3
	v_add_u32_e32 v1, 0xc00, v2
	s_sub_i32 s17, 0, s15
	s_abs_i32 s16, s7
	v_mul_f32_e32 v2, 0x4f7ffffe, v3
	v_cvt_u32_f32_e32 v2, v2
	;;#ASMSTART
	s_mov_b32 m0 s8
	buffer_load_dword v4, s[0:3], 0 offen offset:0 lds
	
	;;#ASMEND
	s_xor_b32 s8, s7, s34
	s_ashr_i32 s8, s8, 31
	v_readfirstlane_b32 s19, v2
	s_mul_i32 s17, s17, s19
	s_mul_hi_u32 s17, s19, s17
	s_add_i32 s19, s19, s17
	s_mul_hi_u32 s17, s16, s19
	s_mul_i32 s19, s17, s15
	s_sub_i32 s16, s16, s19
	s_add_i32 s19, s17, 1
	s_sub_i32 s20, s16, s15
	s_cmp_ge_u32 s16, s15
	s_cselect_b32 s17, s19, s17
	s_cselect_b32 s16, s20, s16
	s_add_i32 s19, s17, 1
	s_cmp_ge_u32 s16, s15
	s_cselect_b32 s15, s19, s17
	s_xor_b32 s15, s15, s8
	s_sub_i32 s8, s15, s8
	s_mul_i32 s15, s8, s34
	s_sub_i32 s15, s7, s15
	s_cmp_lt_u32 s6, s15
	;;#ASMSTART
	s_mov_b32 m0 s18
	buffer_load_dword v1, s[0:3], 0 offen offset:0 lds
	
	;;#ASMEND
	s_cselect_b64 s[16:17], -1, 0
	s_add_i32 s7, s8, 1
	s_cmp_ge_u32 s6, s15
	s_cbranch_scc0 .LBB110_5
; %bb.4:
	s_sub_i32 s1, s6, s15
	s_mul_i32 s0, s15, s7
	s_mul_i32 s1, s1, s8
	s_add_i32 s40, s1, s0
	s_cbranch_execz .LBB110_6
	s_branch .LBB110_7
.LBB110_5:
                                        ; implicit-def: $sgpr40
.LBB110_6:
	s_mul_i32 s40, s7, s6
.LBB110_7:
	v_cndmask_b32_e64 v1, 0, 1, s[16:17]
	v_readfirstlane_b32 s0, v1
	s_add_i32 s8, s8, s0
	s_cmp_lt_i32 s8, 1
	s_cbranch_scc1 .LBB110_35
; %bb.8:
	s_load_dwordx2 s[0:1], s[4:5], 0x20
	s_ashr_i32 s41, s40, 31
	s_lshl_b64 s[2:3], s[40:41], 2
	v_and_b32_e32 v1, 63, v0
	s_mov_b32 s27, 0x20000
	s_waitcnt lgkmcnt(0)
	s_add_u32 s24, s0, s2
	s_addc_u32 s0, s1, s3
	s_lshl_b32 s26, s8, 2
	s_and_b32 s25, s0, 0xffff
	v_lshlrev_b32_e32 v38, 2, v1
	buffer_load_dword v2, v38, s[24:27], 0 offen
	s_abs_i32 s34, s10
	v_cmp_eq_u32_e64 s[0:1], 63, v1
	v_cvt_f32_u32_e32 v1, s34
	s_add_i32 s2, s35, 15
	s_load_dwordx8 s[16:23], s[4:5], 0x0
	s_ashr_i32 s4, s2, 31
	v_rcp_iflag_f32_e32 v1, v1
	s_waitcnt vmcnt(0) lgkmcnt(0)
	s_barrier
	v_mul_f32_e32 v1, 0x4f7ffffe, v1
	v_cvt_u32_f32_e32 v1, v1
	s_add_i32 s3, s35, 3
	s_lshr_b32 s4, s4, 28
	s_ashr_i32 s5, s3, 31
	s_add_i32 s2, s2, s4
	s_sub_i32 s4, 0, s34
	v_readfirstlane_b32 s42, v1
	s_lshr_b32 s5, s5, 30
	s_mul_i32 s4, s4, s42
	s_add_i32 s3, s3, s5
	s_mul_hi_u32 s4, s42, s4
	v_lshrrev_b32_e32 v3, 4, v0
	v_mov_b32_e32 v4, 0x1000
	v_and_b32_e32 v5, 3, v0
	s_lshl_b32 s6, s35, 1
	s_lshl_b32 s30, s35, 2
	s_ashr_i32 s33, s10, 31
	s_ashr_i32 s2, s2, 4
	s_and_b32 s38, s3, -4
	s_add_i32 s42, s42, s4
	s_mov_b32 s15, s35
	v_lshlrev_b32_e32 v32, 5, v0
	v_lshlrev_b32_e32 v33, 6, v0
	v_cmp_eq_u32_e32 vcc, 0, v0
	v_and_or_b32 v34, v3, 60, v4
	v_lshl_or_b32 v35, v5, 2, v4
	v_cmp_gt_u32_e64 s[2:3], s2, v0
	v_lshlrev_b32_e32 v36, 4, v0
	v_lshlrev_b32_e32 v2, 2, v2
	ds_read_b32 v37, v2
	s_waitcnt lgkmcnt(0)
	v_readlane_b32 s28, v37, 0
	s_cmp_lt_i32 s28, 0
	s_cbranch_scc1 .LBB110_12
; %bb.9:
	s_abs_i32 s27, s40
	s_mul_hi_u32 s4, s27, s42
	s_mul_i32 s7, s4, s34
	s_sub_i32 s7, s27, s7
	s_xor_b32 s5, s41, s33
	s_add_i32 s29, s4, 1
	s_sub_i32 s31, s7, s34
	s_cmp_ge_u32 s7, s34
	s_cselect_b32 s4, s29, s4
	s_cselect_b32 s7, s31, s7
	s_add_i32 s29, s4, 1
	s_cmp_ge_u32 s7, s34
	s_cselect_b32 s4, s29, s4
	s_xor_b32 s4, s4, s5
	s_sub_i32 s4, s4, s5
	s_mul_i32 s5, s4, s10
	s_sub_i32 s5, s40, s5
	s_mul_i32 s5, s5, s12
	s_mul_i32 s4, s4, s11
	s_add_i32 s43, s5, s4
	s_cmp_eq_u32 s43, -1
	s_cbranch_scc1 .LBB110_13
; %bb.10:
	s_mul_hi_i32 s5, s43, s15
	s_mul_i32 s4, s43, s15
	s_lshl_b64 s[4:5], s[4:5], 1
	s_add_u32 s4, s20, s4
	s_addc_u32 s5, s21, s5
	s_and_b32 s5, s5, 0xffff
	s_mov_b32 s7, 0x20000
	buffer_load_dwordx4 v[4:7], v32, s[4:7], 0 offen
	buffer_load_dwordx4 v[12:15], v32, s[4:7], 16 offen
	s_waitcnt vmcnt(1)
	v_cvt_f32_f16_e32 v0, v4
	v_cvt_f32_f16_sdwa v1, v4 dst_sel:DWORD dst_unused:UNUSED_PAD src0_sel:WORD_1
	v_cvt_f32_f16_e32 v2, v5
	v_cvt_f32_f16_sdwa v3, v5 dst_sel:DWORD dst_unused:UNUSED_PAD src0_sel:WORD_1
	;; [unrolled: 2-line block ×4, first 2 shown]
	s_waitcnt vmcnt(0)
	v_cvt_f32_f16_e32 v8, v12
	v_cvt_f32_f16_sdwa v9, v12 dst_sel:DWORD dst_unused:UNUSED_PAD src0_sel:WORD_1
	v_cvt_f32_f16_e32 v10, v13
	v_cvt_f32_f16_sdwa v11, v13 dst_sel:DWORD dst_unused:UNUSED_PAD src0_sel:WORD_1
	;; [unrolled: 2-line block ×4, first 2 shown]
	s_branch .LBB110_14
.LBB110_11:
                                        ; implicit-def: $sgpr7
	s_branch .LBB110_2
.LBB110_12:
	s_mov_b32 s43, -1
                                        ; implicit-def: $vgpr0_vgpr1_vgpr2_vgpr3_vgpr4_vgpr5_vgpr6_vgpr7_vgpr8_vgpr9_vgpr10_vgpr11_vgpr12_vgpr13_vgpr14_vgpr15
	s_cmp_eq_u32 s8, 1
	s_mov_b32 s41, 1
	s_cbranch_scc0 .LBB110_21
	s_branch .LBB110_35
.LBB110_13:
                                        ; implicit-def: $vgpr0_vgpr1_vgpr2_vgpr3_vgpr4_vgpr5_vgpr6_vgpr7_vgpr8_vgpr9_vgpr10_vgpr11_vgpr12_vgpr13_vgpr14_vgpr15
.LBB110_14:
	s_mul_i32 s4, s28, s35
	s_ashr_i32 s5, s4, 31
	s_lshl_b64 s[4:5], s[4:5], 2
	s_add_u32 s28, s22, s4
	s_addc_u32 s4, s23, s5
	s_and_b32 s29, s4, 0xffff
	s_mov_b32 s31, 0x20000
	buffer_load_dwordx4 v[16:19], v33, s[28:31], 0 offen
	buffer_load_dwordx4 v[20:23], v33, s[28:31], 16 offen
	;; [unrolled: 1-line block ×4, first 2 shown]
	s_mov_b32 s4, 0x2edbe6ff
	s_waitcnt vmcnt(3)
	v_pk_mul_f32 v[16:17], v[0:1], v[16:17]
	v_pk_mul_f32 v[18:19], v[2:3], v[18:19]
	v_max3_f32 v39, |v16|, s4, |v17|
	s_waitcnt vmcnt(2)
	v_pk_mul_f32 v[20:21], v[4:5], v[20:21]
	v_max3_f32 v39, v39, |v18|, |v19|
	v_pk_mul_f32 v[22:23], v[6:7], v[22:23]
	v_max3_f32 v39, v39, |v20|, |v21|
	s_waitcnt vmcnt(1)
	v_pk_mul_f32 v[24:25], v[8:9], v[24:25]
	v_max3_f32 v39, v39, |v22|, |v23|
	v_pk_mul_f32 v[26:27], v[10:11], v[26:27]
	v_max3_f32 v39, v39, |v24|, |v25|
	;; [unrolled: 5-line block ×3, first 2 shown]
	v_max3_f32 v39, v39, |v30|, |v31|
	s_nop 1
	v_mov_b32_dpp v40, v39 quad_perm:[1,0,3,2] row_mask:0xf bank_mask:0xf
	v_cmp_gt_f32_e64 s[4:5], v39, v40
	v_cndmask_b32_e64 v39, v40, v39, s[4:5]
	s_nop 1
	v_mov_b32_dpp v40, v39 quad_perm:[2,3,0,1] row_mask:0xf bank_mask:0xf
	v_cmp_gt_f32_e64 s[4:5], v39, v40
	v_cndmask_b32_e64 v39, v40, v39, s[4:5]
	s_nop 1
	v_mov_b32_dpp v40, v39 row_half_mirror row_mask:0xf bank_mask:0xf
	v_cmp_gt_f32_e64 s[4:5], v39, v40
	v_cndmask_b32_e64 v39, v40, v39, s[4:5]
	s_nop 1
	v_mov_b32_dpp v40, v39 row_mirror row_mask:0xf bank_mask:0xf
	v_cmp_gt_f32_e64 s[4:5], v39, v40
	v_cndmask_b32_e64 v39, v40, v39, s[4:5]
	s_nop 1
	v_mov_b32_dpp v40, v39 row_bcast:15 row_mask:0xf bank_mask:0xf
	v_cmp_gt_f32_e64 s[4:5], v39, v40
	v_cndmask_b32_e64 v39, v40, v39, s[4:5]
	s_nop 1
	v_mov_b32_dpp v40, v39 row_bcast:31 row_mask:0xf bank_mask:0xf
	s_and_saveexec_b64 s[28:29], s[0:1]
	s_cbranch_execz .LBB110_16
; %bb.15:
	v_cmp_gt_f32_e64 s[4:5], v39, v40
	v_cndmask_b32_e64 v39, v40, v39, s[4:5]
	ds_write_b32 v34, v39
.LBB110_16:
	s_or_b64 exec, exec, s[28:29]
	s_waitcnt lgkmcnt(0)
	s_barrier
	ds_read_b32 v39, v35
	s_abs_i32 s7, s9
	v_cvt_f32_u32_e32 v41, s7
	s_waitcnt lgkmcnt(0)
	v_mov_b32_dpp v40, v39 quad_perm:[1,0,3,2] row_mask:0xf bank_mask:0xf
	v_cmp_gt_f32_e64 s[4:5], v39, v40
	v_rcp_iflag_f32_e32 v41, v41
	v_cndmask_b32_e64 v39, v40, v39, s[4:5]
	s_nop 1
	v_mov_b32_dpp v40, v39 quad_perm:[2,3,0,1] row_mask:0xf bank_mask:0xf
	v_cmp_gt_f32_e64 s[4:5], v39, v40
	v_cndmask_b32_e64 v39, v40, v39, s[4:5]
	v_mul_f32_e32 v40, 0x4f7ffffe, v41
	v_cvt_u32_f32_e32 v40, v40
	s_sub_i32 s5, 0, s7
	s_ashr_i32 s4, s9, 31
	s_xor_b32 s4, s41, s4
	v_readfirstlane_b32 s28, v40
	s_mul_i32 s5, s5, s28
	s_mul_hi_u32 s5, s28, s5
	s_add_i32 s28, s28, s5
	s_mul_hi_u32 s5, s27, s28
	s_mul_i32 s28, s5, s7
	s_sub_i32 s27, s27, s28
	s_add_i32 s28, s5, 1
	s_sub_i32 s29, s27, s7
	s_cmp_ge_u32 s27, s7
	s_cselect_b32 s5, s28, s5
	s_cselect_b32 s27, s29, s27
	s_add_i32 s28, s5, 1
	s_cmp_ge_u32 s27, s7
	s_cselect_b32 s5, s28, s5
	s_xor_b32 s5, s5, s4
	s_sub_i32 s4, s5, s4
	s_mul_i32 s5, s4, s9
	s_sub_i32 s5, s40, s5
	s_mul_i32 s5, s5, s14
	s_mul_i32 s4, s4, s13
	v_mul_f32_e32 v39, 0x3c010204, v39
	s_add_i32 s28, s5, s4
	s_and_saveexec_b64 s[4:5], vcc
	s_cbranch_execz .LBB110_18
; %bb.17:
	s_ashr_i32 s29, s28, 31
	s_lshl_b64 s[36:37], s[28:29], 2
	s_add_u32 s36, s18, s36
	s_addc_u32 s37, s19, s37
	v_mov_b32_e32 v40, 0
	global_store_dword v40, v39, s[36:37]
.LBB110_18:
	s_or_b64 exec, exec, s[4:5]
	s_and_saveexec_b64 s[4:5], s[2:3]
	s_cbranch_execz .LBB110_20
; %bb.19:
	v_rcp_f32_e32 v40, v39
	s_mul_i32 s27, s28, s15
	s_mul_hi_i32 s7, s28, s15
	s_add_u32 s36, s16, s27
	v_mov_b32_e32 v41, v40
	;;#ASMSTART
	v_pk_mul_f32 v[16:17], v[16:17], v[40:41]
	;;#ASMEND
	v_cvt_i32_f32_e32 v39, v16
	v_cvt_i32_f32_sdwa v42, v17 dst_sel:BYTE_1 dst_unused:UNUSED_PAD src0_sel:DWORD
	;;#ASMSTART
	v_pk_mul_f32 v[16:17], v[18:19], v[40:41]
	;;#ASMEND
	v_cvt_i32_f32_e32 v18, v16
	v_cvt_i32_f32_sdwa v19, v17 dst_sel:BYTE_1 dst_unused:UNUSED_PAD src0_sel:DWORD
	;;#ASMSTART
	v_pk_mul_f32 v[16:17], v[20:21], v[40:41]
	;;#ASMEND
	v_cvt_i32_f32_e32 v20, v16
	v_cvt_i32_f32_sdwa v21, v17 dst_sel:BYTE_1 dst_unused:UNUSED_PAD src0_sel:DWORD
	;;#ASMSTART
	v_pk_mul_f32 v[16:17], v[22:23], v[40:41]
	;;#ASMEND
	v_cvt_i32_f32_e32 v22, v16
	v_cvt_i32_f32_sdwa v23, v17 dst_sel:BYTE_1 dst_unused:UNUSED_PAD src0_sel:DWORD
	;;#ASMSTART
	v_pk_mul_f32 v[16:17], v[24:25], v[40:41]
	;;#ASMEND
	v_cvt_i32_f32_e32 v24, v16
	v_cvt_i32_f32_sdwa v25, v17 dst_sel:BYTE_1 dst_unused:UNUSED_PAD src0_sel:DWORD
	;;#ASMSTART
	v_pk_mul_f32 v[16:17], v[26:27], v[40:41]
	;;#ASMEND
	v_cvt_i32_f32_e32 v26, v16
	v_cvt_i32_f32_sdwa v27, v17 dst_sel:BYTE_1 dst_unused:UNUSED_PAD src0_sel:DWORD
	;;#ASMSTART
	v_pk_mul_f32 v[16:17], v[28:29], v[40:41]
	;;#ASMEND
	v_cvt_i32_f32_e32 v28, v16
	v_cvt_i32_f32_sdwa v29, v17 dst_sel:BYTE_1 dst_unused:UNUSED_PAD src0_sel:DWORD
	;;#ASMSTART
	v_pk_mul_f32 v[16:17], v[30:31], v[40:41]
	;;#ASMEND
	v_cvt_i32_f32_e32 v30, v16
	v_cvt_i32_f32_sdwa v31, v17 dst_sel:BYTE_1 dst_unused:UNUSED_PAD src0_sel:DWORD
	v_or_b32_sdwa v16, v39, v42 dst_sel:DWORD dst_unused:UNUSED_PAD src0_sel:BYTE_0 src1_sel:DWORD
	v_or_b32_sdwa v17, v18, v19 dst_sel:WORD_1 dst_unused:UNUSED_PAD src0_sel:BYTE_0 src1_sel:DWORD
	v_or_b32_sdwa v16, v16, v17 dst_sel:DWORD dst_unused:UNUSED_PAD src0_sel:WORD_0 src1_sel:DWORD
	v_or_b32_sdwa v17, v20, v21 dst_sel:DWORD dst_unused:UNUSED_PAD src0_sel:BYTE_0 src1_sel:DWORD
	v_or_b32_sdwa v18, v22, v23 dst_sel:WORD_1 dst_unused:UNUSED_PAD src0_sel:BYTE_0 src1_sel:DWORD
	v_or_b32_sdwa v17, v17, v18 dst_sel:DWORD dst_unused:UNUSED_PAD src0_sel:WORD_0 src1_sel:DWORD
	v_or_b32_sdwa v18, v24, v25 dst_sel:DWORD dst_unused:UNUSED_PAD src0_sel:BYTE_0 src1_sel:DWORD
	v_or_b32_sdwa v19, v26, v27 dst_sel:WORD_1 dst_unused:UNUSED_PAD src0_sel:BYTE_0 src1_sel:DWORD
	s_addc_u32 s7, s17, s7
	v_or_b32_sdwa v18, v18, v19 dst_sel:DWORD dst_unused:UNUSED_PAD src0_sel:WORD_0 src1_sel:DWORD
	v_or_b32_sdwa v19, v28, v29 dst_sel:DWORD dst_unused:UNUSED_PAD src0_sel:BYTE_0 src1_sel:DWORD
	v_or_b32_sdwa v20, v30, v31 dst_sel:WORD_1 dst_unused:UNUSED_PAD src0_sel:BYTE_0 src1_sel:DWORD
	s_and_b32 s37, s7, 0xffff
	s_mov_b32 s39, 0x20000
	v_or_b32_sdwa v19, v19, v20 dst_sel:DWORD dst_unused:UNUSED_PAD src0_sel:WORD_0 src1_sel:DWORD
	buffer_store_dwordx4 v[16:19], v36, s[36:39], 0 offen
	;;#ASMSTART
	s_nop 0
	;;#ASMEND
.LBB110_20:
	s_or_b64 exec, exec, s[4:5]
	s_cmp_eq_u32 s8, 1
	s_mov_b32 s41, 1
	s_cbranch_scc1 .LBB110_35
.LBB110_21:
	s_abs_i32 s44, s9
	v_cvt_f32_u32_e32 v16, s44
	s_sub_i32 s4, 0, s44
	s_ashr_i32 s45, s9, 31
	v_add_u32_e32 v38, 4, v38
	v_rcp_iflag_f32_e32 v16, v16
	s_mov_b32 s31, 0x20000
	s_mov_b32 s46, 0x2edbe6ff
	v_mov_b32_e32 v39, 0
	v_mul_f32_e32 v16, 0x4f7ffffe, v16
	v_cvt_u32_f32_e32 v16, v16
	v_readfirstlane_b32 s5, v16
	s_mul_i32 s4, s4, s5
	s_mul_hi_u32 s4, s5, s4
	s_add_i32 s47, s5, s4
	s_branch .LBB110_24
.LBB110_22:                             ;   in Loop: Header=BB110_24 Depth=1
	s_or_b64 exec, exec, s[4:5]
.LBB110_23:                             ;   in Loop: Header=BB110_24 Depth=1
	s_add_i32 s41, s41, 1
	s_cmp_eq_u32 s8, s41
	v_add_u32_e32 v38, 4, v38
	s_cbranch_scc1 .LBB110_35
.LBB110_24:                             ; =>This Inner Loop Header: Depth=1
	s_and_b32 s4, s41, 63
	s_cmp_lg_u32 s4, 0
	s_cbranch_scc1 .LBB110_26
; %bb.25:                               ;   in Loop: Header=BB110_24 Depth=1
	s_mov_b32 s27, s31
	buffer_load_dword v16, v38, s[24:27], 0 offen
	s_waitcnt vmcnt(0)
	v_lshlrev_b32_e32 v16, 2, v16
	ds_read_b32 v37, v16
.LBB110_26:                             ;   in Loop: Header=BB110_24 Depth=1
	s_waitcnt lgkmcnt(0)
	v_readlane_b32 s28, v37, s4
	s_cmp_lt_i32 s28, 0
	s_cbranch_scc1 .LBB110_23
; %bb.27:                               ;   in Loop: Header=BB110_24 Depth=1
	s_add_i32 s27, s40, s41
	s_abs_i32 s36, s27
	s_mul_hi_u32 s5, s36, s42
	s_mul_i32 s7, s5, s34
	s_ashr_i32 s37, s27, 31
	s_sub_i32 s7, s36, s7
	s_xor_b32 s4, s37, s33
	s_add_i32 s29, s5, 1
	s_sub_i32 s39, s7, s34
	s_cmp_ge_u32 s7, s34
	s_cselect_b32 s5, s29, s5
	s_cselect_b32 s7, s39, s7
	s_add_i32 s29, s5, 1
	s_cmp_ge_u32 s7, s34
	s_cselect_b32 s5, s29, s5
	s_xor_b32 s5, s5, s4
	s_sub_i32 s4, s5, s4
	s_mul_i32 s5, s4, s10
	s_sub_i32 s5, s27, s5
	s_mul_i32 s29, s5, s12
	s_mul_i32 s4, s4, s11
	s_add_i32 s29, s29, s4
	s_cmp_eq_u32 s29, s43
	s_cbranch_scc1 .LBB110_29
; %bb.28:                               ;   in Loop: Header=BB110_24 Depth=1
	s_mul_hi_i32 s5, s29, s15
	s_mul_i32 s4, s29, s15
	s_lshl_b64 s[4:5], s[4:5], 1
	s_add_u32 s4, s20, s4
	s_addc_u32 s5, s21, s5
	s_and_b32 s5, s5, 0xffff
	s_mov_b32 s7, s31
	buffer_load_dwordx4 v[4:7], v32, s[4:7], 0 offen
	buffer_load_dwordx4 v[12:15], v32, s[4:7], 16 offen
	s_mov_b32 s43, s29
	s_waitcnt vmcnt(1)
	v_cvt_f32_f16_e32 v0, v4
	v_cvt_f32_f16_sdwa v1, v4 dst_sel:DWORD dst_unused:UNUSED_PAD src0_sel:WORD_1
	v_cvt_f32_f16_e32 v2, v5
	v_cvt_f32_f16_sdwa v3, v5 dst_sel:DWORD dst_unused:UNUSED_PAD src0_sel:WORD_1
	;; [unrolled: 2-line block ×4, first 2 shown]
	s_waitcnt vmcnt(0)
	v_cvt_f32_f16_e32 v8, v12
	v_cvt_f32_f16_sdwa v9, v12 dst_sel:DWORD dst_unused:UNUSED_PAD src0_sel:WORD_1
	v_cvt_f32_f16_e32 v10, v13
	v_cvt_f32_f16_sdwa v11, v13 dst_sel:DWORD dst_unused:UNUSED_PAD src0_sel:WORD_1
	v_cvt_f32_f16_e32 v12, v14
	v_cvt_f32_f16_sdwa v13, v14 dst_sel:DWORD dst_unused:UNUSED_PAD src0_sel:WORD_1
	v_cvt_f32_f16_e32 v14, v15
	v_cvt_f32_f16_sdwa v15, v15 dst_sel:DWORD dst_unused:UNUSED_PAD src0_sel:WORD_1
.LBB110_29:                             ;   in Loop: Header=BB110_24 Depth=1
	s_mul_i32 s4, s28, s35
	s_ashr_i32 s5, s4, 31
	s_lshl_b64 s[4:5], s[4:5], 2
	s_add_u32 s28, s22, s4
	s_addc_u32 s4, s23, s5
	s_and_b32 s29, s4, 0xffff
	buffer_load_dwordx4 v[16:19], v33, s[28:31], 0 offen
	buffer_load_dwordx4 v[20:23], v33, s[28:31], 16 offen
	;; [unrolled: 1-line block ×4, first 2 shown]
	s_waitcnt vmcnt(3)
	v_pk_mul_f32 v[16:17], v[0:1], v[16:17]
	v_pk_mul_f32 v[18:19], v[2:3], v[18:19]
	v_max3_f32 v40, |v16|, s46, |v17|
	s_waitcnt vmcnt(2)
	v_pk_mul_f32 v[20:21], v[4:5], v[20:21]
	v_max3_f32 v40, v40, |v18|, |v19|
	v_pk_mul_f32 v[22:23], v[6:7], v[22:23]
	v_max3_f32 v40, v40, |v20|, |v21|
	s_waitcnt vmcnt(1)
	v_pk_mul_f32 v[24:25], v[8:9], v[24:25]
	v_max3_f32 v40, v40, |v22|, |v23|
	v_pk_mul_f32 v[26:27], v[10:11], v[26:27]
	v_max3_f32 v40, v40, |v24|, |v25|
	;; [unrolled: 5-line block ×3, first 2 shown]
	v_max3_f32 v40, v40, |v30|, |v31|
	s_nop 1
	v_mov_b32_dpp v41, v40 quad_perm:[1,0,3,2] row_mask:0xf bank_mask:0xf
	v_cmp_gt_f32_e64 s[4:5], v40, v41
	v_cndmask_b32_e64 v40, v41, v40, s[4:5]
	s_nop 1
	v_mov_b32_dpp v41, v40 quad_perm:[2,3,0,1] row_mask:0xf bank_mask:0xf
	v_cmp_gt_f32_e64 s[4:5], v40, v41
	v_cndmask_b32_e64 v40, v41, v40, s[4:5]
	s_nop 1
	v_mov_b32_dpp v41, v40 row_half_mirror row_mask:0xf bank_mask:0xf
	v_cmp_gt_f32_e64 s[4:5], v40, v41
	v_cndmask_b32_e64 v40, v41, v40, s[4:5]
	s_nop 1
	v_mov_b32_dpp v41, v40 row_mirror row_mask:0xf bank_mask:0xf
	v_cmp_gt_f32_e64 s[4:5], v40, v41
	v_cndmask_b32_e64 v40, v41, v40, s[4:5]
	s_nop 1
	v_mov_b32_dpp v41, v40 row_bcast:15 row_mask:0xf bank_mask:0xf
	v_cmp_gt_f32_e64 s[4:5], v40, v41
	v_cndmask_b32_e64 v40, v41, v40, s[4:5]
	s_nop 1
	v_mov_b32_dpp v41, v40 row_bcast:31 row_mask:0xf bank_mask:0xf
	s_and_saveexec_b64 s[28:29], s[0:1]
	s_cbranch_execz .LBB110_31
; %bb.30:                               ;   in Loop: Header=BB110_24 Depth=1
	v_cmp_gt_f32_e64 s[4:5], v40, v41
	v_cndmask_b32_e64 v40, v41, v40, s[4:5]
	ds_write_b32 v34, v40
.LBB110_31:                             ;   in Loop: Header=BB110_24 Depth=1
	s_or_b64 exec, exec, s[28:29]
	s_waitcnt lgkmcnt(0)
	s_barrier
	ds_read_b32 v40, v35
	s_waitcnt lgkmcnt(0)
	s_nop 0
	v_mov_b32_dpp v41, v40 quad_perm:[1,0,3,2] row_mask:0xf bank_mask:0xf
	v_cmp_gt_f32_e64 s[4:5], v40, v41
	v_cndmask_b32_e64 v40, v41, v40, s[4:5]
	s_nop 1
	v_mov_b32_dpp v41, v40 quad_perm:[2,3,0,1] row_mask:0xf bank_mask:0xf
	v_cmp_gt_f32_e64 s[4:5], v40, v41
	v_cndmask_b32_e64 v40, v41, v40, s[4:5]
	s_mul_hi_u32 s5, s36, s47
	s_mul_i32 s7, s5, s44
	s_sub_i32 s7, s36, s7
	s_xor_b32 s4, s37, s45
	s_add_i32 s28, s5, 1
	s_sub_i32 s29, s7, s44
	s_cmp_ge_u32 s7, s44
	s_cselect_b32 s5, s28, s5
	s_cselect_b32 s7, s29, s7
	s_add_i32 s28, s5, 1
	s_cmp_ge_u32 s7, s44
	s_cselect_b32 s5, s28, s5
	s_xor_b32 s5, s5, s4
	s_sub_i32 s4, s5, s4
	s_mul_i32 s5, s4, s9
	s_sub_i32 s5, s27, s5
	s_mul_i32 s5, s5, s14
	s_mul_i32 s4, s4, s13
	v_mul_f32_e32 v40, 0x3c010204, v40
	s_add_i32 s28, s5, s4
	s_and_saveexec_b64 s[4:5], vcc
	s_cbranch_execz .LBB110_33
; %bb.32:                               ;   in Loop: Header=BB110_24 Depth=1
	s_ashr_i32 s29, s28, 31
	s_lshl_b64 s[36:37], s[28:29], 2
	s_add_u32 s36, s18, s36
	s_addc_u32 s37, s19, s37
	global_store_dword v39, v40, s[36:37]
.LBB110_33:                             ;   in Loop: Header=BB110_24 Depth=1
	s_or_b64 exec, exec, s[4:5]
	s_and_saveexec_b64 s[4:5], s[2:3]
	s_cbranch_execz .LBB110_22
; %bb.34:                               ;   in Loop: Header=BB110_24 Depth=1
	v_rcp_f32_e32 v40, v40
	s_mul_i32 s27, s28, s15
	s_mul_hi_i32 s7, s28, s15
	s_add_u32 s36, s16, s27
	v_mov_b32_e32 v41, v40
	;;#ASMSTART
	v_pk_mul_f32 v[16:17], v[16:17], v[40:41]
	;;#ASMEND
	v_cvt_i32_f32_e32 v42, v16
	v_cvt_i32_f32_sdwa v43, v17 dst_sel:BYTE_1 dst_unused:UNUSED_PAD src0_sel:DWORD
	;;#ASMSTART
	v_pk_mul_f32 v[16:17], v[18:19], v[40:41]
	;;#ASMEND
	v_cvt_i32_f32_e32 v18, v16
	v_cvt_i32_f32_sdwa v19, v17 dst_sel:BYTE_1 dst_unused:UNUSED_PAD src0_sel:DWORD
	;; [unrolled: 5-line block ×8, first 2 shown]
	v_or_b32_sdwa v16, v42, v43 dst_sel:DWORD dst_unused:UNUSED_PAD src0_sel:BYTE_0 src1_sel:DWORD
	v_or_b32_sdwa v17, v18, v19 dst_sel:WORD_1 dst_unused:UNUSED_PAD src0_sel:BYTE_0 src1_sel:DWORD
	v_or_b32_sdwa v16, v16, v17 dst_sel:DWORD dst_unused:UNUSED_PAD src0_sel:WORD_0 src1_sel:DWORD
	v_or_b32_sdwa v17, v20, v21 dst_sel:DWORD dst_unused:UNUSED_PAD src0_sel:BYTE_0 src1_sel:DWORD
	v_or_b32_sdwa v18, v22, v23 dst_sel:WORD_1 dst_unused:UNUSED_PAD src0_sel:BYTE_0 src1_sel:DWORD
	v_or_b32_sdwa v17, v17, v18 dst_sel:DWORD dst_unused:UNUSED_PAD src0_sel:WORD_0 src1_sel:DWORD
	v_or_b32_sdwa v18, v24, v25 dst_sel:DWORD dst_unused:UNUSED_PAD src0_sel:BYTE_0 src1_sel:DWORD
	v_or_b32_sdwa v19, v26, v27 dst_sel:WORD_1 dst_unused:UNUSED_PAD src0_sel:BYTE_0 src1_sel:DWORD
	s_addc_u32 s7, s17, s7
	v_or_b32_sdwa v18, v18, v19 dst_sel:DWORD dst_unused:UNUSED_PAD src0_sel:WORD_0 src1_sel:DWORD
	v_or_b32_sdwa v19, v28, v29 dst_sel:DWORD dst_unused:UNUSED_PAD src0_sel:BYTE_0 src1_sel:DWORD
	v_or_b32_sdwa v20, v30, v31 dst_sel:WORD_1 dst_unused:UNUSED_PAD src0_sel:BYTE_0 src1_sel:DWORD
	s_and_b32 s37, s7, 0xffff
	s_mov_b32 s39, s31
	v_or_b32_sdwa v19, v19, v20 dst_sel:DWORD dst_unused:UNUSED_PAD src0_sel:WORD_0 src1_sel:DWORD
	buffer_store_dwordx4 v[16:19], v36, s[36:39], 0 offen
	;;#ASMSTART
	s_nop 0
	;;#ASMEND
	s_branch .LBB110_22
.LBB110_35:
	s_endpgm
	.section	.rodata,"a",@progbits
	.p2align	6, 0x0
	.amdhsa_kernel _ZN5aiter36smooth_per_token_scaled_quant_kernelIDF16_aLi256ELi16ELb1ELb1ELb1ELi1024EEEvPT0_PfPT_S3_PiS6_iiPKiiiiiiiii
		.amdhsa_group_segment_fixed_size 4112
		.amdhsa_private_segment_fixed_size 0
		.amdhsa_kernarg_size 96
		.amdhsa_user_sgpr_count 6
		.amdhsa_user_sgpr_private_segment_buffer 1
		.amdhsa_user_sgpr_dispatch_ptr 0
		.amdhsa_user_sgpr_queue_ptr 0
		.amdhsa_user_sgpr_kernarg_segment_ptr 1
		.amdhsa_user_sgpr_dispatch_id 0
		.amdhsa_user_sgpr_flat_scratch_init 0
		.amdhsa_user_sgpr_kernarg_preload_length 0
		.amdhsa_user_sgpr_kernarg_preload_offset 0
		.amdhsa_user_sgpr_private_segment_size 0
		.amdhsa_uses_dynamic_stack 0
		.amdhsa_system_sgpr_private_segment_wavefront_offset 0
		.amdhsa_system_sgpr_workgroup_id_x 1
		.amdhsa_system_sgpr_workgroup_id_y 0
		.amdhsa_system_sgpr_workgroup_id_z 0
		.amdhsa_system_sgpr_workgroup_info 0
		.amdhsa_system_vgpr_workitem_id 0
		.amdhsa_next_free_vgpr 44
		.amdhsa_next_free_sgpr 48
		.amdhsa_accum_offset 44
		.amdhsa_reserve_vcc 1
		.amdhsa_reserve_flat_scratch 0
		.amdhsa_float_round_mode_32 0
		.amdhsa_float_round_mode_16_64 0
		.amdhsa_float_denorm_mode_32 3
		.amdhsa_float_denorm_mode_16_64 3
		.amdhsa_dx10_clamp 1
		.amdhsa_ieee_mode 1
		.amdhsa_fp16_overflow 0
		.amdhsa_tg_split 0
		.amdhsa_exception_fp_ieee_invalid_op 0
		.amdhsa_exception_fp_denorm_src 0
		.amdhsa_exception_fp_ieee_div_zero 0
		.amdhsa_exception_fp_ieee_overflow 0
		.amdhsa_exception_fp_ieee_underflow 0
		.amdhsa_exception_fp_ieee_inexact 0
		.amdhsa_exception_int_div_zero 0
	.end_amdhsa_kernel
	.section	.text._ZN5aiter36smooth_per_token_scaled_quant_kernelIDF16_aLi256ELi16ELb1ELb1ELb1ELi1024EEEvPT0_PfPT_S3_PiS6_iiPKiiiiiiiii,"axG",@progbits,_ZN5aiter36smooth_per_token_scaled_quant_kernelIDF16_aLi256ELi16ELb1ELb1ELb1ELi1024EEEvPT0_PfPT_S3_PiS6_iiPKiiiiiiiii,comdat
.Lfunc_end110:
	.size	_ZN5aiter36smooth_per_token_scaled_quant_kernelIDF16_aLi256ELi16ELb1ELb1ELb1ELi1024EEEvPT0_PfPT_S3_PiS6_iiPKiiiiiiiii, .Lfunc_end110-_ZN5aiter36smooth_per_token_scaled_quant_kernelIDF16_aLi256ELi16ELb1ELb1ELb1ELi1024EEEvPT0_PfPT_S3_PiS6_iiPKiiiiiiiii
                                        ; -- End function
	.section	.AMDGPU.csdata,"",@progbits
; Kernel info:
; codeLenInByte = 3288
; NumSgprs: 52
; NumVgprs: 44
; NumAgprs: 0
; TotalNumVgprs: 44
; ScratchSize: 0
; MemoryBound: 0
; FloatMode: 240
; IeeeMode: 1
; LDSByteSize: 4112 bytes/workgroup (compile time only)
; SGPRBlocks: 6
; VGPRBlocks: 5
; NumSGPRsForWavesPerEU: 52
; NumVGPRsForWavesPerEU: 44
; AccumOffset: 44
; Occupancy: 8
; WaveLimiterHint : 0
; COMPUTE_PGM_RSRC2:SCRATCH_EN: 0
; COMPUTE_PGM_RSRC2:USER_SGPR: 6
; COMPUTE_PGM_RSRC2:TRAP_HANDLER: 0
; COMPUTE_PGM_RSRC2:TGID_X_EN: 1
; COMPUTE_PGM_RSRC2:TGID_Y_EN: 0
; COMPUTE_PGM_RSRC2:TGID_Z_EN: 0
; COMPUTE_PGM_RSRC2:TIDIG_COMP_CNT: 0
; COMPUTE_PGM_RSRC3_GFX90A:ACCUM_OFFSET: 10
; COMPUTE_PGM_RSRC3_GFX90A:TG_SPLIT: 0
	.section	.text._ZN5aiter36smooth_per_token_scaled_quant_kernelItaLi256ELi16ELb1ELb1ELb1ELi1024EEEvPT0_PfPT_S3_PiS6_iiPKiiiiiiiii,"axG",@progbits,_ZN5aiter36smooth_per_token_scaled_quant_kernelItaLi256ELi16ELb1ELb1ELb1ELi1024EEEvPT0_PfPT_S3_PiS6_iiPKiiiiiiiii,comdat
	.protected	_ZN5aiter36smooth_per_token_scaled_quant_kernelItaLi256ELi16ELb1ELb1ELb1ELi1024EEEvPT0_PfPT_S3_PiS6_iiPKiiiiiiiii ; -- Begin function _ZN5aiter36smooth_per_token_scaled_quant_kernelItaLi256ELi16ELb1ELb1ELb1ELi1024EEEvPT0_PfPT_S3_PiS6_iiPKiiiiiiiii
	.globl	_ZN5aiter36smooth_per_token_scaled_quant_kernelItaLi256ELi16ELb1ELb1ELb1ELi1024EEEvPT0_PfPT_S3_PiS6_iiPKiiiiiiiii
	.p2align	8
	.type	_ZN5aiter36smooth_per_token_scaled_quant_kernelItaLi256ELi16ELb1ELb1ELb1ELi1024EEEvPT0_PfPT_S3_PiS6_iiPKiiiiiiiii,@function
_ZN5aiter36smooth_per_token_scaled_quant_kernelItaLi256ELi16ELb1ELb1ELb1ELi1024EEEvPT0_PfPT_S3_PiS6_iiPKiiiiiiiii: ; @_ZN5aiter36smooth_per_token_scaled_quant_kernelItaLi256ELi16ELb1ELb1ELb1ELi1024EEEvPT0_PfPT_S3_PiS6_iiPKiiiiiiiii
; %bb.0:
	s_load_dwordx2 s[16:17], s[4:5], 0x38
	s_load_dwordx2 s[0:1], s[4:5], 0x28
	s_load_dwordx8 s[8:15], s[4:5], 0x40
	s_mov_b64 s[2:3], 0
	s_waitcnt lgkmcnt(0)
	s_cmp_lg_u64 s[16:17], 0
	s_cbranch_scc0 .LBB111_11
; %bb.1:
	s_load_dword s7, s[16:17], 0x0
	s_waitcnt lgkmcnt(0)
	s_mul_i32 s7, s7, s8
	s_andn2_b64 vcc, exec, s[2:3]
	s_cbranch_vccnz .LBB111_3
.LBB111_2:
	s_mul_i32 s7, s10, s9
.LBB111_3:
	s_load_dwordx2 s[34:35], s[4:5], 0x30
	v_and_b32_e32 v1, 0x3c0, v0
	v_lshlrev_b32_e32 v1, 2, v1
	v_lshlrev_b32_e32 v2, 2, v0
	v_readfirstlane_b32 s8, v1
	v_add_u32_e32 v3, 0x400, v1
	s_lshl_b32 s2, s15, 2
	s_and_b32 s1, s1, 0xffff
	s_mov_b32 s3, 0x20000
	;;#ASMSTART
	s_mov_b32 m0 s8
	buffer_load_dword v2, s[0:3], 0 offen offset:0 lds
	
	;;#ASMEND
	v_readfirstlane_b32 s8, v3
	v_add_u32_e32 v3, 0x400, v2
	;;#ASMSTART
	s_mov_b32 m0 s8
	buffer_load_dword v3, s[0:3], 0 offen offset:0 lds
	
	;;#ASMEND
	v_add_u32_e32 v3, 0x800, v1
	s_waitcnt lgkmcnt(0)
	s_abs_i32 s15, s34
	v_readfirstlane_b32 s8, v3
	v_cvt_f32_u32_e32 v3, s15
	v_add_u32_e32 v1, 0xc00, v1
	v_add_u32_e32 v4, 0x800, v2
	v_readfirstlane_b32 s18, v1
	v_rcp_iflag_f32_e32 v3, v3
	v_add_u32_e32 v1, 0xc00, v2
	s_sub_i32 s17, 0, s15
	s_abs_i32 s16, s7
	v_mul_f32_e32 v2, 0x4f7ffffe, v3
	v_cvt_u32_f32_e32 v2, v2
	;;#ASMSTART
	s_mov_b32 m0 s8
	buffer_load_dword v4, s[0:3], 0 offen offset:0 lds
	
	;;#ASMEND
	s_xor_b32 s8, s7, s34
	s_ashr_i32 s8, s8, 31
	v_readfirstlane_b32 s19, v2
	s_mul_i32 s17, s17, s19
	s_mul_hi_u32 s17, s19, s17
	s_add_i32 s19, s19, s17
	s_mul_hi_u32 s17, s16, s19
	s_mul_i32 s19, s17, s15
	s_sub_i32 s16, s16, s19
	s_add_i32 s19, s17, 1
	s_sub_i32 s20, s16, s15
	s_cmp_ge_u32 s16, s15
	s_cselect_b32 s17, s19, s17
	s_cselect_b32 s16, s20, s16
	s_add_i32 s19, s17, 1
	s_cmp_ge_u32 s16, s15
	s_cselect_b32 s15, s19, s17
	s_xor_b32 s15, s15, s8
	s_sub_i32 s8, s15, s8
	s_mul_i32 s15, s8, s34
	s_sub_i32 s15, s7, s15
	s_cmp_lt_u32 s6, s15
	;;#ASMSTART
	s_mov_b32 m0 s18
	buffer_load_dword v1, s[0:3], 0 offen offset:0 lds
	
	;;#ASMEND
	s_cselect_b64 s[16:17], -1, 0
	s_add_i32 s7, s8, 1
	s_cmp_ge_u32 s6, s15
	s_cbranch_scc0 .LBB111_5
; %bb.4:
	s_sub_i32 s1, s6, s15
	s_mul_i32 s0, s15, s7
	s_mul_i32 s1, s1, s8
	s_add_i32 s40, s1, s0
	s_cbranch_execz .LBB111_6
	s_branch .LBB111_7
.LBB111_5:
                                        ; implicit-def: $sgpr40
.LBB111_6:
	s_mul_i32 s40, s7, s6
.LBB111_7:
	v_cndmask_b32_e64 v1, 0, 1, s[16:17]
	v_readfirstlane_b32 s0, v1
	s_add_i32 s8, s8, s0
	s_cmp_lt_i32 s8, 1
	s_cbranch_scc1 .LBB111_35
; %bb.8:
	s_load_dwordx2 s[0:1], s[4:5], 0x20
	s_ashr_i32 s41, s40, 31
	s_lshl_b64 s[2:3], s[40:41], 2
	v_and_b32_e32 v1, 63, v0
	s_mov_b32 s27, 0x20000
	s_waitcnt lgkmcnt(0)
	s_add_u32 s24, s0, s2
	s_addc_u32 s0, s1, s3
	s_lshl_b32 s26, s8, 2
	s_and_b32 s25, s0, 0xffff
	v_lshlrev_b32_e32 v38, 2, v1
	buffer_load_dword v2, v38, s[24:27], 0 offen
	s_abs_i32 s34, s10
	v_cmp_eq_u32_e64 s[0:1], 63, v1
	v_cvt_f32_u32_e32 v1, s34
	s_add_i32 s2, s35, 15
	s_load_dwordx8 s[16:23], s[4:5], 0x0
	s_ashr_i32 s4, s2, 31
	v_rcp_iflag_f32_e32 v1, v1
	s_waitcnt vmcnt(0) lgkmcnt(0)
	s_barrier
	v_mul_f32_e32 v1, 0x4f7ffffe, v1
	v_cvt_u32_f32_e32 v1, v1
	s_add_i32 s3, s35, 3
	s_lshr_b32 s4, s4, 28
	s_ashr_i32 s5, s3, 31
	s_add_i32 s2, s2, s4
	s_sub_i32 s4, 0, s34
	v_readfirstlane_b32 s42, v1
	s_lshr_b32 s5, s5, 30
	s_mul_i32 s4, s4, s42
	s_add_i32 s3, s3, s5
	s_mul_hi_u32 s4, s42, s4
	v_lshrrev_b32_e32 v3, 4, v0
	v_mov_b32_e32 v4, 0x1000
	v_and_b32_e32 v5, 3, v0
	s_lshl_b32 s6, s35, 1
	s_lshl_b32 s30, s35, 2
	s_ashr_i32 s33, s10, 31
	s_ashr_i32 s2, s2, 4
	s_and_b32 s38, s3, -4
	s_add_i32 s42, s42, s4
	s_mov_b32 s15, s35
	v_lshlrev_b32_e32 v32, 5, v0
	v_lshlrev_b32_e32 v33, 6, v0
	v_cmp_eq_u32_e32 vcc, 0, v0
	v_and_or_b32 v34, v3, 60, v4
	v_lshl_or_b32 v35, v5, 2, v4
	v_cmp_gt_u32_e64 s[2:3], s2, v0
	v_lshlrev_b32_e32 v36, 4, v0
	v_lshlrev_b32_e32 v2, 2, v2
	ds_read_b32 v37, v2
	s_waitcnt lgkmcnt(0)
	v_readlane_b32 s28, v37, 0
	s_cmp_lt_i32 s28, 0
	s_cbranch_scc1 .LBB111_12
; %bb.9:
	s_abs_i32 s27, s40
	s_mul_hi_u32 s4, s27, s42
	s_mul_i32 s7, s4, s34
	s_sub_i32 s7, s27, s7
	s_xor_b32 s5, s41, s33
	s_add_i32 s29, s4, 1
	s_sub_i32 s31, s7, s34
	s_cmp_ge_u32 s7, s34
	s_cselect_b32 s4, s29, s4
	s_cselect_b32 s7, s31, s7
	s_add_i32 s29, s4, 1
	s_cmp_ge_u32 s7, s34
	s_cselect_b32 s4, s29, s4
	s_xor_b32 s4, s4, s5
	s_sub_i32 s4, s4, s5
	s_mul_i32 s5, s4, s10
	s_sub_i32 s5, s40, s5
	s_mul_i32 s5, s5, s12
	s_mul_i32 s4, s4, s11
	s_add_i32 s43, s5, s4
	s_cmp_eq_u32 s43, -1
	s_cbranch_scc1 .LBB111_13
; %bb.10:
	s_mul_hi_i32 s5, s43, s15
	s_mul_i32 s4, s43, s15
	s_lshl_b64 s[4:5], s[4:5], 1
	s_add_u32 s4, s20, s4
	s_addc_u32 s5, s21, s5
	s_and_b32 s5, s5, 0xffff
	s_mov_b32 s7, 0x20000
	buffer_load_dwordx4 v[6:9], v32, s[4:7], 0 offen
	buffer_load_dwordx4 v[14:17], v32, s[4:7], 16 offen
	s_waitcnt vmcnt(1)
	v_cvt_f32_u32_sdwa v1, v6 dst_sel:DWORD dst_unused:UNUSED_PAD src0_sel:WORD_1
	v_cvt_f32_u32_sdwa v0, v6 dst_sel:DWORD dst_unused:UNUSED_PAD src0_sel:WORD_0
	v_cvt_f32_u32_sdwa v3, v7 dst_sel:DWORD dst_unused:UNUSED_PAD src0_sel:WORD_1
	v_cvt_f32_u32_sdwa v2, v7 dst_sel:DWORD dst_unused:UNUSED_PAD src0_sel:WORD_0
	;; [unrolled: 2-line block ×4, first 2 shown]
	s_waitcnt vmcnt(0)
	v_cvt_f32_u32_sdwa v9, v14 dst_sel:DWORD dst_unused:UNUSED_PAD src0_sel:WORD_1
	v_cvt_f32_u32_sdwa v8, v14 dst_sel:DWORD dst_unused:UNUSED_PAD src0_sel:WORD_0
	v_cvt_f32_u32_sdwa v11, v15 dst_sel:DWORD dst_unused:UNUSED_PAD src0_sel:WORD_1
	v_cvt_f32_u32_sdwa v10, v15 dst_sel:DWORD dst_unused:UNUSED_PAD src0_sel:WORD_0
	;; [unrolled: 2-line block ×4, first 2 shown]
	s_branch .LBB111_14
.LBB111_11:
                                        ; implicit-def: $sgpr7
	s_branch .LBB111_2
.LBB111_12:
	s_mov_b32 s43, -1
                                        ; implicit-def: $vgpr0_vgpr1_vgpr2_vgpr3_vgpr4_vgpr5_vgpr6_vgpr7_vgpr8_vgpr9_vgpr10_vgpr11_vgpr12_vgpr13_vgpr14_vgpr15
	s_cmp_eq_u32 s8, 1
	s_mov_b32 s41, 1
	s_cbranch_scc0 .LBB111_21
	s_branch .LBB111_35
.LBB111_13:
                                        ; implicit-def: $vgpr0_vgpr1_vgpr2_vgpr3_vgpr4_vgpr5_vgpr6_vgpr7_vgpr8_vgpr9_vgpr10_vgpr11_vgpr12_vgpr13_vgpr14_vgpr15
.LBB111_14:
	s_mul_i32 s4, s28, s35
	s_ashr_i32 s5, s4, 31
	s_lshl_b64 s[4:5], s[4:5], 2
	s_add_u32 s28, s22, s4
	s_addc_u32 s4, s23, s5
	s_and_b32 s29, s4, 0xffff
	s_mov_b32 s31, 0x20000
	buffer_load_dwordx4 v[16:19], v33, s[28:31], 0 offen
	buffer_load_dwordx4 v[20:23], v33, s[28:31], 16 offen
	;; [unrolled: 1-line block ×4, first 2 shown]
	s_mov_b32 s4, 0x2edbe6ff
	s_waitcnt vmcnt(3)
	v_pk_mul_f32 v[16:17], v[0:1], v[16:17]
	v_pk_mul_f32 v[18:19], v[2:3], v[18:19]
	v_max3_f32 v39, |v16|, s4, |v17|
	s_waitcnt vmcnt(2)
	v_pk_mul_f32 v[20:21], v[4:5], v[20:21]
	v_max3_f32 v39, v39, |v18|, |v19|
	v_pk_mul_f32 v[22:23], v[6:7], v[22:23]
	v_max3_f32 v39, v39, |v20|, |v21|
	s_waitcnt vmcnt(1)
	v_pk_mul_f32 v[24:25], v[8:9], v[24:25]
	v_max3_f32 v39, v39, |v22|, |v23|
	v_pk_mul_f32 v[26:27], v[10:11], v[26:27]
	v_max3_f32 v39, v39, |v24|, |v25|
	;; [unrolled: 5-line block ×3, first 2 shown]
	v_max3_f32 v39, v39, |v30|, |v31|
	s_nop 1
	v_mov_b32_dpp v40, v39 quad_perm:[1,0,3,2] row_mask:0xf bank_mask:0xf
	v_cmp_gt_f32_e64 s[4:5], v39, v40
	v_cndmask_b32_e64 v39, v40, v39, s[4:5]
	s_nop 1
	v_mov_b32_dpp v40, v39 quad_perm:[2,3,0,1] row_mask:0xf bank_mask:0xf
	v_cmp_gt_f32_e64 s[4:5], v39, v40
	v_cndmask_b32_e64 v39, v40, v39, s[4:5]
	s_nop 1
	v_mov_b32_dpp v40, v39 row_half_mirror row_mask:0xf bank_mask:0xf
	v_cmp_gt_f32_e64 s[4:5], v39, v40
	v_cndmask_b32_e64 v39, v40, v39, s[4:5]
	s_nop 1
	v_mov_b32_dpp v40, v39 row_mirror row_mask:0xf bank_mask:0xf
	v_cmp_gt_f32_e64 s[4:5], v39, v40
	v_cndmask_b32_e64 v39, v40, v39, s[4:5]
	s_nop 1
	v_mov_b32_dpp v40, v39 row_bcast:15 row_mask:0xf bank_mask:0xf
	v_cmp_gt_f32_e64 s[4:5], v39, v40
	v_cndmask_b32_e64 v39, v40, v39, s[4:5]
	s_nop 1
	v_mov_b32_dpp v40, v39 row_bcast:31 row_mask:0xf bank_mask:0xf
	s_and_saveexec_b64 s[28:29], s[0:1]
	s_cbranch_execz .LBB111_16
; %bb.15:
	v_cmp_gt_f32_e64 s[4:5], v39, v40
	v_cndmask_b32_e64 v39, v40, v39, s[4:5]
	ds_write_b32 v34, v39
.LBB111_16:
	s_or_b64 exec, exec, s[28:29]
	s_waitcnt lgkmcnt(0)
	s_barrier
	ds_read_b32 v39, v35
	s_abs_i32 s7, s9
	v_cvt_f32_u32_e32 v41, s7
	s_waitcnt lgkmcnt(0)
	v_mov_b32_dpp v40, v39 quad_perm:[1,0,3,2] row_mask:0xf bank_mask:0xf
	v_cmp_gt_f32_e64 s[4:5], v39, v40
	v_rcp_iflag_f32_e32 v41, v41
	v_cndmask_b32_e64 v39, v40, v39, s[4:5]
	s_nop 1
	v_mov_b32_dpp v40, v39 quad_perm:[2,3,0,1] row_mask:0xf bank_mask:0xf
	v_cmp_gt_f32_e64 s[4:5], v39, v40
	v_cndmask_b32_e64 v39, v40, v39, s[4:5]
	v_mul_f32_e32 v40, 0x4f7ffffe, v41
	v_cvt_u32_f32_e32 v40, v40
	s_sub_i32 s5, 0, s7
	s_ashr_i32 s4, s9, 31
	s_xor_b32 s4, s41, s4
	v_readfirstlane_b32 s28, v40
	s_mul_i32 s5, s5, s28
	s_mul_hi_u32 s5, s28, s5
	s_add_i32 s28, s28, s5
	s_mul_hi_u32 s5, s27, s28
	s_mul_i32 s28, s5, s7
	s_sub_i32 s27, s27, s28
	s_add_i32 s28, s5, 1
	s_sub_i32 s29, s27, s7
	s_cmp_ge_u32 s27, s7
	s_cselect_b32 s5, s28, s5
	s_cselect_b32 s27, s29, s27
	s_add_i32 s28, s5, 1
	s_cmp_ge_u32 s27, s7
	s_cselect_b32 s5, s28, s5
	s_xor_b32 s5, s5, s4
	s_sub_i32 s4, s5, s4
	s_mul_i32 s5, s4, s9
	s_sub_i32 s5, s40, s5
	s_mul_i32 s5, s5, s14
	s_mul_i32 s4, s4, s13
	v_mul_f32_e32 v39, 0x3c010204, v39
	s_add_i32 s28, s5, s4
	s_and_saveexec_b64 s[4:5], vcc
	s_cbranch_execz .LBB111_18
; %bb.17:
	s_ashr_i32 s29, s28, 31
	s_lshl_b64 s[36:37], s[28:29], 2
	s_add_u32 s36, s18, s36
	s_addc_u32 s37, s19, s37
	v_mov_b32_e32 v40, 0
	global_store_dword v40, v39, s[36:37]
.LBB111_18:
	s_or_b64 exec, exec, s[4:5]
	s_and_saveexec_b64 s[4:5], s[2:3]
	s_cbranch_execz .LBB111_20
; %bb.19:
	v_rcp_f32_e32 v40, v39
	s_mul_i32 s27, s28, s15
	s_mul_hi_i32 s7, s28, s15
	s_add_u32 s36, s16, s27
	v_mov_b32_e32 v41, v40
	;;#ASMSTART
	v_pk_mul_f32 v[16:17], v[16:17], v[40:41]
	;;#ASMEND
	v_cvt_i32_f32_e32 v39, v16
	v_cvt_i32_f32_sdwa v42, v17 dst_sel:BYTE_1 dst_unused:UNUSED_PAD src0_sel:DWORD
	;;#ASMSTART
	v_pk_mul_f32 v[16:17], v[18:19], v[40:41]
	;;#ASMEND
	v_cvt_i32_f32_e32 v18, v16
	v_cvt_i32_f32_sdwa v19, v17 dst_sel:BYTE_1 dst_unused:UNUSED_PAD src0_sel:DWORD
	;; [unrolled: 5-line block ×8, first 2 shown]
	v_or_b32_sdwa v16, v39, v42 dst_sel:DWORD dst_unused:UNUSED_PAD src0_sel:BYTE_0 src1_sel:DWORD
	v_or_b32_sdwa v17, v18, v19 dst_sel:WORD_1 dst_unused:UNUSED_PAD src0_sel:BYTE_0 src1_sel:DWORD
	v_or_b32_sdwa v16, v16, v17 dst_sel:DWORD dst_unused:UNUSED_PAD src0_sel:WORD_0 src1_sel:DWORD
	v_or_b32_sdwa v17, v20, v21 dst_sel:DWORD dst_unused:UNUSED_PAD src0_sel:BYTE_0 src1_sel:DWORD
	v_or_b32_sdwa v18, v22, v23 dst_sel:WORD_1 dst_unused:UNUSED_PAD src0_sel:BYTE_0 src1_sel:DWORD
	v_or_b32_sdwa v17, v17, v18 dst_sel:DWORD dst_unused:UNUSED_PAD src0_sel:WORD_0 src1_sel:DWORD
	v_or_b32_sdwa v18, v24, v25 dst_sel:DWORD dst_unused:UNUSED_PAD src0_sel:BYTE_0 src1_sel:DWORD
	v_or_b32_sdwa v19, v26, v27 dst_sel:WORD_1 dst_unused:UNUSED_PAD src0_sel:BYTE_0 src1_sel:DWORD
	s_addc_u32 s7, s17, s7
	v_or_b32_sdwa v18, v18, v19 dst_sel:DWORD dst_unused:UNUSED_PAD src0_sel:WORD_0 src1_sel:DWORD
	v_or_b32_sdwa v19, v28, v29 dst_sel:DWORD dst_unused:UNUSED_PAD src0_sel:BYTE_0 src1_sel:DWORD
	v_or_b32_sdwa v20, v30, v31 dst_sel:WORD_1 dst_unused:UNUSED_PAD src0_sel:BYTE_0 src1_sel:DWORD
	s_and_b32 s37, s7, 0xffff
	s_mov_b32 s39, 0x20000
	v_or_b32_sdwa v19, v19, v20 dst_sel:DWORD dst_unused:UNUSED_PAD src0_sel:WORD_0 src1_sel:DWORD
	buffer_store_dwordx4 v[16:19], v36, s[36:39], 0 offen
	;;#ASMSTART
	s_nop 0
	;;#ASMEND
.LBB111_20:
	s_or_b64 exec, exec, s[4:5]
	s_cmp_eq_u32 s8, 1
	s_mov_b32 s41, 1
	s_cbranch_scc1 .LBB111_35
.LBB111_21:
	s_abs_i32 s44, s9
	v_cvt_f32_u32_e32 v16, s44
	s_sub_i32 s4, 0, s44
	s_ashr_i32 s45, s9, 31
	v_add_u32_e32 v38, 4, v38
	v_rcp_iflag_f32_e32 v16, v16
	s_mov_b32 s31, 0x20000
	s_mov_b32 s46, 0x2edbe6ff
	v_mov_b32_e32 v39, 0
	v_mul_f32_e32 v16, 0x4f7ffffe, v16
	v_cvt_u32_f32_e32 v16, v16
	v_readfirstlane_b32 s5, v16
	s_mul_i32 s4, s4, s5
	s_mul_hi_u32 s4, s5, s4
	s_add_i32 s47, s5, s4
	s_branch .LBB111_24
.LBB111_22:                             ;   in Loop: Header=BB111_24 Depth=1
	s_or_b64 exec, exec, s[4:5]
.LBB111_23:                             ;   in Loop: Header=BB111_24 Depth=1
	s_add_i32 s41, s41, 1
	s_cmp_eq_u32 s8, s41
	v_add_u32_e32 v38, 4, v38
	s_cbranch_scc1 .LBB111_35
.LBB111_24:                             ; =>This Inner Loop Header: Depth=1
	s_and_b32 s4, s41, 63
	s_cmp_lg_u32 s4, 0
	s_cbranch_scc1 .LBB111_26
; %bb.25:                               ;   in Loop: Header=BB111_24 Depth=1
	s_mov_b32 s27, s31
	buffer_load_dword v16, v38, s[24:27], 0 offen
	s_waitcnt vmcnt(0)
	v_lshlrev_b32_e32 v16, 2, v16
	ds_read_b32 v37, v16
.LBB111_26:                             ;   in Loop: Header=BB111_24 Depth=1
	s_waitcnt lgkmcnt(0)
	v_readlane_b32 s28, v37, s4
	s_cmp_lt_i32 s28, 0
	s_cbranch_scc1 .LBB111_23
; %bb.27:                               ;   in Loop: Header=BB111_24 Depth=1
	s_add_i32 s27, s40, s41
	s_abs_i32 s36, s27
	s_mul_hi_u32 s5, s36, s42
	s_mul_i32 s7, s5, s34
	s_ashr_i32 s37, s27, 31
	s_sub_i32 s7, s36, s7
	s_xor_b32 s4, s37, s33
	s_add_i32 s29, s5, 1
	s_sub_i32 s39, s7, s34
	s_cmp_ge_u32 s7, s34
	s_cselect_b32 s5, s29, s5
	s_cselect_b32 s7, s39, s7
	s_add_i32 s29, s5, 1
	s_cmp_ge_u32 s7, s34
	s_cselect_b32 s5, s29, s5
	s_xor_b32 s5, s5, s4
	s_sub_i32 s4, s5, s4
	s_mul_i32 s5, s4, s10
	s_sub_i32 s5, s27, s5
	s_mul_i32 s29, s5, s12
	s_mul_i32 s4, s4, s11
	s_add_i32 s29, s29, s4
	s_cmp_eq_u32 s29, s43
	s_cbranch_scc1 .LBB111_29
; %bb.28:                               ;   in Loop: Header=BB111_24 Depth=1
	s_mul_hi_i32 s5, s29, s15
	s_mul_i32 s4, s29, s15
	s_lshl_b64 s[4:5], s[4:5], 1
	s_add_u32 s4, s20, s4
	s_addc_u32 s5, s21, s5
	s_and_b32 s5, s5, 0xffff
	s_mov_b32 s7, s31
	buffer_load_dwordx4 v[6:9], v32, s[4:7], 0 offen
	buffer_load_dwordx4 v[14:17], v32, s[4:7], 16 offen
	s_mov_b32 s43, s29
	s_waitcnt vmcnt(1)
	v_cvt_f32_u32_sdwa v1, v6 dst_sel:DWORD dst_unused:UNUSED_PAD src0_sel:WORD_1
	v_cvt_f32_u32_sdwa v0, v6 dst_sel:DWORD dst_unused:UNUSED_PAD src0_sel:WORD_0
	v_cvt_f32_u32_sdwa v3, v7 dst_sel:DWORD dst_unused:UNUSED_PAD src0_sel:WORD_1
	v_cvt_f32_u32_sdwa v2, v7 dst_sel:DWORD dst_unused:UNUSED_PAD src0_sel:WORD_0
	;; [unrolled: 2-line block ×4, first 2 shown]
	s_waitcnt vmcnt(0)
	v_cvt_f32_u32_sdwa v9, v14 dst_sel:DWORD dst_unused:UNUSED_PAD src0_sel:WORD_1
	v_cvt_f32_u32_sdwa v8, v14 dst_sel:DWORD dst_unused:UNUSED_PAD src0_sel:WORD_0
	v_cvt_f32_u32_sdwa v11, v15 dst_sel:DWORD dst_unused:UNUSED_PAD src0_sel:WORD_1
	v_cvt_f32_u32_sdwa v10, v15 dst_sel:DWORD dst_unused:UNUSED_PAD src0_sel:WORD_0
	;; [unrolled: 2-line block ×4, first 2 shown]
.LBB111_29:                             ;   in Loop: Header=BB111_24 Depth=1
	s_mul_i32 s4, s28, s35
	s_ashr_i32 s5, s4, 31
	s_lshl_b64 s[4:5], s[4:5], 2
	s_add_u32 s28, s22, s4
	s_addc_u32 s4, s23, s5
	s_and_b32 s29, s4, 0xffff
	buffer_load_dwordx4 v[16:19], v33, s[28:31], 0 offen
	buffer_load_dwordx4 v[20:23], v33, s[28:31], 16 offen
	;; [unrolled: 1-line block ×4, first 2 shown]
	s_waitcnt vmcnt(3)
	v_pk_mul_f32 v[16:17], v[0:1], v[16:17]
	v_pk_mul_f32 v[18:19], v[2:3], v[18:19]
	v_max3_f32 v40, |v16|, s46, |v17|
	s_waitcnt vmcnt(2)
	v_pk_mul_f32 v[20:21], v[4:5], v[20:21]
	v_max3_f32 v40, v40, |v18|, |v19|
	v_pk_mul_f32 v[22:23], v[6:7], v[22:23]
	v_max3_f32 v40, v40, |v20|, |v21|
	s_waitcnt vmcnt(1)
	v_pk_mul_f32 v[24:25], v[8:9], v[24:25]
	v_max3_f32 v40, v40, |v22|, |v23|
	v_pk_mul_f32 v[26:27], v[10:11], v[26:27]
	v_max3_f32 v40, v40, |v24|, |v25|
	;; [unrolled: 5-line block ×3, first 2 shown]
	v_max3_f32 v40, v40, |v30|, |v31|
	s_nop 1
	v_mov_b32_dpp v41, v40 quad_perm:[1,0,3,2] row_mask:0xf bank_mask:0xf
	v_cmp_gt_f32_e64 s[4:5], v40, v41
	v_cndmask_b32_e64 v40, v41, v40, s[4:5]
	s_nop 1
	v_mov_b32_dpp v41, v40 quad_perm:[2,3,0,1] row_mask:0xf bank_mask:0xf
	v_cmp_gt_f32_e64 s[4:5], v40, v41
	v_cndmask_b32_e64 v40, v41, v40, s[4:5]
	s_nop 1
	v_mov_b32_dpp v41, v40 row_half_mirror row_mask:0xf bank_mask:0xf
	v_cmp_gt_f32_e64 s[4:5], v40, v41
	v_cndmask_b32_e64 v40, v41, v40, s[4:5]
	s_nop 1
	v_mov_b32_dpp v41, v40 row_mirror row_mask:0xf bank_mask:0xf
	v_cmp_gt_f32_e64 s[4:5], v40, v41
	v_cndmask_b32_e64 v40, v41, v40, s[4:5]
	s_nop 1
	v_mov_b32_dpp v41, v40 row_bcast:15 row_mask:0xf bank_mask:0xf
	v_cmp_gt_f32_e64 s[4:5], v40, v41
	v_cndmask_b32_e64 v40, v41, v40, s[4:5]
	s_nop 1
	v_mov_b32_dpp v41, v40 row_bcast:31 row_mask:0xf bank_mask:0xf
	s_and_saveexec_b64 s[28:29], s[0:1]
	s_cbranch_execz .LBB111_31
; %bb.30:                               ;   in Loop: Header=BB111_24 Depth=1
	v_cmp_gt_f32_e64 s[4:5], v40, v41
	v_cndmask_b32_e64 v40, v41, v40, s[4:5]
	ds_write_b32 v34, v40
.LBB111_31:                             ;   in Loop: Header=BB111_24 Depth=1
	s_or_b64 exec, exec, s[28:29]
	s_waitcnt lgkmcnt(0)
	s_barrier
	ds_read_b32 v40, v35
	s_waitcnt lgkmcnt(0)
	s_nop 0
	v_mov_b32_dpp v41, v40 quad_perm:[1,0,3,2] row_mask:0xf bank_mask:0xf
	v_cmp_gt_f32_e64 s[4:5], v40, v41
	v_cndmask_b32_e64 v40, v41, v40, s[4:5]
	s_nop 1
	v_mov_b32_dpp v41, v40 quad_perm:[2,3,0,1] row_mask:0xf bank_mask:0xf
	v_cmp_gt_f32_e64 s[4:5], v40, v41
	v_cndmask_b32_e64 v40, v41, v40, s[4:5]
	s_mul_hi_u32 s5, s36, s47
	s_mul_i32 s7, s5, s44
	s_sub_i32 s7, s36, s7
	s_xor_b32 s4, s37, s45
	s_add_i32 s28, s5, 1
	s_sub_i32 s29, s7, s44
	s_cmp_ge_u32 s7, s44
	s_cselect_b32 s5, s28, s5
	s_cselect_b32 s7, s29, s7
	s_add_i32 s28, s5, 1
	s_cmp_ge_u32 s7, s44
	s_cselect_b32 s5, s28, s5
	s_xor_b32 s5, s5, s4
	s_sub_i32 s4, s5, s4
	s_mul_i32 s5, s4, s9
	s_sub_i32 s5, s27, s5
	s_mul_i32 s5, s5, s14
	s_mul_i32 s4, s4, s13
	v_mul_f32_e32 v40, 0x3c010204, v40
	s_add_i32 s28, s5, s4
	s_and_saveexec_b64 s[4:5], vcc
	s_cbranch_execz .LBB111_33
; %bb.32:                               ;   in Loop: Header=BB111_24 Depth=1
	s_ashr_i32 s29, s28, 31
	s_lshl_b64 s[36:37], s[28:29], 2
	s_add_u32 s36, s18, s36
	s_addc_u32 s37, s19, s37
	global_store_dword v39, v40, s[36:37]
.LBB111_33:                             ;   in Loop: Header=BB111_24 Depth=1
	s_or_b64 exec, exec, s[4:5]
	s_and_saveexec_b64 s[4:5], s[2:3]
	s_cbranch_execz .LBB111_22
; %bb.34:                               ;   in Loop: Header=BB111_24 Depth=1
	v_rcp_f32_e32 v40, v40
	s_mul_i32 s27, s28, s15
	s_mul_hi_i32 s7, s28, s15
	s_add_u32 s36, s16, s27
	v_mov_b32_e32 v41, v40
	;;#ASMSTART
	v_pk_mul_f32 v[16:17], v[16:17], v[40:41]
	;;#ASMEND
	v_cvt_i32_f32_e32 v42, v16
	v_cvt_i32_f32_sdwa v43, v17 dst_sel:BYTE_1 dst_unused:UNUSED_PAD src0_sel:DWORD
	;;#ASMSTART
	v_pk_mul_f32 v[16:17], v[18:19], v[40:41]
	;;#ASMEND
	v_cvt_i32_f32_e32 v18, v16
	v_cvt_i32_f32_sdwa v19, v17 dst_sel:BYTE_1 dst_unused:UNUSED_PAD src0_sel:DWORD
	;; [unrolled: 5-line block ×8, first 2 shown]
	v_or_b32_sdwa v16, v42, v43 dst_sel:DWORD dst_unused:UNUSED_PAD src0_sel:BYTE_0 src1_sel:DWORD
	v_or_b32_sdwa v17, v18, v19 dst_sel:WORD_1 dst_unused:UNUSED_PAD src0_sel:BYTE_0 src1_sel:DWORD
	v_or_b32_sdwa v16, v16, v17 dst_sel:DWORD dst_unused:UNUSED_PAD src0_sel:WORD_0 src1_sel:DWORD
	v_or_b32_sdwa v17, v20, v21 dst_sel:DWORD dst_unused:UNUSED_PAD src0_sel:BYTE_0 src1_sel:DWORD
	v_or_b32_sdwa v18, v22, v23 dst_sel:WORD_1 dst_unused:UNUSED_PAD src0_sel:BYTE_0 src1_sel:DWORD
	v_or_b32_sdwa v17, v17, v18 dst_sel:DWORD dst_unused:UNUSED_PAD src0_sel:WORD_0 src1_sel:DWORD
	v_or_b32_sdwa v18, v24, v25 dst_sel:DWORD dst_unused:UNUSED_PAD src0_sel:BYTE_0 src1_sel:DWORD
	v_or_b32_sdwa v19, v26, v27 dst_sel:WORD_1 dst_unused:UNUSED_PAD src0_sel:BYTE_0 src1_sel:DWORD
	s_addc_u32 s7, s17, s7
	v_or_b32_sdwa v18, v18, v19 dst_sel:DWORD dst_unused:UNUSED_PAD src0_sel:WORD_0 src1_sel:DWORD
	v_or_b32_sdwa v19, v28, v29 dst_sel:DWORD dst_unused:UNUSED_PAD src0_sel:BYTE_0 src1_sel:DWORD
	v_or_b32_sdwa v20, v30, v31 dst_sel:WORD_1 dst_unused:UNUSED_PAD src0_sel:BYTE_0 src1_sel:DWORD
	s_and_b32 s37, s7, 0xffff
	s_mov_b32 s39, s31
	v_or_b32_sdwa v19, v19, v20 dst_sel:DWORD dst_unused:UNUSED_PAD src0_sel:WORD_0 src1_sel:DWORD
	buffer_store_dwordx4 v[16:19], v36, s[36:39], 0 offen
	;;#ASMSTART
	s_nop 0
	;;#ASMEND
	s_branch .LBB111_22
.LBB111_35:
	s_endpgm
	.section	.rodata,"a",@progbits
	.p2align	6, 0x0
	.amdhsa_kernel _ZN5aiter36smooth_per_token_scaled_quant_kernelItaLi256ELi16ELb1ELb1ELb1ELi1024EEEvPT0_PfPT_S3_PiS6_iiPKiiiiiiiii
		.amdhsa_group_segment_fixed_size 4112
		.amdhsa_private_segment_fixed_size 0
		.amdhsa_kernarg_size 96
		.amdhsa_user_sgpr_count 6
		.amdhsa_user_sgpr_private_segment_buffer 1
		.amdhsa_user_sgpr_dispatch_ptr 0
		.amdhsa_user_sgpr_queue_ptr 0
		.amdhsa_user_sgpr_kernarg_segment_ptr 1
		.amdhsa_user_sgpr_dispatch_id 0
		.amdhsa_user_sgpr_flat_scratch_init 0
		.amdhsa_user_sgpr_kernarg_preload_length 0
		.amdhsa_user_sgpr_kernarg_preload_offset 0
		.amdhsa_user_sgpr_private_segment_size 0
		.amdhsa_uses_dynamic_stack 0
		.amdhsa_system_sgpr_private_segment_wavefront_offset 0
		.amdhsa_system_sgpr_workgroup_id_x 1
		.amdhsa_system_sgpr_workgroup_id_y 0
		.amdhsa_system_sgpr_workgroup_id_z 0
		.amdhsa_system_sgpr_workgroup_info 0
		.amdhsa_system_vgpr_workitem_id 0
		.amdhsa_next_free_vgpr 44
		.amdhsa_next_free_sgpr 48
		.amdhsa_accum_offset 44
		.amdhsa_reserve_vcc 1
		.amdhsa_reserve_flat_scratch 0
		.amdhsa_float_round_mode_32 0
		.amdhsa_float_round_mode_16_64 0
		.amdhsa_float_denorm_mode_32 3
		.amdhsa_float_denorm_mode_16_64 3
		.amdhsa_dx10_clamp 1
		.amdhsa_ieee_mode 1
		.amdhsa_fp16_overflow 0
		.amdhsa_tg_split 0
		.amdhsa_exception_fp_ieee_invalid_op 0
		.amdhsa_exception_fp_denorm_src 0
		.amdhsa_exception_fp_ieee_div_zero 0
		.amdhsa_exception_fp_ieee_overflow 0
		.amdhsa_exception_fp_ieee_underflow 0
		.amdhsa_exception_fp_ieee_inexact 0
		.amdhsa_exception_int_div_zero 0
	.end_amdhsa_kernel
	.section	.text._ZN5aiter36smooth_per_token_scaled_quant_kernelItaLi256ELi16ELb1ELb1ELb1ELi1024EEEvPT0_PfPT_S3_PiS6_iiPKiiiiiiiii,"axG",@progbits,_ZN5aiter36smooth_per_token_scaled_quant_kernelItaLi256ELi16ELb1ELb1ELb1ELi1024EEEvPT0_PfPT_S3_PiS6_iiPKiiiiiiiii,comdat
.Lfunc_end111:
	.size	_ZN5aiter36smooth_per_token_scaled_quant_kernelItaLi256ELi16ELb1ELb1ELb1ELi1024EEEvPT0_PfPT_S3_PiS6_iiPKiiiiiiiii, .Lfunc_end111-_ZN5aiter36smooth_per_token_scaled_quant_kernelItaLi256ELi16ELb1ELb1ELb1ELi1024EEEvPT0_PfPT_S3_PiS6_iiPKiiiiiiiii
                                        ; -- End function
	.section	.AMDGPU.csdata,"",@progbits
; Kernel info:
; codeLenInByte = 3352
; NumSgprs: 52
; NumVgprs: 44
; NumAgprs: 0
; TotalNumVgprs: 44
; ScratchSize: 0
; MemoryBound: 0
; FloatMode: 240
; IeeeMode: 1
; LDSByteSize: 4112 bytes/workgroup (compile time only)
; SGPRBlocks: 6
; VGPRBlocks: 5
; NumSGPRsForWavesPerEU: 52
; NumVGPRsForWavesPerEU: 44
; AccumOffset: 44
; Occupancy: 8
; WaveLimiterHint : 0
; COMPUTE_PGM_RSRC2:SCRATCH_EN: 0
; COMPUTE_PGM_RSRC2:USER_SGPR: 6
; COMPUTE_PGM_RSRC2:TRAP_HANDLER: 0
; COMPUTE_PGM_RSRC2:TGID_X_EN: 1
; COMPUTE_PGM_RSRC2:TGID_Y_EN: 0
; COMPUTE_PGM_RSRC2:TGID_Z_EN: 0
; COMPUTE_PGM_RSRC2:TIDIG_COMP_CNT: 0
; COMPUTE_PGM_RSRC3_GFX90A:ACCUM_OFFSET: 10
; COMPUTE_PGM_RSRC3_GFX90A:TG_SPLIT: 0
	.section	.text._ZN5aiter36smooth_per_token_scaled_quant_kernelIDF16_aLi256ELi16ELb1ELb1ELb0ELi1024EEEvPT0_PfPT_S3_PiS6_iiPKiiiiiiiii,"axG",@progbits,_ZN5aiter36smooth_per_token_scaled_quant_kernelIDF16_aLi256ELi16ELb1ELb1ELb0ELi1024EEEvPT0_PfPT_S3_PiS6_iiPKiiiiiiiii,comdat
	.protected	_ZN5aiter36smooth_per_token_scaled_quant_kernelIDF16_aLi256ELi16ELb1ELb1ELb0ELi1024EEEvPT0_PfPT_S3_PiS6_iiPKiiiiiiiii ; -- Begin function _ZN5aiter36smooth_per_token_scaled_quant_kernelIDF16_aLi256ELi16ELb1ELb1ELb0ELi1024EEEvPT0_PfPT_S3_PiS6_iiPKiiiiiiiii
	.globl	_ZN5aiter36smooth_per_token_scaled_quant_kernelIDF16_aLi256ELi16ELb1ELb1ELb0ELi1024EEEvPT0_PfPT_S3_PiS6_iiPKiiiiiiiii
	.p2align	8
	.type	_ZN5aiter36smooth_per_token_scaled_quant_kernelIDF16_aLi256ELi16ELb1ELb1ELb0ELi1024EEEvPT0_PfPT_S3_PiS6_iiPKiiiiiiiii,@function
_ZN5aiter36smooth_per_token_scaled_quant_kernelIDF16_aLi256ELi16ELb1ELb1ELb0ELi1024EEEvPT0_PfPT_S3_PiS6_iiPKiiiiiiiii: ; @_ZN5aiter36smooth_per_token_scaled_quant_kernelIDF16_aLi256ELi16ELb1ELb1ELb0ELi1024EEEvPT0_PfPT_S3_PiS6_iiPKiiiiiiiii
; %bb.0:
	s_load_dwordx2 s[2:3], s[4:5], 0x38
	s_load_dwordx8 s[8:15], s[4:5], 0x40
	s_mov_b64 s[0:1], 0
	s_waitcnt lgkmcnt(0)
	s_cmp_lg_u64 s[2:3], 0
	s_cbranch_scc0 .LBB112_11
; %bb.1:
	s_load_dword s2, s[2:3], 0x0
	s_waitcnt lgkmcnt(0)
	s_mul_i32 s2, s2, s8
	s_andn2_b64 vcc, exec, s[0:1]
	s_cbranch_vccnz .LBB112_3
.LBB112_2:
	s_mul_i32 s2, s10, s9
.LBB112_3:
	s_load_dwordx2 s[34:35], s[4:5], 0x30
	s_abs_i32 s1, s2
	s_waitcnt lgkmcnt(0)
	s_abs_i32 s0, s34
	v_cvt_f32_u32_e32 v1, s0
	s_sub_i32 s7, 0, s0
	s_xor_b32 s3, s2, s34
	s_ashr_i32 s3, s3, 31
	v_rcp_iflag_f32_e32 v1, v1
	v_mul_f32_e32 v1, 0x4f7ffffe, v1
	v_cvt_u32_f32_e32 v1, v1
	v_readfirstlane_b32 s8, v1
	s_mul_i32 s7, s7, s8
	s_mul_hi_u32 s7, s8, s7
	s_add_i32 s8, s8, s7
	s_mul_hi_u32 s7, s1, s8
	s_mul_i32 s8, s7, s0
	s_sub_i32 s1, s1, s8
	s_add_i32 s15, s7, 1
	s_sub_i32 s8, s1, s0
	s_cmp_ge_u32 s1, s0
	s_cselect_b32 s7, s15, s7
	s_cselect_b32 s1, s8, s1
	s_add_i32 s8, s7, 1
	s_cmp_ge_u32 s1, s0
	s_cselect_b32 s0, s8, s7
	s_xor_b32 s0, s0, s3
	s_sub_i32 s8, s0, s3
	s_mul_i32 s0, s8, s34
	s_sub_i32 s2, s2, s0
	s_cmp_lt_u32 s6, s2
	s_cselect_b64 s[0:1], -1, 0
	s_add_i32 s7, s8, 1
	s_cmp_ge_u32 s6, s2
	s_cbranch_scc0 .LBB112_5
; %bb.4:
	s_mul_i32 s3, s2, s7
	s_sub_i32 s2, s6, s2
	s_mul_i32 s2, s2, s8
	s_add_i32 s40, s2, s3
	s_cbranch_execz .LBB112_6
	s_branch .LBB112_7
.LBB112_5:
                                        ; implicit-def: $sgpr40
.LBB112_6:
	s_mul_i32 s40, s7, s6
.LBB112_7:
	v_cndmask_b32_e64 v1, 0, 1, s[0:1]
	v_readfirstlane_b32 s0, v1
	s_add_i32 s8, s8, s0
	s_cmp_lt_i32 s8, 1
	s_cbranch_scc1 .LBB112_35
; %bb.8:
	s_load_dwordx2 s[0:1], s[4:5], 0x20
	s_ashr_i32 s41, s40, 31
	s_lshl_b64 s[2:3], s[40:41], 2
	v_and_b32_e32 v1, 63, v0
	s_mov_b32 s27, 0x20000
	s_waitcnt lgkmcnt(0)
	s_add_u32 s24, s0, s2
	s_addc_u32 s0, s1, s3
	s_lshl_b32 s26, s8, 2
	s_and_b32 s25, s0, 0xffff
	v_lshlrev_b32_e32 v38, 2, v1
	buffer_load_dword v33, v38, s[24:27], 0 offen
	v_cmp_eq_u32_e32 vcc, 63, v1
	v_lshrrev_b32_e32 v1, 4, v0
	v_and_b32_e32 v35, 60, v1
	v_and_b32_e32 v1, 3, v0
	s_abs_i32 s33, s10
	v_lshlrev_b32_e32 v36, 2, v1
	v_cvt_f32_u32_e32 v1, s33
	s_add_i32 s2, s35, 15
	s_ashr_i32 s3, s2, 31
	s_lshr_b32 s3, s3, 28
	v_rcp_iflag_f32_e32 v1, v1
	s_add_i32 s2, s2, s3
	s_ashr_i32 s2, s2, 4
	v_lshlrev_b32_e32 v32, 5, v0
	v_lshlrev_b32_e32 v34, 6, v0
	v_cmp_eq_u32_e64 s[0:1], 0, v0
	v_cmp_gt_u32_e64 s[2:3], s2, v0
	v_lshlrev_b32_e32 v37, 4, v0
	v_mul_f32_e32 v0, 0x4f7ffffe, v1
	s_load_dwordx8 s[16:23], s[4:5], 0x0
	s_add_i32 s4, s35, 3
	v_cvt_u32_f32_e32 v0, v0
	s_ashr_i32 s5, s4, 31
	s_lshr_b32 s5, s5, 30
	s_add_i32 s4, s4, s5
	s_and_b32 s38, s4, -4
	s_sub_i32 s4, 0, s33
	v_readfirstlane_b32 s42, v0
	s_mul_i32 s4, s4, s42
	s_mul_hi_u32 s4, s42, s4
	s_lshl_b32 s6, s35, 1
	s_lshl_b32 s30, s35, 2
	s_ashr_i32 s34, s10, 31
	s_add_i32 s42, s42, s4
	s_mov_b32 s15, s35
	s_waitcnt vmcnt(0) lgkmcnt(0)
	s_barrier
	v_readlane_b32 s28, v33, 0
	s_cmp_lt_i32 s28, 0
	s_cbranch_scc1 .LBB112_12
; %bb.9:
	s_abs_i32 s27, s40
	s_mul_hi_u32 s4, s27, s42
	s_mul_i32 s7, s4, s33
	s_sub_i32 s7, s27, s7
	s_xor_b32 s5, s41, s34
	s_add_i32 s29, s4, 1
	s_sub_i32 s31, s7, s33
	s_cmp_ge_u32 s7, s33
	s_cselect_b32 s4, s29, s4
	s_cselect_b32 s7, s31, s7
	s_add_i32 s29, s4, 1
	s_cmp_ge_u32 s7, s33
	s_cselect_b32 s4, s29, s4
	s_xor_b32 s4, s4, s5
	s_sub_i32 s4, s4, s5
	s_mul_i32 s5, s4, s10
	s_sub_i32 s5, s40, s5
	s_mul_i32 s5, s5, s12
	s_mul_i32 s4, s4, s11
	s_add_i32 s43, s5, s4
	s_cmp_eq_u32 s43, -1
	s_cbranch_scc1 .LBB112_13
; %bb.10:
	s_mul_hi_i32 s5, s43, s15
	s_mul_i32 s4, s43, s15
	s_lshl_b64 s[4:5], s[4:5], 1
	s_add_u32 s4, s20, s4
	s_addc_u32 s5, s21, s5
	s_and_b32 s5, s5, 0xffff
	s_mov_b32 s7, 0x20000
	buffer_load_dwordx4 v[4:7], v32, s[4:7], 0 offen
	buffer_load_dwordx4 v[12:15], v32, s[4:7], 16 offen
	s_waitcnt vmcnt(1)
	v_cvt_f32_f16_e32 v0, v4
	v_cvt_f32_f16_sdwa v1, v4 dst_sel:DWORD dst_unused:UNUSED_PAD src0_sel:WORD_1
	v_cvt_f32_f16_e32 v2, v5
	v_cvt_f32_f16_sdwa v3, v5 dst_sel:DWORD dst_unused:UNUSED_PAD src0_sel:WORD_1
	;; [unrolled: 2-line block ×4, first 2 shown]
	s_waitcnt vmcnt(0)
	v_cvt_f32_f16_e32 v8, v12
	v_cvt_f32_f16_sdwa v9, v12 dst_sel:DWORD dst_unused:UNUSED_PAD src0_sel:WORD_1
	v_cvt_f32_f16_e32 v10, v13
	v_cvt_f32_f16_sdwa v11, v13 dst_sel:DWORD dst_unused:UNUSED_PAD src0_sel:WORD_1
	;; [unrolled: 2-line block ×4, first 2 shown]
	s_branch .LBB112_14
.LBB112_11:
                                        ; implicit-def: $sgpr2
	s_branch .LBB112_2
.LBB112_12:
	s_mov_b32 s43, -1
                                        ; implicit-def: $vgpr0_vgpr1_vgpr2_vgpr3_vgpr4_vgpr5_vgpr6_vgpr7_vgpr8_vgpr9_vgpr10_vgpr11_vgpr12_vgpr13_vgpr14_vgpr15
	s_cmp_eq_u32 s8, 1
	s_mov_b32 s41, 1
	s_cbranch_scc0 .LBB112_21
	s_branch .LBB112_35
.LBB112_13:
                                        ; implicit-def: $vgpr0_vgpr1_vgpr2_vgpr3_vgpr4_vgpr5_vgpr6_vgpr7_vgpr8_vgpr9_vgpr10_vgpr11_vgpr12_vgpr13_vgpr14_vgpr15
.LBB112_14:
	s_mul_i32 s4, s28, s35
	s_ashr_i32 s5, s4, 31
	s_lshl_b64 s[4:5], s[4:5], 2
	s_add_u32 s28, s22, s4
	s_addc_u32 s4, s23, s5
	s_and_b32 s29, s4, 0xffff
	s_mov_b32 s31, 0x20000
	buffer_load_dwordx4 v[16:19], v34, s[28:31], 0 offen
	buffer_load_dwordx4 v[20:23], v34, s[28:31], 16 offen
	;; [unrolled: 1-line block ×4, first 2 shown]
	s_mov_b32 s4, 0x2edbe6ff
	s_waitcnt vmcnt(3)
	v_pk_mul_f32 v[16:17], v[0:1], v[16:17]
	v_pk_mul_f32 v[18:19], v[2:3], v[18:19]
	v_max3_f32 v39, |v16|, s4, |v17|
	s_waitcnt vmcnt(2)
	v_pk_mul_f32 v[20:21], v[4:5], v[20:21]
	v_max3_f32 v39, v39, |v18|, |v19|
	v_pk_mul_f32 v[22:23], v[6:7], v[22:23]
	v_max3_f32 v39, v39, |v20|, |v21|
	s_waitcnt vmcnt(1)
	v_pk_mul_f32 v[24:25], v[8:9], v[24:25]
	v_max3_f32 v39, v39, |v22|, |v23|
	v_pk_mul_f32 v[26:27], v[10:11], v[26:27]
	v_max3_f32 v39, v39, |v24|, |v25|
	;; [unrolled: 5-line block ×3, first 2 shown]
	v_max3_f32 v39, v39, |v30|, |v31|
	s_nop 1
	v_mov_b32_dpp v40, v39 quad_perm:[1,0,3,2] row_mask:0xf bank_mask:0xf
	v_cmp_gt_f32_e64 s[4:5], v39, v40
	v_cndmask_b32_e64 v39, v40, v39, s[4:5]
	s_nop 1
	v_mov_b32_dpp v40, v39 quad_perm:[2,3,0,1] row_mask:0xf bank_mask:0xf
	v_cmp_gt_f32_e64 s[4:5], v39, v40
	v_cndmask_b32_e64 v39, v40, v39, s[4:5]
	s_nop 1
	v_mov_b32_dpp v40, v39 row_half_mirror row_mask:0xf bank_mask:0xf
	v_cmp_gt_f32_e64 s[4:5], v39, v40
	v_cndmask_b32_e64 v39, v40, v39, s[4:5]
	s_nop 1
	v_mov_b32_dpp v40, v39 row_mirror row_mask:0xf bank_mask:0xf
	v_cmp_gt_f32_e64 s[4:5], v39, v40
	v_cndmask_b32_e64 v39, v40, v39, s[4:5]
	s_nop 1
	v_mov_b32_dpp v40, v39 row_bcast:15 row_mask:0xf bank_mask:0xf
	v_cmp_gt_f32_e64 s[4:5], v39, v40
	v_cndmask_b32_e64 v39, v40, v39, s[4:5]
	s_nop 1
	v_mov_b32_dpp v40, v39 row_bcast:31 row_mask:0xf bank_mask:0xf
	s_and_saveexec_b64 s[28:29], vcc
	s_cbranch_execz .LBB112_16
; %bb.15:
	v_cmp_gt_f32_e64 s[4:5], v39, v40
	v_cndmask_b32_e64 v39, v40, v39, s[4:5]
	ds_write_b32 v35, v39
.LBB112_16:
	s_or_b64 exec, exec, s[28:29]
	s_waitcnt lgkmcnt(0)
	s_barrier
	ds_read_b32 v39, v36
	s_abs_i32 s7, s9
	v_cvt_f32_u32_e32 v41, s7
	s_waitcnt lgkmcnt(0)
	v_mov_b32_dpp v40, v39 quad_perm:[1,0,3,2] row_mask:0xf bank_mask:0xf
	v_cmp_gt_f32_e64 s[4:5], v39, v40
	v_rcp_iflag_f32_e32 v41, v41
	v_cndmask_b32_e64 v39, v40, v39, s[4:5]
	s_nop 1
	v_mov_b32_dpp v40, v39 quad_perm:[2,3,0,1] row_mask:0xf bank_mask:0xf
	v_cmp_gt_f32_e64 s[4:5], v39, v40
	v_cndmask_b32_e64 v39, v40, v39, s[4:5]
	v_mul_f32_e32 v40, 0x4f7ffffe, v41
	v_cvt_u32_f32_e32 v40, v40
	s_sub_i32 s5, 0, s7
	s_ashr_i32 s4, s9, 31
	s_xor_b32 s4, s41, s4
	v_readfirstlane_b32 s28, v40
	s_mul_i32 s5, s5, s28
	s_mul_hi_u32 s5, s28, s5
	s_add_i32 s28, s28, s5
	s_mul_hi_u32 s5, s27, s28
	s_mul_i32 s28, s5, s7
	s_sub_i32 s27, s27, s28
	s_add_i32 s28, s5, 1
	s_sub_i32 s29, s27, s7
	s_cmp_ge_u32 s27, s7
	s_cselect_b32 s5, s28, s5
	s_cselect_b32 s27, s29, s27
	s_add_i32 s28, s5, 1
	s_cmp_ge_u32 s27, s7
	s_cselect_b32 s5, s28, s5
	s_xor_b32 s5, s5, s4
	s_sub_i32 s4, s5, s4
	s_mul_i32 s5, s4, s9
	s_sub_i32 s5, s40, s5
	s_mul_i32 s5, s5, s14
	s_mul_i32 s4, s4, s13
	v_mul_f32_e32 v39, 0x3c010204, v39
	s_add_i32 s28, s5, s4
	s_and_saveexec_b64 s[4:5], s[0:1]
	s_cbranch_execz .LBB112_18
; %bb.17:
	s_ashr_i32 s29, s28, 31
	s_lshl_b64 s[36:37], s[28:29], 2
	s_add_u32 s36, s18, s36
	s_addc_u32 s37, s19, s37
	v_mov_b32_e32 v40, 0
	global_store_dword v40, v39, s[36:37]
.LBB112_18:
	s_or_b64 exec, exec, s[4:5]
	s_and_saveexec_b64 s[4:5], s[2:3]
	s_cbranch_execz .LBB112_20
; %bb.19:
	v_rcp_f32_e32 v40, v39
	s_mul_i32 s27, s28, s15
	s_mul_hi_i32 s7, s28, s15
	s_add_u32 s36, s16, s27
	v_mov_b32_e32 v41, v40
	;;#ASMSTART
	v_pk_mul_f32 v[16:17], v[16:17], v[40:41]
	;;#ASMEND
	v_cvt_i32_f32_e32 v39, v16
	v_cvt_i32_f32_sdwa v42, v17 dst_sel:BYTE_1 dst_unused:UNUSED_PAD src0_sel:DWORD
	;;#ASMSTART
	v_pk_mul_f32 v[16:17], v[18:19], v[40:41]
	;;#ASMEND
	v_cvt_i32_f32_e32 v18, v16
	v_cvt_i32_f32_sdwa v19, v17 dst_sel:BYTE_1 dst_unused:UNUSED_PAD src0_sel:DWORD
	;; [unrolled: 5-line block ×8, first 2 shown]
	v_or_b32_sdwa v16, v39, v42 dst_sel:DWORD dst_unused:UNUSED_PAD src0_sel:BYTE_0 src1_sel:DWORD
	v_or_b32_sdwa v17, v18, v19 dst_sel:WORD_1 dst_unused:UNUSED_PAD src0_sel:BYTE_0 src1_sel:DWORD
	v_or_b32_sdwa v16, v16, v17 dst_sel:DWORD dst_unused:UNUSED_PAD src0_sel:WORD_0 src1_sel:DWORD
	v_or_b32_sdwa v17, v20, v21 dst_sel:DWORD dst_unused:UNUSED_PAD src0_sel:BYTE_0 src1_sel:DWORD
	v_or_b32_sdwa v18, v22, v23 dst_sel:WORD_1 dst_unused:UNUSED_PAD src0_sel:BYTE_0 src1_sel:DWORD
	v_or_b32_sdwa v17, v17, v18 dst_sel:DWORD dst_unused:UNUSED_PAD src0_sel:WORD_0 src1_sel:DWORD
	v_or_b32_sdwa v18, v24, v25 dst_sel:DWORD dst_unused:UNUSED_PAD src0_sel:BYTE_0 src1_sel:DWORD
	v_or_b32_sdwa v19, v26, v27 dst_sel:WORD_1 dst_unused:UNUSED_PAD src0_sel:BYTE_0 src1_sel:DWORD
	s_addc_u32 s7, s17, s7
	v_or_b32_sdwa v18, v18, v19 dst_sel:DWORD dst_unused:UNUSED_PAD src0_sel:WORD_0 src1_sel:DWORD
	v_or_b32_sdwa v19, v28, v29 dst_sel:DWORD dst_unused:UNUSED_PAD src0_sel:BYTE_0 src1_sel:DWORD
	v_or_b32_sdwa v20, v30, v31 dst_sel:WORD_1 dst_unused:UNUSED_PAD src0_sel:BYTE_0 src1_sel:DWORD
	s_and_b32 s37, s7, 0xffff
	s_mov_b32 s39, 0x20000
	v_or_b32_sdwa v19, v19, v20 dst_sel:DWORD dst_unused:UNUSED_PAD src0_sel:WORD_0 src1_sel:DWORD
	buffer_store_dwordx4 v[16:19], v37, s[36:39], 0 offen
	;;#ASMSTART
	s_nop 0
	;;#ASMEND
.LBB112_20:
	s_or_b64 exec, exec, s[4:5]
	s_cmp_eq_u32 s8, 1
	s_mov_b32 s41, 1
	s_cbranch_scc1 .LBB112_35
.LBB112_21:
	s_abs_i32 s44, s9
	v_cvt_f32_u32_e32 v16, s44
	s_sub_i32 s4, 0, s44
	s_ashr_i32 s45, s9, 31
	v_add_u32_e32 v38, 4, v38
	v_rcp_iflag_f32_e32 v16, v16
	s_mov_b32 s31, 0x20000
	s_mov_b32 s46, 0x2edbe6ff
	v_mov_b32_e32 v39, 0
	v_mul_f32_e32 v16, 0x4f7ffffe, v16
	v_cvt_u32_f32_e32 v16, v16
	v_readfirstlane_b32 s5, v16
	s_mul_i32 s4, s4, s5
	s_mul_hi_u32 s4, s5, s4
	s_add_i32 s47, s5, s4
	s_branch .LBB112_24
.LBB112_22:                             ;   in Loop: Header=BB112_24 Depth=1
	s_or_b64 exec, exec, s[4:5]
.LBB112_23:                             ;   in Loop: Header=BB112_24 Depth=1
	s_add_i32 s41, s41, 1
	s_cmp_eq_u32 s8, s41
	v_add_u32_e32 v38, 4, v38
	s_cbranch_scc1 .LBB112_35
.LBB112_24:                             ; =>This Inner Loop Header: Depth=1
	s_and_b32 s4, s41, 63
	s_cmp_lg_u32 s4, 0
	s_cbranch_scc1 .LBB112_26
; %bb.25:                               ;   in Loop: Header=BB112_24 Depth=1
	s_mov_b32 s27, s31
	buffer_load_dword v33, v38, s[24:27], 0 offen
	s_waitcnt vmcnt(0)
.LBB112_26:                             ;   in Loop: Header=BB112_24 Depth=1
	v_readlane_b32 s28, v33, s4
	s_cmp_lt_i32 s28, 0
	s_cbranch_scc1 .LBB112_23
; %bb.27:                               ;   in Loop: Header=BB112_24 Depth=1
	s_add_i32 s27, s40, s41
	s_abs_i32 s36, s27
	s_mul_hi_u32 s5, s36, s42
	s_mul_i32 s7, s5, s33
	s_ashr_i32 s37, s27, 31
	s_sub_i32 s7, s36, s7
	s_xor_b32 s4, s37, s34
	s_add_i32 s29, s5, 1
	s_sub_i32 s39, s7, s33
	s_cmp_ge_u32 s7, s33
	s_cselect_b32 s5, s29, s5
	s_cselect_b32 s7, s39, s7
	s_add_i32 s29, s5, 1
	s_cmp_ge_u32 s7, s33
	s_cselect_b32 s5, s29, s5
	s_xor_b32 s5, s5, s4
	s_sub_i32 s4, s5, s4
	s_mul_i32 s5, s4, s10
	s_sub_i32 s5, s27, s5
	s_mul_i32 s29, s5, s12
	s_mul_i32 s4, s4, s11
	s_add_i32 s29, s29, s4
	s_cmp_eq_u32 s29, s43
	s_cbranch_scc1 .LBB112_29
; %bb.28:                               ;   in Loop: Header=BB112_24 Depth=1
	s_mul_hi_i32 s5, s29, s15
	s_mul_i32 s4, s29, s15
	s_lshl_b64 s[4:5], s[4:5], 1
	s_add_u32 s4, s20, s4
	s_addc_u32 s5, s21, s5
	s_and_b32 s5, s5, 0xffff
	s_mov_b32 s7, s31
	buffer_load_dwordx4 v[4:7], v32, s[4:7], 0 offen
	buffer_load_dwordx4 v[12:15], v32, s[4:7], 16 offen
	s_mov_b32 s43, s29
	s_waitcnt vmcnt(1)
	v_cvt_f32_f16_e32 v0, v4
	v_cvt_f32_f16_sdwa v1, v4 dst_sel:DWORD dst_unused:UNUSED_PAD src0_sel:WORD_1
	v_cvt_f32_f16_e32 v2, v5
	v_cvt_f32_f16_sdwa v3, v5 dst_sel:DWORD dst_unused:UNUSED_PAD src0_sel:WORD_1
	;; [unrolled: 2-line block ×4, first 2 shown]
	s_waitcnt vmcnt(0)
	v_cvt_f32_f16_e32 v8, v12
	v_cvt_f32_f16_sdwa v9, v12 dst_sel:DWORD dst_unused:UNUSED_PAD src0_sel:WORD_1
	v_cvt_f32_f16_e32 v10, v13
	v_cvt_f32_f16_sdwa v11, v13 dst_sel:DWORD dst_unused:UNUSED_PAD src0_sel:WORD_1
	;; [unrolled: 2-line block ×4, first 2 shown]
.LBB112_29:                             ;   in Loop: Header=BB112_24 Depth=1
	s_mul_i32 s4, s28, s35
	s_ashr_i32 s5, s4, 31
	s_lshl_b64 s[4:5], s[4:5], 2
	s_add_u32 s28, s22, s4
	s_addc_u32 s4, s23, s5
	s_and_b32 s29, s4, 0xffff
	buffer_load_dwordx4 v[16:19], v34, s[28:31], 0 offen
	buffer_load_dwordx4 v[20:23], v34, s[28:31], 16 offen
	;; [unrolled: 1-line block ×4, first 2 shown]
	s_waitcnt vmcnt(3)
	v_pk_mul_f32 v[16:17], v[0:1], v[16:17]
	v_pk_mul_f32 v[18:19], v[2:3], v[18:19]
	v_max3_f32 v40, |v16|, s46, |v17|
	s_waitcnt vmcnt(2)
	v_pk_mul_f32 v[20:21], v[4:5], v[20:21]
	v_max3_f32 v40, v40, |v18|, |v19|
	v_pk_mul_f32 v[22:23], v[6:7], v[22:23]
	v_max3_f32 v40, v40, |v20|, |v21|
	s_waitcnt vmcnt(1)
	v_pk_mul_f32 v[24:25], v[8:9], v[24:25]
	v_max3_f32 v40, v40, |v22|, |v23|
	v_pk_mul_f32 v[26:27], v[10:11], v[26:27]
	v_max3_f32 v40, v40, |v24|, |v25|
	;; [unrolled: 5-line block ×3, first 2 shown]
	v_max3_f32 v40, v40, |v30|, |v31|
	s_nop 1
	v_mov_b32_dpp v41, v40 quad_perm:[1,0,3,2] row_mask:0xf bank_mask:0xf
	v_cmp_gt_f32_e64 s[4:5], v40, v41
	v_cndmask_b32_e64 v40, v41, v40, s[4:5]
	s_nop 1
	v_mov_b32_dpp v41, v40 quad_perm:[2,3,0,1] row_mask:0xf bank_mask:0xf
	v_cmp_gt_f32_e64 s[4:5], v40, v41
	v_cndmask_b32_e64 v40, v41, v40, s[4:5]
	s_nop 1
	v_mov_b32_dpp v41, v40 row_half_mirror row_mask:0xf bank_mask:0xf
	v_cmp_gt_f32_e64 s[4:5], v40, v41
	v_cndmask_b32_e64 v40, v41, v40, s[4:5]
	s_nop 1
	v_mov_b32_dpp v41, v40 row_mirror row_mask:0xf bank_mask:0xf
	v_cmp_gt_f32_e64 s[4:5], v40, v41
	v_cndmask_b32_e64 v40, v41, v40, s[4:5]
	s_nop 1
	v_mov_b32_dpp v41, v40 row_bcast:15 row_mask:0xf bank_mask:0xf
	v_cmp_gt_f32_e64 s[4:5], v40, v41
	v_cndmask_b32_e64 v40, v41, v40, s[4:5]
	s_nop 1
	v_mov_b32_dpp v41, v40 row_bcast:31 row_mask:0xf bank_mask:0xf
	s_and_saveexec_b64 s[28:29], vcc
	s_cbranch_execz .LBB112_31
; %bb.30:                               ;   in Loop: Header=BB112_24 Depth=1
	v_cmp_gt_f32_e64 s[4:5], v40, v41
	v_cndmask_b32_e64 v40, v41, v40, s[4:5]
	ds_write_b32 v35, v40
.LBB112_31:                             ;   in Loop: Header=BB112_24 Depth=1
	s_or_b64 exec, exec, s[28:29]
	s_waitcnt lgkmcnt(0)
	s_barrier
	ds_read_b32 v40, v36
	s_waitcnt lgkmcnt(0)
	s_nop 0
	v_mov_b32_dpp v41, v40 quad_perm:[1,0,3,2] row_mask:0xf bank_mask:0xf
	v_cmp_gt_f32_e64 s[4:5], v40, v41
	v_cndmask_b32_e64 v40, v41, v40, s[4:5]
	s_nop 1
	v_mov_b32_dpp v41, v40 quad_perm:[2,3,0,1] row_mask:0xf bank_mask:0xf
	v_cmp_gt_f32_e64 s[4:5], v40, v41
	v_cndmask_b32_e64 v40, v41, v40, s[4:5]
	s_mul_hi_u32 s5, s36, s47
	s_mul_i32 s7, s5, s44
	s_sub_i32 s7, s36, s7
	s_xor_b32 s4, s37, s45
	s_add_i32 s28, s5, 1
	s_sub_i32 s29, s7, s44
	s_cmp_ge_u32 s7, s44
	s_cselect_b32 s5, s28, s5
	s_cselect_b32 s7, s29, s7
	s_add_i32 s28, s5, 1
	s_cmp_ge_u32 s7, s44
	s_cselect_b32 s5, s28, s5
	s_xor_b32 s5, s5, s4
	s_sub_i32 s4, s5, s4
	s_mul_i32 s5, s4, s9
	s_sub_i32 s5, s27, s5
	s_mul_i32 s5, s5, s14
	s_mul_i32 s4, s4, s13
	v_mul_f32_e32 v40, 0x3c010204, v40
	s_add_i32 s28, s5, s4
	s_and_saveexec_b64 s[4:5], s[0:1]
	s_cbranch_execz .LBB112_33
; %bb.32:                               ;   in Loop: Header=BB112_24 Depth=1
	s_ashr_i32 s29, s28, 31
	s_lshl_b64 s[36:37], s[28:29], 2
	s_add_u32 s36, s18, s36
	s_addc_u32 s37, s19, s37
	global_store_dword v39, v40, s[36:37]
.LBB112_33:                             ;   in Loop: Header=BB112_24 Depth=1
	s_or_b64 exec, exec, s[4:5]
	s_and_saveexec_b64 s[4:5], s[2:3]
	s_cbranch_execz .LBB112_22
; %bb.34:                               ;   in Loop: Header=BB112_24 Depth=1
	v_rcp_f32_e32 v40, v40
	s_mul_i32 s27, s28, s15
	s_mul_hi_i32 s7, s28, s15
	s_add_u32 s36, s16, s27
	v_mov_b32_e32 v41, v40
	;;#ASMSTART
	v_pk_mul_f32 v[16:17], v[16:17], v[40:41]
	;;#ASMEND
	v_cvt_i32_f32_e32 v42, v16
	v_cvt_i32_f32_sdwa v43, v17 dst_sel:BYTE_1 dst_unused:UNUSED_PAD src0_sel:DWORD
	;;#ASMSTART
	v_pk_mul_f32 v[16:17], v[18:19], v[40:41]
	;;#ASMEND
	v_cvt_i32_f32_e32 v18, v16
	v_cvt_i32_f32_sdwa v19, v17 dst_sel:BYTE_1 dst_unused:UNUSED_PAD src0_sel:DWORD
	;; [unrolled: 5-line block ×8, first 2 shown]
	v_or_b32_sdwa v16, v42, v43 dst_sel:DWORD dst_unused:UNUSED_PAD src0_sel:BYTE_0 src1_sel:DWORD
	v_or_b32_sdwa v17, v18, v19 dst_sel:WORD_1 dst_unused:UNUSED_PAD src0_sel:BYTE_0 src1_sel:DWORD
	v_or_b32_sdwa v16, v16, v17 dst_sel:DWORD dst_unused:UNUSED_PAD src0_sel:WORD_0 src1_sel:DWORD
	v_or_b32_sdwa v17, v20, v21 dst_sel:DWORD dst_unused:UNUSED_PAD src0_sel:BYTE_0 src1_sel:DWORD
	v_or_b32_sdwa v18, v22, v23 dst_sel:WORD_1 dst_unused:UNUSED_PAD src0_sel:BYTE_0 src1_sel:DWORD
	v_or_b32_sdwa v17, v17, v18 dst_sel:DWORD dst_unused:UNUSED_PAD src0_sel:WORD_0 src1_sel:DWORD
	v_or_b32_sdwa v18, v24, v25 dst_sel:DWORD dst_unused:UNUSED_PAD src0_sel:BYTE_0 src1_sel:DWORD
	v_or_b32_sdwa v19, v26, v27 dst_sel:WORD_1 dst_unused:UNUSED_PAD src0_sel:BYTE_0 src1_sel:DWORD
	s_addc_u32 s7, s17, s7
	v_or_b32_sdwa v18, v18, v19 dst_sel:DWORD dst_unused:UNUSED_PAD src0_sel:WORD_0 src1_sel:DWORD
	v_or_b32_sdwa v19, v28, v29 dst_sel:DWORD dst_unused:UNUSED_PAD src0_sel:BYTE_0 src1_sel:DWORD
	v_or_b32_sdwa v20, v30, v31 dst_sel:WORD_1 dst_unused:UNUSED_PAD src0_sel:BYTE_0 src1_sel:DWORD
	s_and_b32 s37, s7, 0xffff
	s_mov_b32 s39, s31
	v_or_b32_sdwa v19, v19, v20 dst_sel:DWORD dst_unused:UNUSED_PAD src0_sel:WORD_0 src1_sel:DWORD
	buffer_store_dwordx4 v[16:19], v37, s[36:39], 0 offen
	;;#ASMSTART
	s_nop 0
	;;#ASMEND
	s_branch .LBB112_22
.LBB112_35:
	s_endpgm
	.section	.rodata,"a",@progbits
	.p2align	6, 0x0
	.amdhsa_kernel _ZN5aiter36smooth_per_token_scaled_quant_kernelIDF16_aLi256ELi16ELb1ELb1ELb0ELi1024EEEvPT0_PfPT_S3_PiS6_iiPKiiiiiiiii
		.amdhsa_group_segment_fixed_size 16
		.amdhsa_private_segment_fixed_size 0
		.amdhsa_kernarg_size 96
		.amdhsa_user_sgpr_count 6
		.amdhsa_user_sgpr_private_segment_buffer 1
		.amdhsa_user_sgpr_dispatch_ptr 0
		.amdhsa_user_sgpr_queue_ptr 0
		.amdhsa_user_sgpr_kernarg_segment_ptr 1
		.amdhsa_user_sgpr_dispatch_id 0
		.amdhsa_user_sgpr_flat_scratch_init 0
		.amdhsa_user_sgpr_kernarg_preload_length 0
		.amdhsa_user_sgpr_kernarg_preload_offset 0
		.amdhsa_user_sgpr_private_segment_size 0
		.amdhsa_uses_dynamic_stack 0
		.amdhsa_system_sgpr_private_segment_wavefront_offset 0
		.amdhsa_system_sgpr_workgroup_id_x 1
		.amdhsa_system_sgpr_workgroup_id_y 0
		.amdhsa_system_sgpr_workgroup_id_z 0
		.amdhsa_system_sgpr_workgroup_info 0
		.amdhsa_system_vgpr_workitem_id 0
		.amdhsa_next_free_vgpr 44
		.amdhsa_next_free_sgpr 48
		.amdhsa_accum_offset 44
		.amdhsa_reserve_vcc 1
		.amdhsa_reserve_flat_scratch 0
		.amdhsa_float_round_mode_32 0
		.amdhsa_float_round_mode_16_64 0
		.amdhsa_float_denorm_mode_32 3
		.amdhsa_float_denorm_mode_16_64 3
		.amdhsa_dx10_clamp 1
		.amdhsa_ieee_mode 1
		.amdhsa_fp16_overflow 0
		.amdhsa_tg_split 0
		.amdhsa_exception_fp_ieee_invalid_op 0
		.amdhsa_exception_fp_denorm_src 0
		.amdhsa_exception_fp_ieee_div_zero 0
		.amdhsa_exception_fp_ieee_overflow 0
		.amdhsa_exception_fp_ieee_underflow 0
		.amdhsa_exception_fp_ieee_inexact 0
		.amdhsa_exception_int_div_zero 0
	.end_amdhsa_kernel
	.section	.text._ZN5aiter36smooth_per_token_scaled_quant_kernelIDF16_aLi256ELi16ELb1ELb1ELb0ELi1024EEEvPT0_PfPT_S3_PiS6_iiPKiiiiiiiii,"axG",@progbits,_ZN5aiter36smooth_per_token_scaled_quant_kernelIDF16_aLi256ELi16ELb1ELb1ELb0ELi1024EEEvPT0_PfPT_S3_PiS6_iiPKiiiiiiiii,comdat
.Lfunc_end112:
	.size	_ZN5aiter36smooth_per_token_scaled_quant_kernelIDF16_aLi256ELi16ELb1ELb1ELb0ELi1024EEEvPT0_PfPT_S3_PiS6_iiPKiiiiiiiii, .Lfunc_end112-_ZN5aiter36smooth_per_token_scaled_quant_kernelIDF16_aLi256ELi16ELb1ELb1ELb0ELi1024EEEvPT0_PfPT_S3_PiS6_iiPKiiiiiiiii
                                        ; -- End function
	.section	.AMDGPU.csdata,"",@progbits
; Kernel info:
; codeLenInByte = 3068
; NumSgprs: 52
; NumVgprs: 44
; NumAgprs: 0
; TotalNumVgprs: 44
; ScratchSize: 0
; MemoryBound: 0
; FloatMode: 240
; IeeeMode: 1
; LDSByteSize: 16 bytes/workgroup (compile time only)
; SGPRBlocks: 6
; VGPRBlocks: 5
; NumSGPRsForWavesPerEU: 52
; NumVGPRsForWavesPerEU: 44
; AccumOffset: 44
; Occupancy: 8
; WaveLimiterHint : 0
; COMPUTE_PGM_RSRC2:SCRATCH_EN: 0
; COMPUTE_PGM_RSRC2:USER_SGPR: 6
; COMPUTE_PGM_RSRC2:TRAP_HANDLER: 0
; COMPUTE_PGM_RSRC2:TGID_X_EN: 1
; COMPUTE_PGM_RSRC2:TGID_Y_EN: 0
; COMPUTE_PGM_RSRC2:TGID_Z_EN: 0
; COMPUTE_PGM_RSRC2:TIDIG_COMP_CNT: 0
; COMPUTE_PGM_RSRC3_GFX90A:ACCUM_OFFSET: 10
; COMPUTE_PGM_RSRC3_GFX90A:TG_SPLIT: 0
	.section	.text._ZN5aiter36smooth_per_token_scaled_quant_kernelItaLi256ELi16ELb1ELb1ELb0ELi1024EEEvPT0_PfPT_S3_PiS6_iiPKiiiiiiiii,"axG",@progbits,_ZN5aiter36smooth_per_token_scaled_quant_kernelItaLi256ELi16ELb1ELb1ELb0ELi1024EEEvPT0_PfPT_S3_PiS6_iiPKiiiiiiiii,comdat
	.protected	_ZN5aiter36smooth_per_token_scaled_quant_kernelItaLi256ELi16ELb1ELb1ELb0ELi1024EEEvPT0_PfPT_S3_PiS6_iiPKiiiiiiiii ; -- Begin function _ZN5aiter36smooth_per_token_scaled_quant_kernelItaLi256ELi16ELb1ELb1ELb0ELi1024EEEvPT0_PfPT_S3_PiS6_iiPKiiiiiiiii
	.globl	_ZN5aiter36smooth_per_token_scaled_quant_kernelItaLi256ELi16ELb1ELb1ELb0ELi1024EEEvPT0_PfPT_S3_PiS6_iiPKiiiiiiiii
	.p2align	8
	.type	_ZN5aiter36smooth_per_token_scaled_quant_kernelItaLi256ELi16ELb1ELb1ELb0ELi1024EEEvPT0_PfPT_S3_PiS6_iiPKiiiiiiiii,@function
_ZN5aiter36smooth_per_token_scaled_quant_kernelItaLi256ELi16ELb1ELb1ELb0ELi1024EEEvPT0_PfPT_S3_PiS6_iiPKiiiiiiiii: ; @_ZN5aiter36smooth_per_token_scaled_quant_kernelItaLi256ELi16ELb1ELb1ELb0ELi1024EEEvPT0_PfPT_S3_PiS6_iiPKiiiiiiiii
; %bb.0:
	s_load_dwordx2 s[2:3], s[4:5], 0x38
	s_load_dwordx8 s[8:15], s[4:5], 0x40
	s_mov_b64 s[0:1], 0
	s_waitcnt lgkmcnt(0)
	s_cmp_lg_u64 s[2:3], 0
	s_cbranch_scc0 .LBB113_11
; %bb.1:
	s_load_dword s2, s[2:3], 0x0
	s_waitcnt lgkmcnt(0)
	s_mul_i32 s2, s2, s8
	s_andn2_b64 vcc, exec, s[0:1]
	s_cbranch_vccnz .LBB113_3
.LBB113_2:
	s_mul_i32 s2, s10, s9
.LBB113_3:
	s_load_dwordx2 s[34:35], s[4:5], 0x30
	s_abs_i32 s1, s2
	s_waitcnt lgkmcnt(0)
	s_abs_i32 s0, s34
	v_cvt_f32_u32_e32 v1, s0
	s_sub_i32 s7, 0, s0
	s_xor_b32 s3, s2, s34
	s_ashr_i32 s3, s3, 31
	v_rcp_iflag_f32_e32 v1, v1
	v_mul_f32_e32 v1, 0x4f7ffffe, v1
	v_cvt_u32_f32_e32 v1, v1
	v_readfirstlane_b32 s8, v1
	s_mul_i32 s7, s7, s8
	s_mul_hi_u32 s7, s8, s7
	s_add_i32 s8, s8, s7
	s_mul_hi_u32 s7, s1, s8
	s_mul_i32 s8, s7, s0
	s_sub_i32 s1, s1, s8
	s_add_i32 s15, s7, 1
	s_sub_i32 s8, s1, s0
	s_cmp_ge_u32 s1, s0
	s_cselect_b32 s7, s15, s7
	s_cselect_b32 s1, s8, s1
	s_add_i32 s8, s7, 1
	s_cmp_ge_u32 s1, s0
	s_cselect_b32 s0, s8, s7
	s_xor_b32 s0, s0, s3
	s_sub_i32 s8, s0, s3
	s_mul_i32 s0, s8, s34
	s_sub_i32 s2, s2, s0
	s_cmp_lt_u32 s6, s2
	s_cselect_b64 s[0:1], -1, 0
	s_add_i32 s7, s8, 1
	s_cmp_ge_u32 s6, s2
	s_cbranch_scc0 .LBB113_5
; %bb.4:
	s_mul_i32 s3, s2, s7
	s_sub_i32 s2, s6, s2
	s_mul_i32 s2, s2, s8
	s_add_i32 s40, s2, s3
	s_cbranch_execz .LBB113_6
	s_branch .LBB113_7
.LBB113_5:
                                        ; implicit-def: $sgpr40
.LBB113_6:
	s_mul_i32 s40, s7, s6
.LBB113_7:
	v_cndmask_b32_e64 v1, 0, 1, s[0:1]
	v_readfirstlane_b32 s0, v1
	s_add_i32 s8, s8, s0
	s_cmp_lt_i32 s8, 1
	s_cbranch_scc1 .LBB113_35
; %bb.8:
	s_load_dwordx2 s[0:1], s[4:5], 0x20
	s_ashr_i32 s41, s40, 31
	s_lshl_b64 s[2:3], s[40:41], 2
	v_and_b32_e32 v1, 63, v0
	s_mov_b32 s27, 0x20000
	s_waitcnt lgkmcnt(0)
	s_add_u32 s24, s0, s2
	s_addc_u32 s0, s1, s3
	s_lshl_b32 s26, s8, 2
	s_and_b32 s25, s0, 0xffff
	v_lshlrev_b32_e32 v38, 2, v1
	buffer_load_dword v33, v38, s[24:27], 0 offen
	v_cmp_eq_u32_e32 vcc, 63, v1
	v_lshrrev_b32_e32 v1, 4, v0
	v_and_b32_e32 v35, 60, v1
	v_and_b32_e32 v1, 3, v0
	s_abs_i32 s33, s10
	v_lshlrev_b32_e32 v36, 2, v1
	v_cvt_f32_u32_e32 v1, s33
	s_add_i32 s2, s35, 15
	s_ashr_i32 s3, s2, 31
	s_lshr_b32 s3, s3, 28
	v_rcp_iflag_f32_e32 v1, v1
	s_add_i32 s2, s2, s3
	s_ashr_i32 s2, s2, 4
	v_lshlrev_b32_e32 v32, 5, v0
	v_lshlrev_b32_e32 v34, 6, v0
	v_cmp_eq_u32_e64 s[0:1], 0, v0
	v_cmp_gt_u32_e64 s[2:3], s2, v0
	v_lshlrev_b32_e32 v37, 4, v0
	v_mul_f32_e32 v0, 0x4f7ffffe, v1
	s_load_dwordx8 s[16:23], s[4:5], 0x0
	s_add_i32 s4, s35, 3
	v_cvt_u32_f32_e32 v0, v0
	s_ashr_i32 s5, s4, 31
	s_lshr_b32 s5, s5, 30
	s_add_i32 s4, s4, s5
	s_and_b32 s38, s4, -4
	s_sub_i32 s4, 0, s33
	v_readfirstlane_b32 s42, v0
	s_mul_i32 s4, s4, s42
	s_mul_hi_u32 s4, s42, s4
	s_lshl_b32 s6, s35, 1
	s_lshl_b32 s30, s35, 2
	s_ashr_i32 s34, s10, 31
	s_add_i32 s42, s42, s4
	s_mov_b32 s15, s35
	s_waitcnt vmcnt(0) lgkmcnt(0)
	s_barrier
	v_readlane_b32 s28, v33, 0
	s_cmp_lt_i32 s28, 0
	s_cbranch_scc1 .LBB113_12
; %bb.9:
	s_abs_i32 s27, s40
	s_mul_hi_u32 s4, s27, s42
	s_mul_i32 s7, s4, s33
	s_sub_i32 s7, s27, s7
	s_xor_b32 s5, s41, s34
	s_add_i32 s29, s4, 1
	s_sub_i32 s31, s7, s33
	s_cmp_ge_u32 s7, s33
	s_cselect_b32 s4, s29, s4
	s_cselect_b32 s7, s31, s7
	s_add_i32 s29, s4, 1
	s_cmp_ge_u32 s7, s33
	s_cselect_b32 s4, s29, s4
	s_xor_b32 s4, s4, s5
	s_sub_i32 s4, s4, s5
	s_mul_i32 s5, s4, s10
	s_sub_i32 s5, s40, s5
	s_mul_i32 s5, s5, s12
	s_mul_i32 s4, s4, s11
	s_add_i32 s43, s5, s4
	s_cmp_eq_u32 s43, -1
	s_cbranch_scc1 .LBB113_13
; %bb.10:
	s_mul_hi_i32 s5, s43, s15
	s_mul_i32 s4, s43, s15
	s_lshl_b64 s[4:5], s[4:5], 1
	s_add_u32 s4, s20, s4
	s_addc_u32 s5, s21, s5
	s_and_b32 s5, s5, 0xffff
	s_mov_b32 s7, 0x20000
	buffer_load_dwordx4 v[6:9], v32, s[4:7], 0 offen
	buffer_load_dwordx4 v[14:17], v32, s[4:7], 16 offen
	s_waitcnt vmcnt(1)
	v_cvt_f32_u32_sdwa v1, v6 dst_sel:DWORD dst_unused:UNUSED_PAD src0_sel:WORD_1
	v_cvt_f32_u32_sdwa v0, v6 dst_sel:DWORD dst_unused:UNUSED_PAD src0_sel:WORD_0
	v_cvt_f32_u32_sdwa v3, v7 dst_sel:DWORD dst_unused:UNUSED_PAD src0_sel:WORD_1
	v_cvt_f32_u32_sdwa v2, v7 dst_sel:DWORD dst_unused:UNUSED_PAD src0_sel:WORD_0
	;; [unrolled: 2-line block ×4, first 2 shown]
	s_waitcnt vmcnt(0)
	v_cvt_f32_u32_sdwa v9, v14 dst_sel:DWORD dst_unused:UNUSED_PAD src0_sel:WORD_1
	v_cvt_f32_u32_sdwa v8, v14 dst_sel:DWORD dst_unused:UNUSED_PAD src0_sel:WORD_0
	v_cvt_f32_u32_sdwa v11, v15 dst_sel:DWORD dst_unused:UNUSED_PAD src0_sel:WORD_1
	v_cvt_f32_u32_sdwa v10, v15 dst_sel:DWORD dst_unused:UNUSED_PAD src0_sel:WORD_0
	;; [unrolled: 2-line block ×4, first 2 shown]
	s_branch .LBB113_14
.LBB113_11:
                                        ; implicit-def: $sgpr2
	s_branch .LBB113_2
.LBB113_12:
	s_mov_b32 s43, -1
                                        ; implicit-def: $vgpr0_vgpr1_vgpr2_vgpr3_vgpr4_vgpr5_vgpr6_vgpr7_vgpr8_vgpr9_vgpr10_vgpr11_vgpr12_vgpr13_vgpr14_vgpr15
	s_cmp_eq_u32 s8, 1
	s_mov_b32 s41, 1
	s_cbranch_scc0 .LBB113_21
	s_branch .LBB113_35
.LBB113_13:
                                        ; implicit-def: $vgpr0_vgpr1_vgpr2_vgpr3_vgpr4_vgpr5_vgpr6_vgpr7_vgpr8_vgpr9_vgpr10_vgpr11_vgpr12_vgpr13_vgpr14_vgpr15
.LBB113_14:
	s_mul_i32 s4, s28, s35
	s_ashr_i32 s5, s4, 31
	s_lshl_b64 s[4:5], s[4:5], 2
	s_add_u32 s28, s22, s4
	s_addc_u32 s4, s23, s5
	s_and_b32 s29, s4, 0xffff
	s_mov_b32 s31, 0x20000
	buffer_load_dwordx4 v[16:19], v34, s[28:31], 0 offen
	buffer_load_dwordx4 v[20:23], v34, s[28:31], 16 offen
	;; [unrolled: 1-line block ×4, first 2 shown]
	s_mov_b32 s4, 0x2edbe6ff
	s_waitcnt vmcnt(3)
	v_pk_mul_f32 v[16:17], v[0:1], v[16:17]
	v_pk_mul_f32 v[18:19], v[2:3], v[18:19]
	v_max3_f32 v39, |v16|, s4, |v17|
	s_waitcnt vmcnt(2)
	v_pk_mul_f32 v[20:21], v[4:5], v[20:21]
	v_max3_f32 v39, v39, |v18|, |v19|
	v_pk_mul_f32 v[22:23], v[6:7], v[22:23]
	v_max3_f32 v39, v39, |v20|, |v21|
	s_waitcnt vmcnt(1)
	v_pk_mul_f32 v[24:25], v[8:9], v[24:25]
	v_max3_f32 v39, v39, |v22|, |v23|
	v_pk_mul_f32 v[26:27], v[10:11], v[26:27]
	v_max3_f32 v39, v39, |v24|, |v25|
	;; [unrolled: 5-line block ×3, first 2 shown]
	v_max3_f32 v39, v39, |v30|, |v31|
	s_nop 1
	v_mov_b32_dpp v40, v39 quad_perm:[1,0,3,2] row_mask:0xf bank_mask:0xf
	v_cmp_gt_f32_e64 s[4:5], v39, v40
	v_cndmask_b32_e64 v39, v40, v39, s[4:5]
	s_nop 1
	v_mov_b32_dpp v40, v39 quad_perm:[2,3,0,1] row_mask:0xf bank_mask:0xf
	v_cmp_gt_f32_e64 s[4:5], v39, v40
	v_cndmask_b32_e64 v39, v40, v39, s[4:5]
	s_nop 1
	v_mov_b32_dpp v40, v39 row_half_mirror row_mask:0xf bank_mask:0xf
	v_cmp_gt_f32_e64 s[4:5], v39, v40
	v_cndmask_b32_e64 v39, v40, v39, s[4:5]
	s_nop 1
	v_mov_b32_dpp v40, v39 row_mirror row_mask:0xf bank_mask:0xf
	v_cmp_gt_f32_e64 s[4:5], v39, v40
	v_cndmask_b32_e64 v39, v40, v39, s[4:5]
	s_nop 1
	v_mov_b32_dpp v40, v39 row_bcast:15 row_mask:0xf bank_mask:0xf
	v_cmp_gt_f32_e64 s[4:5], v39, v40
	v_cndmask_b32_e64 v39, v40, v39, s[4:5]
	s_nop 1
	v_mov_b32_dpp v40, v39 row_bcast:31 row_mask:0xf bank_mask:0xf
	s_and_saveexec_b64 s[28:29], vcc
	s_cbranch_execz .LBB113_16
; %bb.15:
	v_cmp_gt_f32_e64 s[4:5], v39, v40
	v_cndmask_b32_e64 v39, v40, v39, s[4:5]
	ds_write_b32 v35, v39
.LBB113_16:
	s_or_b64 exec, exec, s[28:29]
	s_waitcnt lgkmcnt(0)
	s_barrier
	ds_read_b32 v39, v36
	s_abs_i32 s7, s9
	v_cvt_f32_u32_e32 v41, s7
	s_waitcnt lgkmcnt(0)
	v_mov_b32_dpp v40, v39 quad_perm:[1,0,3,2] row_mask:0xf bank_mask:0xf
	v_cmp_gt_f32_e64 s[4:5], v39, v40
	v_rcp_iflag_f32_e32 v41, v41
	v_cndmask_b32_e64 v39, v40, v39, s[4:5]
	s_nop 1
	v_mov_b32_dpp v40, v39 quad_perm:[2,3,0,1] row_mask:0xf bank_mask:0xf
	v_cmp_gt_f32_e64 s[4:5], v39, v40
	v_cndmask_b32_e64 v39, v40, v39, s[4:5]
	v_mul_f32_e32 v40, 0x4f7ffffe, v41
	v_cvt_u32_f32_e32 v40, v40
	s_sub_i32 s5, 0, s7
	s_ashr_i32 s4, s9, 31
	s_xor_b32 s4, s41, s4
	v_readfirstlane_b32 s28, v40
	s_mul_i32 s5, s5, s28
	s_mul_hi_u32 s5, s28, s5
	s_add_i32 s28, s28, s5
	s_mul_hi_u32 s5, s27, s28
	s_mul_i32 s28, s5, s7
	s_sub_i32 s27, s27, s28
	s_add_i32 s28, s5, 1
	s_sub_i32 s29, s27, s7
	s_cmp_ge_u32 s27, s7
	s_cselect_b32 s5, s28, s5
	s_cselect_b32 s27, s29, s27
	s_add_i32 s28, s5, 1
	s_cmp_ge_u32 s27, s7
	s_cselect_b32 s5, s28, s5
	s_xor_b32 s5, s5, s4
	s_sub_i32 s4, s5, s4
	s_mul_i32 s5, s4, s9
	s_sub_i32 s5, s40, s5
	s_mul_i32 s5, s5, s14
	s_mul_i32 s4, s4, s13
	v_mul_f32_e32 v39, 0x3c010204, v39
	s_add_i32 s28, s5, s4
	s_and_saveexec_b64 s[4:5], s[0:1]
	s_cbranch_execz .LBB113_18
; %bb.17:
	s_ashr_i32 s29, s28, 31
	s_lshl_b64 s[36:37], s[28:29], 2
	s_add_u32 s36, s18, s36
	s_addc_u32 s37, s19, s37
	v_mov_b32_e32 v40, 0
	global_store_dword v40, v39, s[36:37]
.LBB113_18:
	s_or_b64 exec, exec, s[4:5]
	s_and_saveexec_b64 s[4:5], s[2:3]
	s_cbranch_execz .LBB113_20
; %bb.19:
	v_rcp_f32_e32 v40, v39
	s_mul_i32 s27, s28, s15
	s_mul_hi_i32 s7, s28, s15
	s_add_u32 s36, s16, s27
	v_mov_b32_e32 v41, v40
	;;#ASMSTART
	v_pk_mul_f32 v[16:17], v[16:17], v[40:41]
	;;#ASMEND
	v_cvt_i32_f32_e32 v39, v16
	v_cvt_i32_f32_sdwa v42, v17 dst_sel:BYTE_1 dst_unused:UNUSED_PAD src0_sel:DWORD
	;;#ASMSTART
	v_pk_mul_f32 v[16:17], v[18:19], v[40:41]
	;;#ASMEND
	v_cvt_i32_f32_e32 v18, v16
	v_cvt_i32_f32_sdwa v19, v17 dst_sel:BYTE_1 dst_unused:UNUSED_PAD src0_sel:DWORD
	;; [unrolled: 5-line block ×8, first 2 shown]
	v_or_b32_sdwa v16, v39, v42 dst_sel:DWORD dst_unused:UNUSED_PAD src0_sel:BYTE_0 src1_sel:DWORD
	v_or_b32_sdwa v17, v18, v19 dst_sel:WORD_1 dst_unused:UNUSED_PAD src0_sel:BYTE_0 src1_sel:DWORD
	v_or_b32_sdwa v16, v16, v17 dst_sel:DWORD dst_unused:UNUSED_PAD src0_sel:WORD_0 src1_sel:DWORD
	v_or_b32_sdwa v17, v20, v21 dst_sel:DWORD dst_unused:UNUSED_PAD src0_sel:BYTE_0 src1_sel:DWORD
	v_or_b32_sdwa v18, v22, v23 dst_sel:WORD_1 dst_unused:UNUSED_PAD src0_sel:BYTE_0 src1_sel:DWORD
	v_or_b32_sdwa v17, v17, v18 dst_sel:DWORD dst_unused:UNUSED_PAD src0_sel:WORD_0 src1_sel:DWORD
	v_or_b32_sdwa v18, v24, v25 dst_sel:DWORD dst_unused:UNUSED_PAD src0_sel:BYTE_0 src1_sel:DWORD
	v_or_b32_sdwa v19, v26, v27 dst_sel:WORD_1 dst_unused:UNUSED_PAD src0_sel:BYTE_0 src1_sel:DWORD
	s_addc_u32 s7, s17, s7
	v_or_b32_sdwa v18, v18, v19 dst_sel:DWORD dst_unused:UNUSED_PAD src0_sel:WORD_0 src1_sel:DWORD
	v_or_b32_sdwa v19, v28, v29 dst_sel:DWORD dst_unused:UNUSED_PAD src0_sel:BYTE_0 src1_sel:DWORD
	v_or_b32_sdwa v20, v30, v31 dst_sel:WORD_1 dst_unused:UNUSED_PAD src0_sel:BYTE_0 src1_sel:DWORD
	s_and_b32 s37, s7, 0xffff
	s_mov_b32 s39, 0x20000
	v_or_b32_sdwa v19, v19, v20 dst_sel:DWORD dst_unused:UNUSED_PAD src0_sel:WORD_0 src1_sel:DWORD
	buffer_store_dwordx4 v[16:19], v37, s[36:39], 0 offen
	;;#ASMSTART
	s_nop 0
	;;#ASMEND
.LBB113_20:
	s_or_b64 exec, exec, s[4:5]
	s_cmp_eq_u32 s8, 1
	s_mov_b32 s41, 1
	s_cbranch_scc1 .LBB113_35
.LBB113_21:
	s_abs_i32 s44, s9
	v_cvt_f32_u32_e32 v16, s44
	s_sub_i32 s4, 0, s44
	s_ashr_i32 s45, s9, 31
	v_add_u32_e32 v38, 4, v38
	v_rcp_iflag_f32_e32 v16, v16
	s_mov_b32 s31, 0x20000
	s_mov_b32 s46, 0x2edbe6ff
	v_mov_b32_e32 v39, 0
	v_mul_f32_e32 v16, 0x4f7ffffe, v16
	v_cvt_u32_f32_e32 v16, v16
	v_readfirstlane_b32 s5, v16
	s_mul_i32 s4, s4, s5
	s_mul_hi_u32 s4, s5, s4
	s_add_i32 s47, s5, s4
	s_branch .LBB113_24
.LBB113_22:                             ;   in Loop: Header=BB113_24 Depth=1
	s_or_b64 exec, exec, s[4:5]
.LBB113_23:                             ;   in Loop: Header=BB113_24 Depth=1
	s_add_i32 s41, s41, 1
	s_cmp_eq_u32 s8, s41
	v_add_u32_e32 v38, 4, v38
	s_cbranch_scc1 .LBB113_35
.LBB113_24:                             ; =>This Inner Loop Header: Depth=1
	s_and_b32 s4, s41, 63
	s_cmp_lg_u32 s4, 0
	s_cbranch_scc1 .LBB113_26
; %bb.25:                               ;   in Loop: Header=BB113_24 Depth=1
	s_mov_b32 s27, s31
	buffer_load_dword v33, v38, s[24:27], 0 offen
	s_waitcnt vmcnt(0)
.LBB113_26:                             ;   in Loop: Header=BB113_24 Depth=1
	v_readlane_b32 s28, v33, s4
	s_cmp_lt_i32 s28, 0
	s_cbranch_scc1 .LBB113_23
; %bb.27:                               ;   in Loop: Header=BB113_24 Depth=1
	s_add_i32 s27, s40, s41
	s_abs_i32 s36, s27
	s_mul_hi_u32 s5, s36, s42
	s_mul_i32 s7, s5, s33
	s_ashr_i32 s37, s27, 31
	s_sub_i32 s7, s36, s7
	s_xor_b32 s4, s37, s34
	s_add_i32 s29, s5, 1
	s_sub_i32 s39, s7, s33
	s_cmp_ge_u32 s7, s33
	s_cselect_b32 s5, s29, s5
	s_cselect_b32 s7, s39, s7
	s_add_i32 s29, s5, 1
	s_cmp_ge_u32 s7, s33
	s_cselect_b32 s5, s29, s5
	s_xor_b32 s5, s5, s4
	s_sub_i32 s4, s5, s4
	s_mul_i32 s5, s4, s10
	s_sub_i32 s5, s27, s5
	s_mul_i32 s29, s5, s12
	s_mul_i32 s4, s4, s11
	s_add_i32 s29, s29, s4
	s_cmp_eq_u32 s29, s43
	s_cbranch_scc1 .LBB113_29
; %bb.28:                               ;   in Loop: Header=BB113_24 Depth=1
	s_mul_hi_i32 s5, s29, s15
	s_mul_i32 s4, s29, s15
	s_lshl_b64 s[4:5], s[4:5], 1
	s_add_u32 s4, s20, s4
	s_addc_u32 s5, s21, s5
	s_and_b32 s5, s5, 0xffff
	s_mov_b32 s7, s31
	buffer_load_dwordx4 v[6:9], v32, s[4:7], 0 offen
	buffer_load_dwordx4 v[14:17], v32, s[4:7], 16 offen
	s_mov_b32 s43, s29
	s_waitcnt vmcnt(1)
	v_cvt_f32_u32_sdwa v1, v6 dst_sel:DWORD dst_unused:UNUSED_PAD src0_sel:WORD_1
	v_cvt_f32_u32_sdwa v0, v6 dst_sel:DWORD dst_unused:UNUSED_PAD src0_sel:WORD_0
	v_cvt_f32_u32_sdwa v3, v7 dst_sel:DWORD dst_unused:UNUSED_PAD src0_sel:WORD_1
	v_cvt_f32_u32_sdwa v2, v7 dst_sel:DWORD dst_unused:UNUSED_PAD src0_sel:WORD_0
	v_cvt_f32_u32_sdwa v5, v8 dst_sel:DWORD dst_unused:UNUSED_PAD src0_sel:WORD_1
	v_cvt_f32_u32_sdwa v4, v8 dst_sel:DWORD dst_unused:UNUSED_PAD src0_sel:WORD_0
	v_cvt_f32_u32_sdwa v7, v9 dst_sel:DWORD dst_unused:UNUSED_PAD src0_sel:WORD_1
	v_cvt_f32_u32_sdwa v6, v9 dst_sel:DWORD dst_unused:UNUSED_PAD src0_sel:WORD_0
	s_waitcnt vmcnt(0)
	v_cvt_f32_u32_sdwa v9, v14 dst_sel:DWORD dst_unused:UNUSED_PAD src0_sel:WORD_1
	v_cvt_f32_u32_sdwa v8, v14 dst_sel:DWORD dst_unused:UNUSED_PAD src0_sel:WORD_0
	v_cvt_f32_u32_sdwa v11, v15 dst_sel:DWORD dst_unused:UNUSED_PAD src0_sel:WORD_1
	v_cvt_f32_u32_sdwa v10, v15 dst_sel:DWORD dst_unused:UNUSED_PAD src0_sel:WORD_0
	;; [unrolled: 2-line block ×4, first 2 shown]
.LBB113_29:                             ;   in Loop: Header=BB113_24 Depth=1
	s_mul_i32 s4, s28, s35
	s_ashr_i32 s5, s4, 31
	s_lshl_b64 s[4:5], s[4:5], 2
	s_add_u32 s28, s22, s4
	s_addc_u32 s4, s23, s5
	s_and_b32 s29, s4, 0xffff
	buffer_load_dwordx4 v[16:19], v34, s[28:31], 0 offen
	buffer_load_dwordx4 v[20:23], v34, s[28:31], 16 offen
	;; [unrolled: 1-line block ×4, first 2 shown]
	s_waitcnt vmcnt(3)
	v_pk_mul_f32 v[16:17], v[0:1], v[16:17]
	v_pk_mul_f32 v[18:19], v[2:3], v[18:19]
	v_max3_f32 v40, |v16|, s46, |v17|
	s_waitcnt vmcnt(2)
	v_pk_mul_f32 v[20:21], v[4:5], v[20:21]
	v_max3_f32 v40, v40, |v18|, |v19|
	v_pk_mul_f32 v[22:23], v[6:7], v[22:23]
	v_max3_f32 v40, v40, |v20|, |v21|
	s_waitcnt vmcnt(1)
	v_pk_mul_f32 v[24:25], v[8:9], v[24:25]
	v_max3_f32 v40, v40, |v22|, |v23|
	v_pk_mul_f32 v[26:27], v[10:11], v[26:27]
	v_max3_f32 v40, v40, |v24|, |v25|
	;; [unrolled: 5-line block ×3, first 2 shown]
	v_max3_f32 v40, v40, |v30|, |v31|
	s_nop 1
	v_mov_b32_dpp v41, v40 quad_perm:[1,0,3,2] row_mask:0xf bank_mask:0xf
	v_cmp_gt_f32_e64 s[4:5], v40, v41
	v_cndmask_b32_e64 v40, v41, v40, s[4:5]
	s_nop 1
	v_mov_b32_dpp v41, v40 quad_perm:[2,3,0,1] row_mask:0xf bank_mask:0xf
	v_cmp_gt_f32_e64 s[4:5], v40, v41
	v_cndmask_b32_e64 v40, v41, v40, s[4:5]
	s_nop 1
	v_mov_b32_dpp v41, v40 row_half_mirror row_mask:0xf bank_mask:0xf
	v_cmp_gt_f32_e64 s[4:5], v40, v41
	v_cndmask_b32_e64 v40, v41, v40, s[4:5]
	s_nop 1
	v_mov_b32_dpp v41, v40 row_mirror row_mask:0xf bank_mask:0xf
	v_cmp_gt_f32_e64 s[4:5], v40, v41
	v_cndmask_b32_e64 v40, v41, v40, s[4:5]
	s_nop 1
	v_mov_b32_dpp v41, v40 row_bcast:15 row_mask:0xf bank_mask:0xf
	v_cmp_gt_f32_e64 s[4:5], v40, v41
	v_cndmask_b32_e64 v40, v41, v40, s[4:5]
	s_nop 1
	v_mov_b32_dpp v41, v40 row_bcast:31 row_mask:0xf bank_mask:0xf
	s_and_saveexec_b64 s[28:29], vcc
	s_cbranch_execz .LBB113_31
; %bb.30:                               ;   in Loop: Header=BB113_24 Depth=1
	v_cmp_gt_f32_e64 s[4:5], v40, v41
	v_cndmask_b32_e64 v40, v41, v40, s[4:5]
	ds_write_b32 v35, v40
.LBB113_31:                             ;   in Loop: Header=BB113_24 Depth=1
	s_or_b64 exec, exec, s[28:29]
	s_waitcnt lgkmcnt(0)
	s_barrier
	ds_read_b32 v40, v36
	s_waitcnt lgkmcnt(0)
	s_nop 0
	v_mov_b32_dpp v41, v40 quad_perm:[1,0,3,2] row_mask:0xf bank_mask:0xf
	v_cmp_gt_f32_e64 s[4:5], v40, v41
	v_cndmask_b32_e64 v40, v41, v40, s[4:5]
	s_nop 1
	v_mov_b32_dpp v41, v40 quad_perm:[2,3,0,1] row_mask:0xf bank_mask:0xf
	v_cmp_gt_f32_e64 s[4:5], v40, v41
	v_cndmask_b32_e64 v40, v41, v40, s[4:5]
	s_mul_hi_u32 s5, s36, s47
	s_mul_i32 s7, s5, s44
	s_sub_i32 s7, s36, s7
	s_xor_b32 s4, s37, s45
	s_add_i32 s28, s5, 1
	s_sub_i32 s29, s7, s44
	s_cmp_ge_u32 s7, s44
	s_cselect_b32 s5, s28, s5
	s_cselect_b32 s7, s29, s7
	s_add_i32 s28, s5, 1
	s_cmp_ge_u32 s7, s44
	s_cselect_b32 s5, s28, s5
	s_xor_b32 s5, s5, s4
	s_sub_i32 s4, s5, s4
	s_mul_i32 s5, s4, s9
	s_sub_i32 s5, s27, s5
	s_mul_i32 s5, s5, s14
	s_mul_i32 s4, s4, s13
	v_mul_f32_e32 v40, 0x3c010204, v40
	s_add_i32 s28, s5, s4
	s_and_saveexec_b64 s[4:5], s[0:1]
	s_cbranch_execz .LBB113_33
; %bb.32:                               ;   in Loop: Header=BB113_24 Depth=1
	s_ashr_i32 s29, s28, 31
	s_lshl_b64 s[36:37], s[28:29], 2
	s_add_u32 s36, s18, s36
	s_addc_u32 s37, s19, s37
	global_store_dword v39, v40, s[36:37]
.LBB113_33:                             ;   in Loop: Header=BB113_24 Depth=1
	s_or_b64 exec, exec, s[4:5]
	s_and_saveexec_b64 s[4:5], s[2:3]
	s_cbranch_execz .LBB113_22
; %bb.34:                               ;   in Loop: Header=BB113_24 Depth=1
	v_rcp_f32_e32 v40, v40
	s_mul_i32 s27, s28, s15
	s_mul_hi_i32 s7, s28, s15
	s_add_u32 s36, s16, s27
	v_mov_b32_e32 v41, v40
	;;#ASMSTART
	v_pk_mul_f32 v[16:17], v[16:17], v[40:41]
	;;#ASMEND
	v_cvt_i32_f32_e32 v42, v16
	v_cvt_i32_f32_sdwa v43, v17 dst_sel:BYTE_1 dst_unused:UNUSED_PAD src0_sel:DWORD
	;;#ASMSTART
	v_pk_mul_f32 v[16:17], v[18:19], v[40:41]
	;;#ASMEND
	v_cvt_i32_f32_e32 v18, v16
	v_cvt_i32_f32_sdwa v19, v17 dst_sel:BYTE_1 dst_unused:UNUSED_PAD src0_sel:DWORD
	;; [unrolled: 5-line block ×8, first 2 shown]
	v_or_b32_sdwa v16, v42, v43 dst_sel:DWORD dst_unused:UNUSED_PAD src0_sel:BYTE_0 src1_sel:DWORD
	v_or_b32_sdwa v17, v18, v19 dst_sel:WORD_1 dst_unused:UNUSED_PAD src0_sel:BYTE_0 src1_sel:DWORD
	v_or_b32_sdwa v16, v16, v17 dst_sel:DWORD dst_unused:UNUSED_PAD src0_sel:WORD_0 src1_sel:DWORD
	v_or_b32_sdwa v17, v20, v21 dst_sel:DWORD dst_unused:UNUSED_PAD src0_sel:BYTE_0 src1_sel:DWORD
	v_or_b32_sdwa v18, v22, v23 dst_sel:WORD_1 dst_unused:UNUSED_PAD src0_sel:BYTE_0 src1_sel:DWORD
	v_or_b32_sdwa v17, v17, v18 dst_sel:DWORD dst_unused:UNUSED_PAD src0_sel:WORD_0 src1_sel:DWORD
	v_or_b32_sdwa v18, v24, v25 dst_sel:DWORD dst_unused:UNUSED_PAD src0_sel:BYTE_0 src1_sel:DWORD
	v_or_b32_sdwa v19, v26, v27 dst_sel:WORD_1 dst_unused:UNUSED_PAD src0_sel:BYTE_0 src1_sel:DWORD
	s_addc_u32 s7, s17, s7
	v_or_b32_sdwa v18, v18, v19 dst_sel:DWORD dst_unused:UNUSED_PAD src0_sel:WORD_0 src1_sel:DWORD
	v_or_b32_sdwa v19, v28, v29 dst_sel:DWORD dst_unused:UNUSED_PAD src0_sel:BYTE_0 src1_sel:DWORD
	v_or_b32_sdwa v20, v30, v31 dst_sel:WORD_1 dst_unused:UNUSED_PAD src0_sel:BYTE_0 src1_sel:DWORD
	s_and_b32 s37, s7, 0xffff
	s_mov_b32 s39, s31
	v_or_b32_sdwa v19, v19, v20 dst_sel:DWORD dst_unused:UNUSED_PAD src0_sel:WORD_0 src1_sel:DWORD
	buffer_store_dwordx4 v[16:19], v37, s[36:39], 0 offen
	;;#ASMSTART
	s_nop 0
	;;#ASMEND
	s_branch .LBB113_22
.LBB113_35:
	s_endpgm
	.section	.rodata,"a",@progbits
	.p2align	6, 0x0
	.amdhsa_kernel _ZN5aiter36smooth_per_token_scaled_quant_kernelItaLi256ELi16ELb1ELb1ELb0ELi1024EEEvPT0_PfPT_S3_PiS6_iiPKiiiiiiiii
		.amdhsa_group_segment_fixed_size 16
		.amdhsa_private_segment_fixed_size 0
		.amdhsa_kernarg_size 96
		.amdhsa_user_sgpr_count 6
		.amdhsa_user_sgpr_private_segment_buffer 1
		.amdhsa_user_sgpr_dispatch_ptr 0
		.amdhsa_user_sgpr_queue_ptr 0
		.amdhsa_user_sgpr_kernarg_segment_ptr 1
		.amdhsa_user_sgpr_dispatch_id 0
		.amdhsa_user_sgpr_flat_scratch_init 0
		.amdhsa_user_sgpr_kernarg_preload_length 0
		.amdhsa_user_sgpr_kernarg_preload_offset 0
		.amdhsa_user_sgpr_private_segment_size 0
		.amdhsa_uses_dynamic_stack 0
		.amdhsa_system_sgpr_private_segment_wavefront_offset 0
		.amdhsa_system_sgpr_workgroup_id_x 1
		.amdhsa_system_sgpr_workgroup_id_y 0
		.amdhsa_system_sgpr_workgroup_id_z 0
		.amdhsa_system_sgpr_workgroup_info 0
		.amdhsa_system_vgpr_workitem_id 0
		.amdhsa_next_free_vgpr 44
		.amdhsa_next_free_sgpr 48
		.amdhsa_accum_offset 44
		.amdhsa_reserve_vcc 1
		.amdhsa_reserve_flat_scratch 0
		.amdhsa_float_round_mode_32 0
		.amdhsa_float_round_mode_16_64 0
		.amdhsa_float_denorm_mode_32 3
		.amdhsa_float_denorm_mode_16_64 3
		.amdhsa_dx10_clamp 1
		.amdhsa_ieee_mode 1
		.amdhsa_fp16_overflow 0
		.amdhsa_tg_split 0
		.amdhsa_exception_fp_ieee_invalid_op 0
		.amdhsa_exception_fp_denorm_src 0
		.amdhsa_exception_fp_ieee_div_zero 0
		.amdhsa_exception_fp_ieee_overflow 0
		.amdhsa_exception_fp_ieee_underflow 0
		.amdhsa_exception_fp_ieee_inexact 0
		.amdhsa_exception_int_div_zero 0
	.end_amdhsa_kernel
	.section	.text._ZN5aiter36smooth_per_token_scaled_quant_kernelItaLi256ELi16ELb1ELb1ELb0ELi1024EEEvPT0_PfPT_S3_PiS6_iiPKiiiiiiiii,"axG",@progbits,_ZN5aiter36smooth_per_token_scaled_quant_kernelItaLi256ELi16ELb1ELb1ELb0ELi1024EEEvPT0_PfPT_S3_PiS6_iiPKiiiiiiiii,comdat
.Lfunc_end113:
	.size	_ZN5aiter36smooth_per_token_scaled_quant_kernelItaLi256ELi16ELb1ELb1ELb0ELi1024EEEvPT0_PfPT_S3_PiS6_iiPKiiiiiiiii, .Lfunc_end113-_ZN5aiter36smooth_per_token_scaled_quant_kernelItaLi256ELi16ELb1ELb1ELb0ELi1024EEEvPT0_PfPT_S3_PiS6_iiPKiiiiiiiii
                                        ; -- End function
	.section	.AMDGPU.csdata,"",@progbits
; Kernel info:
; codeLenInByte = 3132
; NumSgprs: 52
; NumVgprs: 44
; NumAgprs: 0
; TotalNumVgprs: 44
; ScratchSize: 0
; MemoryBound: 0
; FloatMode: 240
; IeeeMode: 1
; LDSByteSize: 16 bytes/workgroup (compile time only)
; SGPRBlocks: 6
; VGPRBlocks: 5
; NumSGPRsForWavesPerEU: 52
; NumVGPRsForWavesPerEU: 44
; AccumOffset: 44
; Occupancy: 8
; WaveLimiterHint : 0
; COMPUTE_PGM_RSRC2:SCRATCH_EN: 0
; COMPUTE_PGM_RSRC2:USER_SGPR: 6
; COMPUTE_PGM_RSRC2:TRAP_HANDLER: 0
; COMPUTE_PGM_RSRC2:TGID_X_EN: 1
; COMPUTE_PGM_RSRC2:TGID_Y_EN: 0
; COMPUTE_PGM_RSRC2:TGID_Z_EN: 0
; COMPUTE_PGM_RSRC2:TIDIG_COMP_CNT: 0
; COMPUTE_PGM_RSRC3_GFX90A:ACCUM_OFFSET: 10
; COMPUTE_PGM_RSRC3_GFX90A:TG_SPLIT: 0
	.section	.text._ZN5aiter36smooth_per_token_scaled_quant_kernelIDF16_aLi256ELi16ELb1ELb0ELb0ELi1024EEEvPT0_PfPT_S3_PiS6_iiPKiiiiiiiii,"axG",@progbits,_ZN5aiter36smooth_per_token_scaled_quant_kernelIDF16_aLi256ELi16ELb1ELb0ELb0ELi1024EEEvPT0_PfPT_S3_PiS6_iiPKiiiiiiiii,comdat
	.protected	_ZN5aiter36smooth_per_token_scaled_quant_kernelIDF16_aLi256ELi16ELb1ELb0ELb0ELi1024EEEvPT0_PfPT_S3_PiS6_iiPKiiiiiiiii ; -- Begin function _ZN5aiter36smooth_per_token_scaled_quant_kernelIDF16_aLi256ELi16ELb1ELb0ELb0ELi1024EEEvPT0_PfPT_S3_PiS6_iiPKiiiiiiiii
	.globl	_ZN5aiter36smooth_per_token_scaled_quant_kernelIDF16_aLi256ELi16ELb1ELb0ELb0ELi1024EEEvPT0_PfPT_S3_PiS6_iiPKiiiiiiiii
	.p2align	8
	.type	_ZN5aiter36smooth_per_token_scaled_quant_kernelIDF16_aLi256ELi16ELb1ELb0ELb0ELi1024EEEvPT0_PfPT_S3_PiS6_iiPKiiiiiiiii,@function
_ZN5aiter36smooth_per_token_scaled_quant_kernelIDF16_aLi256ELi16ELb1ELb0ELb0ELi1024EEEvPT0_PfPT_S3_PiS6_iiPKiiiiiiiii: ; @_ZN5aiter36smooth_per_token_scaled_quant_kernelIDF16_aLi256ELi16ELb1ELb0ELb0ELi1024EEEvPT0_PfPT_S3_PiS6_iiPKiiiiiiiii
; %bb.0:
	s_load_dwordx2 s[2:3], s[4:5], 0x38
	s_load_dwordx8 s[8:15], s[4:5], 0x40
	s_mov_b64 s[0:1], 0
	s_waitcnt lgkmcnt(0)
	s_cmp_lg_u64 s[2:3], 0
	s_cbranch_scc0 .LBB114_19
; %bb.1:
	s_load_dword s2, s[2:3], 0x0
	s_waitcnt lgkmcnt(0)
	s_mul_i32 s2, s2, s8
	s_andn2_b64 vcc, exec, s[0:1]
	s_cbranch_vccnz .LBB114_3
.LBB114_2:
	s_mul_i32 s2, s10, s9
.LBB114_3:
	s_load_dwordx2 s[24:25], s[4:5], 0x30
	s_abs_i32 s1, s2
	s_waitcnt lgkmcnt(0)
	s_abs_i32 s0, s24
	v_cvt_f32_u32_e32 v1, s0
	s_sub_i32 s7, 0, s0
	s_xor_b32 s3, s2, s24
	s_ashr_i32 s3, s3, 31
	v_rcp_iflag_f32_e32 v1, v1
	v_mul_f32_e32 v1, 0x4f7ffffe, v1
	v_cvt_u32_f32_e32 v1, v1
	v_readfirstlane_b32 s8, v1
	s_mul_i32 s7, s7, s8
	s_mul_hi_u32 s7, s8, s7
	s_add_i32 s8, s8, s7
	s_mul_hi_u32 s7, s1, s8
	s_mul_i32 s8, s7, s0
	s_sub_i32 s1, s1, s8
	s_add_i32 s15, s7, 1
	s_sub_i32 s8, s1, s0
	s_cmp_ge_u32 s1, s0
	s_cselect_b32 s7, s15, s7
	s_cselect_b32 s1, s8, s1
	s_add_i32 s8, s7, 1
	s_cmp_ge_u32 s1, s0
	s_cselect_b32 s0, s8, s7
	s_xor_b32 s0, s0, s3
	s_sub_i32 s7, s0, s3
	s_mul_i32 s0, s7, s24
	s_sub_i32 s2, s2, s0
	s_cmp_lt_u32 s6, s2
	s_cselect_b64 s[0:1], -1, 0
	s_add_i32 s15, s7, 1
	s_cmp_ge_u32 s6, s2
	s_cbranch_scc0 .LBB114_5
; %bb.4:
	s_mul_i32 s3, s2, s15
	s_sub_i32 s2, s6, s2
	s_mul_i32 s2, s2, s7
	s_add_i32 s8, s2, s3
	s_cbranch_execz .LBB114_6
	s_branch .LBB114_7
.LBB114_5:
                                        ; implicit-def: $sgpr8
.LBB114_6:
	s_mul_i32 s8, s15, s6
.LBB114_7:
	v_cndmask_b32_e64 v1, 0, 1, s[0:1]
	v_readfirstlane_b32 s0, v1
	s_add_i32 s15, s7, s0
	s_cmp_lt_i32 s15, 1
	s_cbranch_scc1 .LBB114_18
; %bb.8:
	v_and_b32_e32 v1, 63, v0
	v_cmp_eq_u32_e32 vcc, 63, v1
	v_lshrrev_b32_e32 v1, 4, v0
	v_and_b32_e32 v74, 60, v1
	v_and_b32_e32 v1, 3, v0
	s_abs_i32 s34, s10
	v_lshlrev_b32_e32 v75, 2, v1
	v_cvt_f32_u32_e32 v1, s34
	s_add_i32 s2, s25, 15
	s_ashr_i32 s3, s2, 31
	s_lshr_b32 s3, s3, 28
	v_rcp_iflag_f32_e32 v1, v1
	s_add_i32 s2, s2, s3
	s_ashr_i32 s2, s2, 4
	s_abs_i32 s35, s9
	v_lshlrev_b32_e32 v72, 5, v0
	v_lshlrev_b32_e32 v73, 6, v0
	v_cmp_eq_u32_e64 s[0:1], 0, v0
	v_cmp_gt_u32_e64 s[2:3], s2, v0
	v_lshlrev_b32_e32 v76, 4, v0
	v_mul_f32_e32 v0, 0x4f7ffffe, v1
	v_cvt_f32_u32_e32 v1, s35
	v_cvt_u32_f32_e32 v0, v0
	s_load_dwordx8 s[16:23], s[4:5], 0x0
	s_add_i32 s4, s25, 3
	v_rcp_iflag_f32_e32 v1, v1
	s_ashr_i32 s5, s4, 31
	s_lshr_b32 s5, s5, 30
	s_add_i32 s4, s4, s5
	v_readfirstlane_b32 s5, v0
	v_mul_f32_e32 v0, 0x4f7ffffe, v1
	v_cvt_u32_f32_e32 v0, v0
	s_and_b32 s30, s4, -4
	s_sub_i32 s4, 0, s34
	s_mul_i32 s4, s4, s5
	s_mul_hi_u32 s4, s5, s4
	s_add_i32 s37, s5, s4
	v_readfirstlane_b32 s5, v0
                                        ; implicit-def: $vgpr0_vgpr1_vgpr2_vgpr3_vgpr4_vgpr5_vgpr6_vgpr7_vgpr8_vgpr9_vgpr10_vgpr11_vgpr12_vgpr13_vgpr14_vgpr15
                                        ; implicit-def: $vgpr4_vgpr5_vgpr6_vgpr7_vgpr8_vgpr9_vgpr10_vgpr11_vgpr12_vgpr13_vgpr14_vgpr15_vgpr16_vgpr17_vgpr18_vgpr19
	s_sub_i32 s4, 0, s35
                                        ; implicit-def: $vgpr10_vgpr11_vgpr12_vgpr13_vgpr14_vgpr15_vgpr16_vgpr17_vgpr18_vgpr19_vgpr20_vgpr21_vgpr22_vgpr23_vgpr24_vgpr25
	s_mul_i32 s4, s4, s5
                                        ; implicit-def: $vgpr18_vgpr19_vgpr20_vgpr21_vgpr22_vgpr23_vgpr24_vgpr25_vgpr26_vgpr27_vgpr28_vgpr29_vgpr30_vgpr31_vgpr32_vgpr33
	s_mov_b32 s7, 0x20000
	s_waitcnt lgkmcnt(0)
	s_and_b32 s23, s23, 0xffff
	s_mul_hi_u32 s4, s5, s4
                                        ; implicit-def: $vgpr28_vgpr29_vgpr30_vgpr31_vgpr32_vgpr33_vgpr34_vgpr35_vgpr36_vgpr37_vgpr38_vgpr39_vgpr40_vgpr41_vgpr42_vgpr43
	s_mov_b32 s33, s25
	s_lshl_b32 s6, s25, 1
	s_lshl_b32 s26, s25, 2
	s_mov_b32 s27, s7
	s_ashr_i32 s36, s10, 31
	s_ashr_i32 s38, s9, 31
	s_add_i32 s39, s5, s4
	s_mov_b32 s41, -1
	s_mov_b32 s25, s23
	s_mov_b32 s40, 0x2edbe6ff
	v_mov_b32_e32 v77, 0
	s_mov_b32 s24, s22
                                        ; implicit-def: $vgpr40_vgpr41_vgpr42_vgpr43_vgpr44_vgpr45_vgpr46_vgpr47_vgpr48_vgpr49_vgpr50_vgpr51_vgpr52_vgpr53_vgpr54_vgpr55
                                        ; implicit-def: $vgpr70
                                        ; implicit-def: $vgpr54_vgpr55_vgpr56_vgpr57_vgpr58_vgpr59_vgpr60_vgpr61_vgpr62_vgpr63_vgpr64_vgpr65_vgpr66_vgpr67_vgpr68_vgpr69
	s_branch .LBB114_10
.LBB114_9:                              ;   in Loop: Header=BB114_10 Depth=1
	s_or_b64 exec, exec, s[4:5]
	s_add_i32 s15, s15, -1
	s_add_i32 s8, s8, 1
	s_cmp_eq_u32 s15, 0
	s_cbranch_scc1 .LBB114_18
.LBB114_10:                             ; =>This Inner Loop Header: Depth=1
	s_abs_i32 s28, s8
	s_mul_hi_u32 s5, s28, s37
	s_mul_i32 s22, s5, s34
	s_ashr_i32 s29, s8, 31
	s_sub_i32 s22, s28, s22
	s_xor_b32 s4, s29, s36
	s_add_i32 s23, s5, 1
	s_sub_i32 s31, s22, s34
	s_cmp_ge_u32 s22, s34
	s_cselect_b32 s5, s23, s5
	s_cselect_b32 s22, s31, s22
	s_add_i32 s23, s5, 1
	s_cmp_ge_u32 s22, s34
	s_cselect_b32 s5, s23, s5
	s_xor_b32 s5, s5, s4
	s_sub_i32 s4, s5, s4
	s_mul_i32 s5, s4, s10
	s_sub_i32 s5, s8, s5
	s_mul_i32 s22, s5, s12
	s_mul_i32 s4, s4, s11
	s_add_i32 s22, s22, s4
	s_cmp_eq_u32 s22, s41
	s_cbranch_scc1 .LBB114_12
; %bb.11:                               ;   in Loop: Header=BB114_10 Depth=1
	s_mul_hi_i32 s5, s22, s33
	s_mul_i32 s4, s22, s33
	s_lshl_b64 s[4:5], s[4:5], 1
	s_add_u32 s4, s20, s4
	s_addc_u32 s5, s21, s5
	s_and_b32 s5, s5, 0xffff
	buffer_load_dwordx4 v[2:5], v72, s[4:7], 0 offen
	buffer_load_dwordx4 v[10:13], v72, s[4:7], 16 offen
	s_mov_b32 s41, s22
	s_waitcnt vmcnt(1)
	v_cvt_f32_f16_e32 v70, v2
	v_cvt_f32_f16_sdwa v71, v2 dst_sel:DWORD dst_unused:UNUSED_PAD src0_sel:WORD_1
	v_cvt_f32_f16_e32 v2, v3
	v_cvt_f32_f16_sdwa v3, v3 dst_sel:DWORD dst_unused:UNUSED_PAD src0_sel:WORD_1
	;; [unrolled: 2-line block ×4, first 2 shown]
	s_waitcnt vmcnt(0)
	v_cvt_f32_f16_e32 v26, v10
	v_cvt_f32_f16_sdwa v27, v10 dst_sel:DWORD dst_unused:UNUSED_PAD src0_sel:WORD_1
	v_cvt_f32_f16_e32 v38, v11
	v_cvt_f32_f16_sdwa v39, v11 dst_sel:DWORD dst_unused:UNUSED_PAD src0_sel:WORD_1
	;; [unrolled: 2-line block ×4, first 2 shown]
.LBB114_12:                             ;   in Loop: Header=BB114_10 Depth=1
	buffer_load_dwordx4 v[4:7], v73, s[24:27], 0 offen
	buffer_load_dwordx4 v[10:13], v73, s[24:27], 16 offen
	s_waitcnt vmcnt(1)
	v_pk_mul_f32 v[0:1], v[70:71], v[4:5]
	v_pk_mul_f32 v[4:5], v[2:3], v[6:7]
	s_waitcnt vmcnt(0)
	v_pk_mul_f32 v[6:7], v[8:9], v[10:11]
	v_pk_mul_f32 v[10:11], v[16:17], v[12:13]
	buffer_load_dwordx4 v[12:15], v73, s[24:27], 32 offen
	buffer_load_dwordx4 v[18:21], v73, s[24:27], 48 offen
	v_max3_f32 v22, |v0|, s40, |v1|
	v_max3_f32 v22, v22, |v4|, |v5|
	v_max3_f32 v22, v22, |v6|, |v7|
	;; [unrolled: 1-line block ×3, first 2 shown]
	s_waitcnt vmcnt(1)
	v_pk_mul_f32 v[12:13], v[26:27], v[12:13]
	v_pk_mul_f32 v[14:15], v[38:39], v[14:15]
	v_max3_f32 v22, v22, |v12|, |v13|
	s_waitcnt vmcnt(0)
	v_pk_mul_f32 v[18:19], v[52:53], v[18:19]
	v_max3_f32 v22, v22, |v14|, |v15|
	v_pk_mul_f32 v[20:21], v[68:69], v[20:21]
	v_max3_f32 v22, v22, |v18|, |v19|
	v_max3_f32 v22, v22, |v20|, |v21|
	s_nop 1
	v_mov_b32_dpp v23, v22 quad_perm:[1,0,3,2] row_mask:0xf bank_mask:0xf
	v_cmp_gt_f32_e64 s[4:5], v22, v23
	v_cndmask_b32_e64 v22, v23, v22, s[4:5]
	s_nop 1
	v_mov_b32_dpp v23, v22 quad_perm:[2,3,0,1] row_mask:0xf bank_mask:0xf
	v_cmp_gt_f32_e64 s[4:5], v22, v23
	v_cndmask_b32_e64 v22, v23, v22, s[4:5]
	s_nop 1
	v_mov_b32_dpp v23, v22 row_half_mirror row_mask:0xf bank_mask:0xf
	v_cmp_gt_f32_e64 s[4:5], v22, v23
	v_cndmask_b32_e64 v22, v23, v22, s[4:5]
	s_nop 1
	v_mov_b32_dpp v23, v22 row_mirror row_mask:0xf bank_mask:0xf
	v_cmp_gt_f32_e64 s[4:5], v22, v23
	v_cndmask_b32_e64 v22, v23, v22, s[4:5]
	s_nop 1
	v_mov_b32_dpp v23, v22 row_bcast:15 row_mask:0xf bank_mask:0xf
	v_cmp_gt_f32_e64 s[4:5], v22, v23
	v_cndmask_b32_e64 v22, v23, v22, s[4:5]
	s_nop 1
	v_mov_b32_dpp v23, v22 row_bcast:31 row_mask:0xf bank_mask:0xf
	s_and_saveexec_b64 s[22:23], vcc
	s_cbranch_execz .LBB114_14
; %bb.13:                               ;   in Loop: Header=BB114_10 Depth=1
	v_cmp_gt_f32_e64 s[4:5], v22, v23
	v_cndmask_b32_e64 v22, v23, v22, s[4:5]
	ds_write_b32 v74, v22
.LBB114_14:                             ;   in Loop: Header=BB114_10 Depth=1
	s_or_b64 exec, exec, s[22:23]
	s_waitcnt lgkmcnt(0)
	s_barrier
	ds_read_b32 v22, v75
	s_waitcnt lgkmcnt(0)
	s_nop 0
	v_mov_b32_dpp v23, v22 quad_perm:[1,0,3,2] row_mask:0xf bank_mask:0xf
	v_cmp_gt_f32_e64 s[4:5], v22, v23
	v_cndmask_b32_e64 v22, v23, v22, s[4:5]
	s_nop 1
	v_mov_b32_dpp v23, v22 quad_perm:[2,3,0,1] row_mask:0xf bank_mask:0xf
	v_cmp_gt_f32_e64 s[4:5], v22, v23
	v_cndmask_b32_e64 v22, v23, v22, s[4:5]
	s_mul_hi_u32 s5, s28, s39
	s_mul_i32 s22, s5, s35
	s_sub_i32 s22, s28, s22
	s_xor_b32 s4, s29, s38
	s_add_i32 s23, s5, 1
	s_sub_i32 s28, s22, s35
	s_cmp_ge_u32 s22, s35
	s_cselect_b32 s5, s23, s5
	s_cselect_b32 s22, s28, s22
	s_add_i32 s23, s5, 1
	s_cmp_ge_u32 s22, s35
	s_cselect_b32 s5, s23, s5
	s_xor_b32 s5, s5, s4
	s_sub_i32 s4, s5, s4
	s_mul_i32 s5, s4, s9
	s_sub_i32 s5, s8, s5
	s_mul_i32 s5, s5, s14
	s_mul_i32 s4, s4, s13
	v_mul_f32_e32 v22, 0x3c010204, v22
	s_add_i32 s22, s5, s4
	s_and_saveexec_b64 s[4:5], s[0:1]
	s_cbranch_execz .LBB114_16
; %bb.15:                               ;   in Loop: Header=BB114_10 Depth=1
	s_ashr_i32 s23, s22, 31
	s_lshl_b64 s[28:29], s[22:23], 2
	s_add_u32 s28, s18, s28
	s_addc_u32 s29, s19, s29
	global_store_dword v77, v22, s[28:29]
.LBB114_16:                             ;   in Loop: Header=BB114_10 Depth=1
	s_or_b64 exec, exec, s[4:5]
	s_and_saveexec_b64 s[4:5], s[2:3]
	s_cbranch_execz .LBB114_9
; %bb.17:                               ;   in Loop: Header=BB114_10 Depth=1
	v_rcp_f32_e32 v22, v22
	s_mul_hi_i32 s23, s22, s33
	s_mul_i32 s22, s22, s33
	s_add_u32 s28, s16, s22
	v_mov_b32_e32 v23, v22
	;;#ASMSTART
	v_pk_mul_f32 v[0:1], v[0:1], v[22:23]
	;;#ASMEND
	v_cvt_i32_f32_e32 v24, v0
	v_cvt_i32_f32_sdwa v25, v1 dst_sel:BYTE_1 dst_unused:UNUSED_PAD src0_sel:DWORD
	;;#ASMSTART
	v_pk_mul_f32 v[0:1], v[4:5], v[22:23]
	;;#ASMEND
	v_cvt_i32_f32_e32 v4, v0
	v_cvt_i32_f32_sdwa v5, v1 dst_sel:BYTE_1 dst_unused:UNUSED_PAD src0_sel:DWORD
	;; [unrolled: 5-line block ×8, first 2 shown]
	v_or_b32_sdwa v4, v4, v5 dst_sel:WORD_1 dst_unused:UNUSED_PAD src0_sel:BYTE_0 src1_sel:DWORD
	v_or_b32_sdwa v5, v6, v7 dst_sel:DWORD dst_unused:UNUSED_PAD src0_sel:BYTE_0 src1_sel:DWORD
	v_or_b32_sdwa v6, v10, v11 dst_sel:WORD_1 dst_unused:UNUSED_PAD src0_sel:BYTE_0 src1_sel:DWORD
	v_or_b32_sdwa v5, v5, v6 dst_sel:DWORD dst_unused:UNUSED_PAD src0_sel:WORD_0 src1_sel:DWORD
	v_or_b32_sdwa v6, v12, v13 dst_sel:DWORD dst_unused:UNUSED_PAD src0_sel:BYTE_0 src1_sel:DWORD
	v_or_b32_sdwa v7, v14, v15 dst_sel:WORD_1 dst_unused:UNUSED_PAD src0_sel:BYTE_0 src1_sel:DWORD
	s_addc_u32 s22, s17, s23
	v_or_b32_sdwa v20, v24, v25 dst_sel:DWORD dst_unused:UNUSED_PAD src0_sel:BYTE_0 src1_sel:DWORD
	v_or_b32_sdwa v6, v6, v7 dst_sel:DWORD dst_unused:UNUSED_PAD src0_sel:WORD_0 src1_sel:DWORD
	v_or_b32_sdwa v7, v18, v19 dst_sel:DWORD dst_unused:UNUSED_PAD src0_sel:BYTE_0 src1_sel:DWORD
	v_or_b32_sdwa v0, v0, v1 dst_sel:WORD_1 dst_unused:UNUSED_PAD src0_sel:BYTE_0 src1_sel:DWORD
	s_and_b32 s29, s22, 0xffff
	s_mov_b32 s31, s7
	v_or_b32_sdwa v4, v20, v4 dst_sel:DWORD dst_unused:UNUSED_PAD src0_sel:WORD_0 src1_sel:DWORD
	v_or_b32_sdwa v7, v7, v0 dst_sel:DWORD dst_unused:UNUSED_PAD src0_sel:WORD_0 src1_sel:DWORD
	buffer_store_dwordx4 v[4:7], v76, s[28:31], 0 offen
	;;#ASMSTART
	s_nop 0
	;;#ASMEND
	s_branch .LBB114_9
.LBB114_18:
	s_endpgm
.LBB114_19:
                                        ; implicit-def: $sgpr2
	s_branch .LBB114_2
	.section	.rodata,"a",@progbits
	.p2align	6, 0x0
	.amdhsa_kernel _ZN5aiter36smooth_per_token_scaled_quant_kernelIDF16_aLi256ELi16ELb1ELb0ELb0ELi1024EEEvPT0_PfPT_S3_PiS6_iiPKiiiiiiiii
		.amdhsa_group_segment_fixed_size 16
		.amdhsa_private_segment_fixed_size 0
		.amdhsa_kernarg_size 96
		.amdhsa_user_sgpr_count 6
		.amdhsa_user_sgpr_private_segment_buffer 1
		.amdhsa_user_sgpr_dispatch_ptr 0
		.amdhsa_user_sgpr_queue_ptr 0
		.amdhsa_user_sgpr_kernarg_segment_ptr 1
		.amdhsa_user_sgpr_dispatch_id 0
		.amdhsa_user_sgpr_flat_scratch_init 0
		.amdhsa_user_sgpr_kernarg_preload_length 0
		.amdhsa_user_sgpr_kernarg_preload_offset 0
		.amdhsa_user_sgpr_private_segment_size 0
		.amdhsa_uses_dynamic_stack 0
		.amdhsa_system_sgpr_private_segment_wavefront_offset 0
		.amdhsa_system_sgpr_workgroup_id_x 1
		.amdhsa_system_sgpr_workgroup_id_y 0
		.amdhsa_system_sgpr_workgroup_id_z 0
		.amdhsa_system_sgpr_workgroup_info 0
		.amdhsa_system_vgpr_workitem_id 0
		.amdhsa_next_free_vgpr 78
		.amdhsa_next_free_sgpr 42
		.amdhsa_accum_offset 80
		.amdhsa_reserve_vcc 1
		.amdhsa_reserve_flat_scratch 0
		.amdhsa_float_round_mode_32 0
		.amdhsa_float_round_mode_16_64 0
		.amdhsa_float_denorm_mode_32 3
		.amdhsa_float_denorm_mode_16_64 3
		.amdhsa_dx10_clamp 1
		.amdhsa_ieee_mode 1
		.amdhsa_fp16_overflow 0
		.amdhsa_tg_split 0
		.amdhsa_exception_fp_ieee_invalid_op 0
		.amdhsa_exception_fp_denorm_src 0
		.amdhsa_exception_fp_ieee_div_zero 0
		.amdhsa_exception_fp_ieee_overflow 0
		.amdhsa_exception_fp_ieee_underflow 0
		.amdhsa_exception_fp_ieee_inexact 0
		.amdhsa_exception_int_div_zero 0
	.end_amdhsa_kernel
	.section	.text._ZN5aiter36smooth_per_token_scaled_quant_kernelIDF16_aLi256ELi16ELb1ELb0ELb0ELi1024EEEvPT0_PfPT_S3_PiS6_iiPKiiiiiiiii,"axG",@progbits,_ZN5aiter36smooth_per_token_scaled_quant_kernelIDF16_aLi256ELi16ELb1ELb0ELb0ELi1024EEEvPT0_PfPT_S3_PiS6_iiPKiiiiiiiii,comdat
.Lfunc_end114:
	.size	_ZN5aiter36smooth_per_token_scaled_quant_kernelIDF16_aLi256ELi16ELb1ELb0ELb0ELi1024EEEvPT0_PfPT_S3_PiS6_iiPKiiiiiiiii, .Lfunc_end114-_ZN5aiter36smooth_per_token_scaled_quant_kernelIDF16_aLi256ELi16ELb1ELb0ELb0ELi1024EEEvPT0_PfPT_S3_PiS6_iiPKiiiiiiiii
                                        ; -- End function
	.section	.AMDGPU.csdata,"",@progbits
; Kernel info:
; codeLenInByte = 1672
; NumSgprs: 46
; NumVgprs: 78
; NumAgprs: 0
; TotalNumVgprs: 78
; ScratchSize: 0
; MemoryBound: 0
; FloatMode: 240
; IeeeMode: 1
; LDSByteSize: 16 bytes/workgroup (compile time only)
; SGPRBlocks: 5
; VGPRBlocks: 9
; NumSGPRsForWavesPerEU: 46
; NumVGPRsForWavesPerEU: 78
; AccumOffset: 80
; Occupancy: 6
; WaveLimiterHint : 0
; COMPUTE_PGM_RSRC2:SCRATCH_EN: 0
; COMPUTE_PGM_RSRC2:USER_SGPR: 6
; COMPUTE_PGM_RSRC2:TRAP_HANDLER: 0
; COMPUTE_PGM_RSRC2:TGID_X_EN: 1
; COMPUTE_PGM_RSRC2:TGID_Y_EN: 0
; COMPUTE_PGM_RSRC2:TGID_Z_EN: 0
; COMPUTE_PGM_RSRC2:TIDIG_COMP_CNT: 0
; COMPUTE_PGM_RSRC3_GFX90A:ACCUM_OFFSET: 19
; COMPUTE_PGM_RSRC3_GFX90A:TG_SPLIT: 0
	.section	.text._ZN5aiter36smooth_per_token_scaled_quant_kernelItaLi256ELi16ELb1ELb0ELb0ELi1024EEEvPT0_PfPT_S3_PiS6_iiPKiiiiiiiii,"axG",@progbits,_ZN5aiter36smooth_per_token_scaled_quant_kernelItaLi256ELi16ELb1ELb0ELb0ELi1024EEEvPT0_PfPT_S3_PiS6_iiPKiiiiiiiii,comdat
	.protected	_ZN5aiter36smooth_per_token_scaled_quant_kernelItaLi256ELi16ELb1ELb0ELb0ELi1024EEEvPT0_PfPT_S3_PiS6_iiPKiiiiiiiii ; -- Begin function _ZN5aiter36smooth_per_token_scaled_quant_kernelItaLi256ELi16ELb1ELb0ELb0ELi1024EEEvPT0_PfPT_S3_PiS6_iiPKiiiiiiiii
	.globl	_ZN5aiter36smooth_per_token_scaled_quant_kernelItaLi256ELi16ELb1ELb0ELb0ELi1024EEEvPT0_PfPT_S3_PiS6_iiPKiiiiiiiii
	.p2align	8
	.type	_ZN5aiter36smooth_per_token_scaled_quant_kernelItaLi256ELi16ELb1ELb0ELb0ELi1024EEEvPT0_PfPT_S3_PiS6_iiPKiiiiiiiii,@function
_ZN5aiter36smooth_per_token_scaled_quant_kernelItaLi256ELi16ELb1ELb0ELb0ELi1024EEEvPT0_PfPT_S3_PiS6_iiPKiiiiiiiii: ; @_ZN5aiter36smooth_per_token_scaled_quant_kernelItaLi256ELi16ELb1ELb0ELb0ELi1024EEEvPT0_PfPT_S3_PiS6_iiPKiiiiiiiii
; %bb.0:
	s_load_dwordx2 s[2:3], s[4:5], 0x38
	s_load_dwordx8 s[8:15], s[4:5], 0x40
	s_mov_b64 s[0:1], 0
	s_waitcnt lgkmcnt(0)
	s_cmp_lg_u64 s[2:3], 0
	s_cbranch_scc0 .LBB115_19
; %bb.1:
	s_load_dword s2, s[2:3], 0x0
	s_waitcnt lgkmcnt(0)
	s_mul_i32 s2, s2, s8
	s_andn2_b64 vcc, exec, s[0:1]
	s_cbranch_vccnz .LBB115_3
.LBB115_2:
	s_mul_i32 s2, s10, s9
.LBB115_3:
	s_load_dwordx2 s[24:25], s[4:5], 0x30
	s_abs_i32 s1, s2
	s_waitcnt lgkmcnt(0)
	s_abs_i32 s0, s24
	v_cvt_f32_u32_e32 v1, s0
	s_sub_i32 s7, 0, s0
	s_xor_b32 s3, s2, s24
	s_ashr_i32 s3, s3, 31
	v_rcp_iflag_f32_e32 v1, v1
	v_mul_f32_e32 v1, 0x4f7ffffe, v1
	v_cvt_u32_f32_e32 v1, v1
	v_readfirstlane_b32 s8, v1
	s_mul_i32 s7, s7, s8
	s_mul_hi_u32 s7, s8, s7
	s_add_i32 s8, s8, s7
	s_mul_hi_u32 s7, s1, s8
	s_mul_i32 s8, s7, s0
	s_sub_i32 s1, s1, s8
	s_add_i32 s15, s7, 1
	s_sub_i32 s8, s1, s0
	s_cmp_ge_u32 s1, s0
	s_cselect_b32 s7, s15, s7
	s_cselect_b32 s1, s8, s1
	s_add_i32 s8, s7, 1
	s_cmp_ge_u32 s1, s0
	s_cselect_b32 s0, s8, s7
	s_xor_b32 s0, s0, s3
	s_sub_i32 s7, s0, s3
	s_mul_i32 s0, s7, s24
	s_sub_i32 s2, s2, s0
	s_cmp_lt_u32 s6, s2
	s_cselect_b64 s[0:1], -1, 0
	s_add_i32 s15, s7, 1
	s_cmp_ge_u32 s6, s2
	s_cbranch_scc0 .LBB115_5
; %bb.4:
	s_mul_i32 s3, s2, s15
	s_sub_i32 s2, s6, s2
	s_mul_i32 s2, s2, s7
	s_add_i32 s8, s2, s3
	s_cbranch_execz .LBB115_6
	s_branch .LBB115_7
.LBB115_5:
                                        ; implicit-def: $sgpr8
.LBB115_6:
	s_mul_i32 s8, s15, s6
.LBB115_7:
	v_cndmask_b32_e64 v1, 0, 1, s[0:1]
	v_readfirstlane_b32 s0, v1
	s_add_i32 s15, s7, s0
	s_cmp_lt_i32 s15, 1
	s_cbranch_scc1 .LBB115_18
; %bb.8:
	v_and_b32_e32 v1, 63, v0
	v_cmp_eq_u32_e32 vcc, 63, v1
	v_lshrrev_b32_e32 v1, 4, v0
	v_and_b32_e32 v74, 60, v1
	v_and_b32_e32 v1, 3, v0
	s_abs_i32 s34, s10
	v_lshlrev_b32_e32 v75, 2, v1
	v_cvt_f32_u32_e32 v1, s34
	s_add_i32 s2, s25, 15
	s_ashr_i32 s3, s2, 31
	s_lshr_b32 s3, s3, 28
	v_rcp_iflag_f32_e32 v1, v1
	s_add_i32 s2, s2, s3
	s_ashr_i32 s2, s2, 4
	s_abs_i32 s35, s9
	v_lshlrev_b32_e32 v72, 5, v0
	v_lshlrev_b32_e32 v73, 6, v0
	v_cmp_eq_u32_e64 s[0:1], 0, v0
	v_cmp_gt_u32_e64 s[2:3], s2, v0
	v_lshlrev_b32_e32 v76, 4, v0
	v_mul_f32_e32 v0, 0x4f7ffffe, v1
	v_cvt_f32_u32_e32 v1, s35
	v_cvt_u32_f32_e32 v0, v0
	s_load_dwordx8 s[16:23], s[4:5], 0x0
	s_add_i32 s4, s25, 3
	v_rcp_iflag_f32_e32 v1, v1
	s_ashr_i32 s5, s4, 31
	s_lshr_b32 s5, s5, 30
	s_add_i32 s4, s4, s5
	v_readfirstlane_b32 s5, v0
	v_mul_f32_e32 v0, 0x4f7ffffe, v1
	v_cvt_u32_f32_e32 v0, v0
	s_and_b32 s30, s4, -4
	s_sub_i32 s4, 0, s34
	s_mul_i32 s4, s4, s5
	s_mul_hi_u32 s4, s5, s4
	s_add_i32 s37, s5, s4
	v_readfirstlane_b32 s5, v0
                                        ; implicit-def: $vgpr0_vgpr1_vgpr2_vgpr3_vgpr4_vgpr5_vgpr6_vgpr7_vgpr8_vgpr9_vgpr10_vgpr11_vgpr12_vgpr13_vgpr14_vgpr15
                                        ; implicit-def: $vgpr4_vgpr5_vgpr6_vgpr7_vgpr8_vgpr9_vgpr10_vgpr11_vgpr12_vgpr13_vgpr14_vgpr15_vgpr16_vgpr17_vgpr18_vgpr19
	s_sub_i32 s4, 0, s35
                                        ; implicit-def: $vgpr10_vgpr11_vgpr12_vgpr13_vgpr14_vgpr15_vgpr16_vgpr17_vgpr18_vgpr19_vgpr20_vgpr21_vgpr22_vgpr23_vgpr24_vgpr25
	s_mul_i32 s4, s4, s5
                                        ; implicit-def: $vgpr18_vgpr19_vgpr20_vgpr21_vgpr22_vgpr23_vgpr24_vgpr25_vgpr26_vgpr27_vgpr28_vgpr29_vgpr30_vgpr31_vgpr32_vgpr33
	s_mov_b32 s7, 0x20000
	s_waitcnt lgkmcnt(0)
	s_and_b32 s23, s23, 0xffff
	s_mul_hi_u32 s4, s5, s4
                                        ; implicit-def: $vgpr28_vgpr29_vgpr30_vgpr31_vgpr32_vgpr33_vgpr34_vgpr35_vgpr36_vgpr37_vgpr38_vgpr39_vgpr40_vgpr41_vgpr42_vgpr43
	s_mov_b32 s33, s25
	s_lshl_b32 s6, s25, 1
	s_lshl_b32 s26, s25, 2
	s_mov_b32 s27, s7
	s_ashr_i32 s36, s10, 31
	s_ashr_i32 s38, s9, 31
	s_add_i32 s39, s5, s4
	s_mov_b32 s41, -1
	s_mov_b32 s25, s23
	s_mov_b32 s40, 0x2edbe6ff
	v_mov_b32_e32 v77, 0
	s_mov_b32 s24, s22
                                        ; implicit-def: $vgpr40_vgpr41_vgpr42_vgpr43_vgpr44_vgpr45_vgpr46_vgpr47_vgpr48_vgpr49_vgpr50_vgpr51_vgpr52_vgpr53_vgpr54_vgpr55
                                        ; implicit-def: $vgpr70
                                        ; implicit-def: $vgpr54_vgpr55_vgpr56_vgpr57_vgpr58_vgpr59_vgpr60_vgpr61_vgpr62_vgpr63_vgpr64_vgpr65_vgpr66_vgpr67_vgpr68_vgpr69
	s_branch .LBB115_10
.LBB115_9:                              ;   in Loop: Header=BB115_10 Depth=1
	s_or_b64 exec, exec, s[4:5]
	s_add_i32 s15, s15, -1
	s_add_i32 s8, s8, 1
	s_cmp_eq_u32 s15, 0
	s_cbranch_scc1 .LBB115_18
.LBB115_10:                             ; =>This Inner Loop Header: Depth=1
	s_abs_i32 s28, s8
	s_mul_hi_u32 s5, s28, s37
	s_mul_i32 s22, s5, s34
	s_ashr_i32 s29, s8, 31
	s_sub_i32 s22, s28, s22
	s_xor_b32 s4, s29, s36
	s_add_i32 s23, s5, 1
	s_sub_i32 s31, s22, s34
	s_cmp_ge_u32 s22, s34
	s_cselect_b32 s5, s23, s5
	s_cselect_b32 s22, s31, s22
	s_add_i32 s23, s5, 1
	s_cmp_ge_u32 s22, s34
	s_cselect_b32 s5, s23, s5
	s_xor_b32 s5, s5, s4
	s_sub_i32 s4, s5, s4
	s_mul_i32 s5, s4, s10
	s_sub_i32 s5, s8, s5
	s_mul_i32 s22, s5, s12
	s_mul_i32 s4, s4, s11
	s_add_i32 s22, s22, s4
	s_cmp_eq_u32 s22, s41
	s_cbranch_scc1 .LBB115_12
; %bb.11:                               ;   in Loop: Header=BB115_10 Depth=1
	s_mul_hi_i32 s5, s22, s33
	s_mul_i32 s4, s22, s33
	s_lshl_b64 s[4:5], s[4:5], 1
	s_add_u32 s4, s20, s4
	s_addc_u32 s5, s21, s5
	s_and_b32 s5, s5, 0xffff
	buffer_load_dwordx4 v[4:7], v72, s[4:7], 0 offen
	buffer_load_dwordx4 v[10:13], v72, s[4:7], 16 offen
	s_mov_b32 s41, s22
	s_waitcnt vmcnt(1)
	v_cvt_f32_u32_sdwa v71, v4 dst_sel:DWORD dst_unused:UNUSED_PAD src0_sel:WORD_1
	v_cvt_f32_u32_sdwa v70, v4 dst_sel:DWORD dst_unused:UNUSED_PAD src0_sel:WORD_0
	v_cvt_f32_u32_sdwa v3, v5 dst_sel:DWORD dst_unused:UNUSED_PAD src0_sel:WORD_1
	v_cvt_f32_u32_sdwa v2, v5 dst_sel:DWORD dst_unused:UNUSED_PAD src0_sel:WORD_0
	;; [unrolled: 2-line block ×4, first 2 shown]
	s_waitcnt vmcnt(0)
	v_cvt_f32_u32_sdwa v27, v10 dst_sel:DWORD dst_unused:UNUSED_PAD src0_sel:WORD_1
	v_cvt_f32_u32_sdwa v26, v10 dst_sel:DWORD dst_unused:UNUSED_PAD src0_sel:WORD_0
	v_cvt_f32_u32_sdwa v39, v11 dst_sel:DWORD dst_unused:UNUSED_PAD src0_sel:WORD_1
	v_cvt_f32_u32_sdwa v38, v11 dst_sel:DWORD dst_unused:UNUSED_PAD src0_sel:WORD_0
	;; [unrolled: 2-line block ×4, first 2 shown]
.LBB115_12:                             ;   in Loop: Header=BB115_10 Depth=1
	buffer_load_dwordx4 v[4:7], v73, s[24:27], 0 offen
	buffer_load_dwordx4 v[10:13], v73, s[24:27], 16 offen
	s_waitcnt vmcnt(1)
	v_pk_mul_f32 v[0:1], v[70:71], v[4:5]
	v_pk_mul_f32 v[4:5], v[2:3], v[6:7]
	s_waitcnt vmcnt(0)
	v_pk_mul_f32 v[6:7], v[8:9], v[10:11]
	v_pk_mul_f32 v[10:11], v[16:17], v[12:13]
	buffer_load_dwordx4 v[12:15], v73, s[24:27], 32 offen
	buffer_load_dwordx4 v[18:21], v73, s[24:27], 48 offen
	v_max3_f32 v22, |v0|, s40, |v1|
	v_max3_f32 v22, v22, |v4|, |v5|
	v_max3_f32 v22, v22, |v6|, |v7|
	;; [unrolled: 1-line block ×3, first 2 shown]
	s_waitcnt vmcnt(1)
	v_pk_mul_f32 v[12:13], v[26:27], v[12:13]
	v_pk_mul_f32 v[14:15], v[38:39], v[14:15]
	v_max3_f32 v22, v22, |v12|, |v13|
	s_waitcnt vmcnt(0)
	v_pk_mul_f32 v[18:19], v[52:53], v[18:19]
	v_max3_f32 v22, v22, |v14|, |v15|
	v_pk_mul_f32 v[20:21], v[68:69], v[20:21]
	v_max3_f32 v22, v22, |v18|, |v19|
	v_max3_f32 v22, v22, |v20|, |v21|
	s_nop 1
	v_mov_b32_dpp v23, v22 quad_perm:[1,0,3,2] row_mask:0xf bank_mask:0xf
	v_cmp_gt_f32_e64 s[4:5], v22, v23
	v_cndmask_b32_e64 v22, v23, v22, s[4:5]
	s_nop 1
	v_mov_b32_dpp v23, v22 quad_perm:[2,3,0,1] row_mask:0xf bank_mask:0xf
	v_cmp_gt_f32_e64 s[4:5], v22, v23
	v_cndmask_b32_e64 v22, v23, v22, s[4:5]
	s_nop 1
	v_mov_b32_dpp v23, v22 row_half_mirror row_mask:0xf bank_mask:0xf
	v_cmp_gt_f32_e64 s[4:5], v22, v23
	v_cndmask_b32_e64 v22, v23, v22, s[4:5]
	s_nop 1
	v_mov_b32_dpp v23, v22 row_mirror row_mask:0xf bank_mask:0xf
	v_cmp_gt_f32_e64 s[4:5], v22, v23
	v_cndmask_b32_e64 v22, v23, v22, s[4:5]
	s_nop 1
	v_mov_b32_dpp v23, v22 row_bcast:15 row_mask:0xf bank_mask:0xf
	v_cmp_gt_f32_e64 s[4:5], v22, v23
	v_cndmask_b32_e64 v22, v23, v22, s[4:5]
	s_nop 1
	v_mov_b32_dpp v23, v22 row_bcast:31 row_mask:0xf bank_mask:0xf
	s_and_saveexec_b64 s[22:23], vcc
	s_cbranch_execz .LBB115_14
; %bb.13:                               ;   in Loop: Header=BB115_10 Depth=1
	v_cmp_gt_f32_e64 s[4:5], v22, v23
	v_cndmask_b32_e64 v22, v23, v22, s[4:5]
	ds_write_b32 v74, v22
.LBB115_14:                             ;   in Loop: Header=BB115_10 Depth=1
	s_or_b64 exec, exec, s[22:23]
	s_waitcnt lgkmcnt(0)
	s_barrier
	ds_read_b32 v22, v75
	s_waitcnt lgkmcnt(0)
	s_nop 0
	v_mov_b32_dpp v23, v22 quad_perm:[1,0,3,2] row_mask:0xf bank_mask:0xf
	v_cmp_gt_f32_e64 s[4:5], v22, v23
	v_cndmask_b32_e64 v22, v23, v22, s[4:5]
	s_nop 1
	v_mov_b32_dpp v23, v22 quad_perm:[2,3,0,1] row_mask:0xf bank_mask:0xf
	v_cmp_gt_f32_e64 s[4:5], v22, v23
	v_cndmask_b32_e64 v22, v23, v22, s[4:5]
	s_mul_hi_u32 s5, s28, s39
	s_mul_i32 s22, s5, s35
	s_sub_i32 s22, s28, s22
	s_xor_b32 s4, s29, s38
	s_add_i32 s23, s5, 1
	s_sub_i32 s28, s22, s35
	s_cmp_ge_u32 s22, s35
	s_cselect_b32 s5, s23, s5
	s_cselect_b32 s22, s28, s22
	s_add_i32 s23, s5, 1
	s_cmp_ge_u32 s22, s35
	s_cselect_b32 s5, s23, s5
	s_xor_b32 s5, s5, s4
	s_sub_i32 s4, s5, s4
	s_mul_i32 s5, s4, s9
	s_sub_i32 s5, s8, s5
	s_mul_i32 s5, s5, s14
	s_mul_i32 s4, s4, s13
	v_mul_f32_e32 v22, 0x3c010204, v22
	s_add_i32 s22, s5, s4
	s_and_saveexec_b64 s[4:5], s[0:1]
	s_cbranch_execz .LBB115_16
; %bb.15:                               ;   in Loop: Header=BB115_10 Depth=1
	s_ashr_i32 s23, s22, 31
	s_lshl_b64 s[28:29], s[22:23], 2
	s_add_u32 s28, s18, s28
	s_addc_u32 s29, s19, s29
	global_store_dword v77, v22, s[28:29]
.LBB115_16:                             ;   in Loop: Header=BB115_10 Depth=1
	s_or_b64 exec, exec, s[4:5]
	s_and_saveexec_b64 s[4:5], s[2:3]
	s_cbranch_execz .LBB115_9
; %bb.17:                               ;   in Loop: Header=BB115_10 Depth=1
	v_rcp_f32_e32 v22, v22
	s_mul_hi_i32 s23, s22, s33
	s_mul_i32 s22, s22, s33
	s_add_u32 s28, s16, s22
	v_mov_b32_e32 v23, v22
	;;#ASMSTART
	v_pk_mul_f32 v[0:1], v[0:1], v[22:23]
	;;#ASMEND
	v_cvt_i32_f32_e32 v24, v0
	v_cvt_i32_f32_sdwa v25, v1 dst_sel:BYTE_1 dst_unused:UNUSED_PAD src0_sel:DWORD
	;;#ASMSTART
	v_pk_mul_f32 v[0:1], v[4:5], v[22:23]
	;;#ASMEND
	v_cvt_i32_f32_e32 v4, v0
	v_cvt_i32_f32_sdwa v5, v1 dst_sel:BYTE_1 dst_unused:UNUSED_PAD src0_sel:DWORD
	;; [unrolled: 5-line block ×8, first 2 shown]
	v_or_b32_sdwa v4, v4, v5 dst_sel:WORD_1 dst_unused:UNUSED_PAD src0_sel:BYTE_0 src1_sel:DWORD
	v_or_b32_sdwa v5, v6, v7 dst_sel:DWORD dst_unused:UNUSED_PAD src0_sel:BYTE_0 src1_sel:DWORD
	v_or_b32_sdwa v6, v10, v11 dst_sel:WORD_1 dst_unused:UNUSED_PAD src0_sel:BYTE_0 src1_sel:DWORD
	v_or_b32_sdwa v5, v5, v6 dst_sel:DWORD dst_unused:UNUSED_PAD src0_sel:WORD_0 src1_sel:DWORD
	v_or_b32_sdwa v6, v12, v13 dst_sel:DWORD dst_unused:UNUSED_PAD src0_sel:BYTE_0 src1_sel:DWORD
	v_or_b32_sdwa v7, v14, v15 dst_sel:WORD_1 dst_unused:UNUSED_PAD src0_sel:BYTE_0 src1_sel:DWORD
	s_addc_u32 s22, s17, s23
	v_or_b32_sdwa v20, v24, v25 dst_sel:DWORD dst_unused:UNUSED_PAD src0_sel:BYTE_0 src1_sel:DWORD
	v_or_b32_sdwa v6, v6, v7 dst_sel:DWORD dst_unused:UNUSED_PAD src0_sel:WORD_0 src1_sel:DWORD
	v_or_b32_sdwa v7, v18, v19 dst_sel:DWORD dst_unused:UNUSED_PAD src0_sel:BYTE_0 src1_sel:DWORD
	v_or_b32_sdwa v0, v0, v1 dst_sel:WORD_1 dst_unused:UNUSED_PAD src0_sel:BYTE_0 src1_sel:DWORD
	s_and_b32 s29, s22, 0xffff
	s_mov_b32 s31, s7
	v_or_b32_sdwa v4, v20, v4 dst_sel:DWORD dst_unused:UNUSED_PAD src0_sel:WORD_0 src1_sel:DWORD
	v_or_b32_sdwa v7, v7, v0 dst_sel:DWORD dst_unused:UNUSED_PAD src0_sel:WORD_0 src1_sel:DWORD
	buffer_store_dwordx4 v[4:7], v76, s[28:31], 0 offen
	;;#ASMSTART
	s_nop 0
	;;#ASMEND
	s_branch .LBB115_9
.LBB115_18:
	s_endpgm
.LBB115_19:
                                        ; implicit-def: $sgpr2
	s_branch .LBB115_2
	.section	.rodata,"a",@progbits
	.p2align	6, 0x0
	.amdhsa_kernel _ZN5aiter36smooth_per_token_scaled_quant_kernelItaLi256ELi16ELb1ELb0ELb0ELi1024EEEvPT0_PfPT_S3_PiS6_iiPKiiiiiiiii
		.amdhsa_group_segment_fixed_size 16
		.amdhsa_private_segment_fixed_size 0
		.amdhsa_kernarg_size 96
		.amdhsa_user_sgpr_count 6
		.amdhsa_user_sgpr_private_segment_buffer 1
		.amdhsa_user_sgpr_dispatch_ptr 0
		.amdhsa_user_sgpr_queue_ptr 0
		.amdhsa_user_sgpr_kernarg_segment_ptr 1
		.amdhsa_user_sgpr_dispatch_id 0
		.amdhsa_user_sgpr_flat_scratch_init 0
		.amdhsa_user_sgpr_kernarg_preload_length 0
		.amdhsa_user_sgpr_kernarg_preload_offset 0
		.amdhsa_user_sgpr_private_segment_size 0
		.amdhsa_uses_dynamic_stack 0
		.amdhsa_system_sgpr_private_segment_wavefront_offset 0
		.amdhsa_system_sgpr_workgroup_id_x 1
		.amdhsa_system_sgpr_workgroup_id_y 0
		.amdhsa_system_sgpr_workgroup_id_z 0
		.amdhsa_system_sgpr_workgroup_info 0
		.amdhsa_system_vgpr_workitem_id 0
		.amdhsa_next_free_vgpr 78
		.amdhsa_next_free_sgpr 42
		.amdhsa_accum_offset 80
		.amdhsa_reserve_vcc 1
		.amdhsa_reserve_flat_scratch 0
		.amdhsa_float_round_mode_32 0
		.amdhsa_float_round_mode_16_64 0
		.amdhsa_float_denorm_mode_32 3
		.amdhsa_float_denorm_mode_16_64 3
		.amdhsa_dx10_clamp 1
		.amdhsa_ieee_mode 1
		.amdhsa_fp16_overflow 0
		.amdhsa_tg_split 0
		.amdhsa_exception_fp_ieee_invalid_op 0
		.amdhsa_exception_fp_denorm_src 0
		.amdhsa_exception_fp_ieee_div_zero 0
		.amdhsa_exception_fp_ieee_overflow 0
		.amdhsa_exception_fp_ieee_underflow 0
		.amdhsa_exception_fp_ieee_inexact 0
		.amdhsa_exception_int_div_zero 0
	.end_amdhsa_kernel
	.section	.text._ZN5aiter36smooth_per_token_scaled_quant_kernelItaLi256ELi16ELb1ELb0ELb0ELi1024EEEvPT0_PfPT_S3_PiS6_iiPKiiiiiiiii,"axG",@progbits,_ZN5aiter36smooth_per_token_scaled_quant_kernelItaLi256ELi16ELb1ELb0ELb0ELi1024EEEvPT0_PfPT_S3_PiS6_iiPKiiiiiiiii,comdat
.Lfunc_end115:
	.size	_ZN5aiter36smooth_per_token_scaled_quant_kernelItaLi256ELi16ELb1ELb0ELb0ELi1024EEEvPT0_PfPT_S3_PiS6_iiPKiiiiiiiii, .Lfunc_end115-_ZN5aiter36smooth_per_token_scaled_quant_kernelItaLi256ELi16ELb1ELb0ELb0ELi1024EEEvPT0_PfPT_S3_PiS6_iiPKiiiiiiiii
                                        ; -- End function
	.section	.AMDGPU.csdata,"",@progbits
; Kernel info:
; codeLenInByte = 1704
; NumSgprs: 46
; NumVgprs: 78
; NumAgprs: 0
; TotalNumVgprs: 78
; ScratchSize: 0
; MemoryBound: 0
; FloatMode: 240
; IeeeMode: 1
; LDSByteSize: 16 bytes/workgroup (compile time only)
; SGPRBlocks: 5
; VGPRBlocks: 9
; NumSGPRsForWavesPerEU: 46
; NumVGPRsForWavesPerEU: 78
; AccumOffset: 80
; Occupancy: 6
; WaveLimiterHint : 0
; COMPUTE_PGM_RSRC2:SCRATCH_EN: 0
; COMPUTE_PGM_RSRC2:USER_SGPR: 6
; COMPUTE_PGM_RSRC2:TRAP_HANDLER: 0
; COMPUTE_PGM_RSRC2:TGID_X_EN: 1
; COMPUTE_PGM_RSRC2:TGID_Y_EN: 0
; COMPUTE_PGM_RSRC2:TGID_Z_EN: 0
; COMPUTE_PGM_RSRC2:TIDIG_COMP_CNT: 0
; COMPUTE_PGM_RSRC3_GFX90A:ACCUM_OFFSET: 19
; COMPUTE_PGM_RSRC3_GFX90A:TG_SPLIT: 0
	.section	.text._ZN5aiter36smooth_per_token_scaled_quant_kernelIDF16_aLi256ELi16ELb0ELb1ELb1ELi1024EEEvPT0_PfPT_S3_PiS6_iiPKiiiiiiiii,"axG",@progbits,_ZN5aiter36smooth_per_token_scaled_quant_kernelIDF16_aLi256ELi16ELb0ELb1ELb1ELi1024EEEvPT0_PfPT_S3_PiS6_iiPKiiiiiiiii,comdat
	.protected	_ZN5aiter36smooth_per_token_scaled_quant_kernelIDF16_aLi256ELi16ELb0ELb1ELb1ELi1024EEEvPT0_PfPT_S3_PiS6_iiPKiiiiiiiii ; -- Begin function _ZN5aiter36smooth_per_token_scaled_quant_kernelIDF16_aLi256ELi16ELb0ELb1ELb1ELi1024EEEvPT0_PfPT_S3_PiS6_iiPKiiiiiiiii
	.globl	_ZN5aiter36smooth_per_token_scaled_quant_kernelIDF16_aLi256ELi16ELb0ELb1ELb1ELi1024EEEvPT0_PfPT_S3_PiS6_iiPKiiiiiiiii
	.p2align	8
	.type	_ZN5aiter36smooth_per_token_scaled_quant_kernelIDF16_aLi256ELi16ELb0ELb1ELb1ELi1024EEEvPT0_PfPT_S3_PiS6_iiPKiiiiiiiii,@function
_ZN5aiter36smooth_per_token_scaled_quant_kernelIDF16_aLi256ELi16ELb0ELb1ELb1ELi1024EEEvPT0_PfPT_S3_PiS6_iiPKiiiiiiiii: ; @_ZN5aiter36smooth_per_token_scaled_quant_kernelIDF16_aLi256ELi16ELb0ELb1ELb1ELi1024EEEvPT0_PfPT_S3_PiS6_iiPKiiiiiiiii
; %bb.0:
	s_load_dwordx2 s[16:17], s[4:5], 0x38
	s_load_dwordx2 s[0:1], s[4:5], 0x28
	s_load_dwordx8 s[8:15], s[4:5], 0x40
	s_mov_b64 s[2:3], 0
	s_waitcnt lgkmcnt(0)
	s_cmp_lg_u64 s[16:17], 0
	s_cbranch_scc0 .LBB116_11
; %bb.1:
	s_load_dword s7, s[16:17], 0x0
	s_waitcnt lgkmcnt(0)
	s_mul_i32 s7, s7, s8
	s_andn2_b64 vcc, exec, s[2:3]
	s_cbranch_vccnz .LBB116_3
.LBB116_2:
	s_mul_i32 s7, s10, s9
.LBB116_3:
	s_load_dwordx2 s[8:9], s[4:5], 0x30
	v_and_b32_e32 v1, 0x3c0, v0
	v_lshlrev_b32_e32 v1, 2, v1
	s_lshl_b32 s2, s15, 2
	v_lshlrev_b32_e32 v2, 2, v0
	v_readfirstlane_b32 s15, v1
	v_add_u32_e32 v3, 0x400, v1
	s_and_b32 s1, s1, 0xffff
	s_mov_b32 s3, 0x20000
	;;#ASMSTART
	s_mov_b32 m0 s15
	buffer_load_dword v2, s[0:3], 0 offen offset:0 lds
	
	;;#ASMEND
	v_readfirstlane_b32 s15, v3
	v_add_u32_e32 v3, 0x400, v2
	;;#ASMSTART
	s_mov_b32 m0 s15
	buffer_load_dword v3, s[0:3], 0 offen offset:0 lds
	
	;;#ASMEND
	v_add_u32_e32 v3, 0x800, v1
	s_waitcnt lgkmcnt(0)
	s_abs_i32 s16, s8
	v_readfirstlane_b32 s15, v3
	v_cvt_f32_u32_e32 v3, s16
	v_add_u32_e32 v1, 0xc00, v1
	v_add_u32_e32 v4, 0x800, v2
	v_readfirstlane_b32 s18, v1
	v_rcp_iflag_f32_e32 v3, v3
	v_add_u32_e32 v1, 0xc00, v2
	s_sub_i32 s19, 0, s16
	s_abs_i32 s17, s7
	v_mul_f32_e32 v2, 0x4f7ffffe, v3
	v_cvt_u32_f32_e32 v2, v2
	;;#ASMSTART
	s_mov_b32 m0 s15
	buffer_load_dword v4, s[0:3], 0 offen offset:0 lds
	
	;;#ASMEND
	s_xor_b32 s15, s7, s8
	s_ashr_i32 s15, s15, 31
	v_readfirstlane_b32 s20, v2
	s_mul_i32 s19, s19, s20
	s_mul_hi_u32 s19, s20, s19
	s_add_i32 s20, s20, s19
	s_mul_hi_u32 s19, s17, s20
	s_mul_i32 s20, s19, s16
	s_sub_i32 s17, s17, s20
	s_add_i32 s20, s19, 1
	s_sub_i32 s21, s17, s16
	s_cmp_ge_u32 s17, s16
	s_cselect_b32 s19, s20, s19
	s_cselect_b32 s17, s21, s17
	s_add_i32 s20, s19, 1
	s_cmp_ge_u32 s17, s16
	s_cselect_b32 s16, s20, s19
	s_xor_b32 s16, s16, s15
	s_sub_i32 s15, s16, s15
	s_mul_i32 s8, s15, s8
	s_sub_i32 s8, s7, s8
	s_cmp_lt_u32 s6, s8
	;;#ASMSTART
	s_mov_b32 m0 s18
	buffer_load_dword v1, s[0:3], 0 offen offset:0 lds
	
	;;#ASMEND
	s_cselect_b64 s[16:17], -1, 0
	s_add_i32 s7, s15, 1
	s_cmp_ge_u32 s6, s8
	s_cbranch_scc0 .LBB116_5
; %bb.4:
	s_sub_i32 s1, s6, s8
	s_mul_i32 s0, s8, s7
	s_mul_i32 s1, s1, s15
	s_add_i32 s34, s1, s0
	s_cbranch_execz .LBB116_6
	s_branch .LBB116_7
.LBB116_5:
                                        ; implicit-def: $sgpr34
.LBB116_6:
	s_mul_i32 s34, s7, s6
.LBB116_7:
	v_cndmask_b32_e64 v1, 0, 1, s[16:17]
	v_readfirstlane_b32 s0, v1
	s_add_i32 s8, s15, s0
	s_cmp_lt_i32 s8, 1
	s_cbranch_scc1 .LBB116_35
; %bb.8:
	s_load_dwordx2 s[0:1], s[4:5], 0x20
	s_ashr_i32 s35, s34, 31
	s_lshl_b64 s[2:3], s[34:35], 2
	v_and_b32_e32 v1, 63, v0
	s_mov_b32 s27, 0x20000
	s_waitcnt lgkmcnt(0)
	s_add_u32 s24, s0, s2
	s_addc_u32 s0, s1, s3
	s_lshl_b32 s26, s8, 2
	s_and_b32 s25, s0, 0xffff
	v_lshlrev_b32_e32 v38, 2, v1
	buffer_load_dword v2, v38, s[24:27], 0 offen
	s_abs_i32 s40, s10
	v_cmp_eq_u32_e64 s[0:1], 63, v1
	v_cvt_f32_u32_e32 v1, s40
	s_add_i32 s2, s9, 15
	s_load_dwordx8 s[16:23], s[4:5], 0x0
	s_ashr_i32 s4, s2, 31
	v_rcp_iflag_f32_e32 v1, v1
	s_waitcnt vmcnt(0) lgkmcnt(0)
	s_barrier
	v_mul_f32_e32 v1, 0x4f7ffffe, v1
	v_cvt_u32_f32_e32 v1, v1
	s_add_i32 s3, s9, 3
	s_lshr_b32 s4, s4, 28
	s_ashr_i32 s5, s3, 31
	s_add_i32 s2, s2, s4
	s_sub_i32 s4, 0, s40
	v_readfirstlane_b32 s41, v1
	s_lshr_b32 s5, s5, 30
	s_mul_i32 s4, s4, s41
	s_add_i32 s3, s3, s5
	s_mul_hi_u32 s4, s41, s4
	v_lshrrev_b32_e32 v3, 4, v0
	v_mov_b32_e32 v4, 0x1000
	v_and_b32_e32 v5, 3, v0
	s_lshl_b32 s6, s9, 1
	s_lshl_b32 s30, s9, 2
	s_ashr_i32 s33, s10, 31
	s_ashr_i32 s2, s2, 4
	s_and_b32 s38, s3, -4
	s_add_i32 s41, s41, s4
	s_mov_b32 s15, s9
	v_lshlrev_b32_e32 v32, 5, v0
	v_lshlrev_b32_e32 v33, 6, v0
	v_cmp_eq_u32_e32 vcc, 0, v0
	v_and_or_b32 v34, v3, 60, v4
	v_lshl_or_b32 v35, v5, 2, v4
	v_cmp_gt_u32_e64 s[2:3], s2, v0
	v_lshlrev_b32_e32 v36, 4, v0
	v_lshlrev_b32_e32 v2, 2, v2
	ds_read_b32 v37, v2
	s_waitcnt lgkmcnt(0)
	v_readlane_b32 s28, v37, 0
	s_cmp_lt_i32 s28, 0
	s_cbranch_scc1 .LBB116_12
; %bb.9:
	s_abs_i32 s4, s34
	s_mul_hi_u32 s5, s4, s41
	s_mul_i32 s27, s5, s40
	s_sub_i32 s4, s4, s27
	s_xor_b32 s7, s35, s33
	s_add_i32 s27, s5, 1
	s_sub_i32 s29, s4, s40
	s_cmp_ge_u32 s4, s40
	s_cselect_b32 s5, s27, s5
	s_cselect_b32 s4, s29, s4
	s_add_i32 s27, s5, 1
	s_cmp_ge_u32 s4, s40
	s_cselect_b32 s4, s27, s5
	s_xor_b32 s4, s4, s7
	s_sub_i32 s27, s4, s7
	s_mul_i32 s4, s27, s10
	s_sub_i32 s36, s34, s4
	s_mul_i32 s4, s36, s12
	s_mul_i32 s5, s27, s11
	s_add_i32 s35, s4, s5
	s_cmp_eq_u32 s35, -1
	s_cbranch_scc1 .LBB116_13
; %bb.10:
	s_mul_hi_i32 s5, s35, s15
	s_mul_i32 s4, s35, s15
	s_lshl_b64 s[4:5], s[4:5], 1
	s_add_u32 s4, s20, s4
	s_addc_u32 s5, s21, s5
	s_and_b32 s5, s5, 0xffff
	s_mov_b32 s7, 0x20000
	buffer_load_dwordx4 v[4:7], v32, s[4:7], 0 offen
	buffer_load_dwordx4 v[12:15], v32, s[4:7], 16 offen
	s_waitcnt vmcnt(1)
	v_cvt_f32_f16_e32 v0, v4
	v_cvt_f32_f16_sdwa v1, v4 dst_sel:DWORD dst_unused:UNUSED_PAD src0_sel:WORD_1
	v_cvt_f32_f16_e32 v2, v5
	v_cvt_f32_f16_sdwa v3, v5 dst_sel:DWORD dst_unused:UNUSED_PAD src0_sel:WORD_1
	;; [unrolled: 2-line block ×4, first 2 shown]
	s_waitcnt vmcnt(0)
	v_cvt_f32_f16_e32 v8, v12
	v_cvt_f32_f16_sdwa v9, v12 dst_sel:DWORD dst_unused:UNUSED_PAD src0_sel:WORD_1
	v_cvt_f32_f16_e32 v10, v13
	v_cvt_f32_f16_sdwa v11, v13 dst_sel:DWORD dst_unused:UNUSED_PAD src0_sel:WORD_1
	;; [unrolled: 2-line block ×4, first 2 shown]
	s_branch .LBB116_14
.LBB116_11:
                                        ; implicit-def: $sgpr7
	s_branch .LBB116_2
.LBB116_12:
	s_mov_b32 s35, -1
                                        ; implicit-def: $vgpr0_vgpr1_vgpr2_vgpr3_vgpr4_vgpr5_vgpr6_vgpr7_vgpr8_vgpr9_vgpr10_vgpr11_vgpr12_vgpr13_vgpr14_vgpr15
	s_cmp_eq_u32 s8, 1
	s_mov_b32 s42, 1
	s_cbranch_scc0 .LBB116_21
	s_branch .LBB116_35
.LBB116_13:
                                        ; implicit-def: $vgpr0_vgpr1_vgpr2_vgpr3_vgpr4_vgpr5_vgpr6_vgpr7_vgpr8_vgpr9_vgpr10_vgpr11_vgpr12_vgpr13_vgpr14_vgpr15
.LBB116_14:
	s_mul_i32 s4, s28, s9
	s_ashr_i32 s5, s4, 31
	s_lshl_b64 s[4:5], s[4:5], 2
	s_add_u32 s28, s22, s4
	s_addc_u32 s4, s23, s5
	s_and_b32 s29, s4, 0xffff
	s_mov_b32 s31, 0x20000
	buffer_load_dwordx4 v[16:19], v33, s[28:31], 0 offen
	buffer_load_dwordx4 v[20:23], v33, s[28:31], 16 offen
	;; [unrolled: 1-line block ×4, first 2 shown]
	s_mov_b32 s4, 0x2edbe6ff
	s_waitcnt vmcnt(3)
	v_pk_mul_f32 v[16:17], v[0:1], v[16:17]
	v_pk_mul_f32 v[18:19], v[2:3], v[18:19]
	v_max3_f32 v39, |v16|, s4, |v17|
	s_waitcnt vmcnt(2)
	v_pk_mul_f32 v[20:21], v[4:5], v[20:21]
	v_max3_f32 v39, v39, |v18|, |v19|
	v_pk_mul_f32 v[22:23], v[6:7], v[22:23]
	v_max3_f32 v39, v39, |v20|, |v21|
	s_waitcnt vmcnt(1)
	v_pk_mul_f32 v[24:25], v[8:9], v[24:25]
	v_max3_f32 v39, v39, |v22|, |v23|
	v_pk_mul_f32 v[26:27], v[10:11], v[26:27]
	v_max3_f32 v39, v39, |v24|, |v25|
	;; [unrolled: 5-line block ×3, first 2 shown]
	v_max3_f32 v39, v39, |v30|, |v31|
	s_nop 1
	v_mov_b32_dpp v40, v39 quad_perm:[1,0,3,2] row_mask:0xf bank_mask:0xf
	v_cmp_gt_f32_e64 s[4:5], v39, v40
	v_cndmask_b32_e64 v39, v40, v39, s[4:5]
	s_nop 1
	v_mov_b32_dpp v40, v39 quad_perm:[2,3,0,1] row_mask:0xf bank_mask:0xf
	v_cmp_gt_f32_e64 s[4:5], v39, v40
	v_cndmask_b32_e64 v39, v40, v39, s[4:5]
	s_nop 1
	v_mov_b32_dpp v40, v39 row_half_mirror row_mask:0xf bank_mask:0xf
	v_cmp_gt_f32_e64 s[4:5], v39, v40
	v_cndmask_b32_e64 v39, v40, v39, s[4:5]
	s_nop 1
	v_mov_b32_dpp v40, v39 row_mirror row_mask:0xf bank_mask:0xf
	v_cmp_gt_f32_e64 s[4:5], v39, v40
	v_cndmask_b32_e64 v39, v40, v39, s[4:5]
	s_nop 1
	v_mov_b32_dpp v40, v39 row_bcast:15 row_mask:0xf bank_mask:0xf
	v_cmp_gt_f32_e64 s[4:5], v39, v40
	v_cndmask_b32_e64 v39, v40, v39, s[4:5]
	s_nop 1
	v_mov_b32_dpp v40, v39 row_bcast:31 row_mask:0xf bank_mask:0xf
	s_and_saveexec_b64 s[28:29], s[0:1]
	s_cbranch_execz .LBB116_16
; %bb.15:
	v_cmp_gt_f32_e64 s[4:5], v39, v40
	v_cndmask_b32_e64 v39, v40, v39, s[4:5]
	ds_write_b32 v34, v39
.LBB116_16:
	s_or_b64 exec, exec, s[28:29]
	s_waitcnt lgkmcnt(0)
	s_barrier
	ds_read_b32 v39, v35
	s_mul_i32 s27, s27, s13
	s_waitcnt lgkmcnt(0)
	v_mov_b32_dpp v40, v39 quad_perm:[1,0,3,2] row_mask:0xf bank_mask:0xf
	v_cmp_gt_f32_e64 s[4:5], v39, v40
	v_cndmask_b32_e64 v39, v40, v39, s[4:5]
	s_nop 1
	v_mov_b32_dpp v40, v39 quad_perm:[2,3,0,1] row_mask:0xf bank_mask:0xf
	v_cmp_gt_f32_e64 s[4:5], v39, v40
	v_cndmask_b32_e64 v39, v40, v39, s[4:5]
	s_mul_i32 s4, s36, s14
	v_mul_f32_e32 v39, 0x3c010204, v39
	s_add_i32 s28, s4, s27
	s_and_saveexec_b64 s[4:5], vcc
	s_cbranch_execz .LBB116_18
; %bb.17:
	s_ashr_i32 s29, s28, 31
	s_lshl_b64 s[36:37], s[28:29], 2
	s_add_u32 s36, s18, s36
	s_addc_u32 s37, s19, s37
	v_mov_b32_e32 v40, 0
	global_store_dword v40, v39, s[36:37]
.LBB116_18:
	s_or_b64 exec, exec, s[4:5]
	s_and_saveexec_b64 s[4:5], s[2:3]
	s_cbranch_execz .LBB116_20
; %bb.19:
	v_rcp_f32_e32 v40, v39
	s_mul_i32 s27, s28, s15
	s_mul_hi_i32 s7, s28, s15
	s_add_u32 s36, s16, s27
	v_mov_b32_e32 v41, v40
	;;#ASMSTART
	v_pk_mul_f32 v[16:17], v[16:17], v[40:41]
	;;#ASMEND
	v_cvt_i32_f32_e32 v39, v16
	v_cvt_i32_f32_sdwa v42, v17 dst_sel:BYTE_1 dst_unused:UNUSED_PAD src0_sel:DWORD
	;;#ASMSTART
	v_pk_mul_f32 v[16:17], v[18:19], v[40:41]
	;;#ASMEND
	v_cvt_i32_f32_e32 v18, v16
	v_cvt_i32_f32_sdwa v19, v17 dst_sel:BYTE_1 dst_unused:UNUSED_PAD src0_sel:DWORD
	;; [unrolled: 5-line block ×8, first 2 shown]
	v_or_b32_sdwa v16, v39, v42 dst_sel:DWORD dst_unused:UNUSED_PAD src0_sel:BYTE_0 src1_sel:DWORD
	v_or_b32_sdwa v17, v18, v19 dst_sel:WORD_1 dst_unused:UNUSED_PAD src0_sel:BYTE_0 src1_sel:DWORD
	v_or_b32_sdwa v16, v16, v17 dst_sel:DWORD dst_unused:UNUSED_PAD src0_sel:WORD_0 src1_sel:DWORD
	v_or_b32_sdwa v17, v20, v21 dst_sel:DWORD dst_unused:UNUSED_PAD src0_sel:BYTE_0 src1_sel:DWORD
	v_or_b32_sdwa v18, v22, v23 dst_sel:WORD_1 dst_unused:UNUSED_PAD src0_sel:BYTE_0 src1_sel:DWORD
	v_or_b32_sdwa v17, v17, v18 dst_sel:DWORD dst_unused:UNUSED_PAD src0_sel:WORD_0 src1_sel:DWORD
	v_or_b32_sdwa v18, v24, v25 dst_sel:DWORD dst_unused:UNUSED_PAD src0_sel:BYTE_0 src1_sel:DWORD
	v_or_b32_sdwa v19, v26, v27 dst_sel:WORD_1 dst_unused:UNUSED_PAD src0_sel:BYTE_0 src1_sel:DWORD
	s_addc_u32 s7, s17, s7
	v_or_b32_sdwa v18, v18, v19 dst_sel:DWORD dst_unused:UNUSED_PAD src0_sel:WORD_0 src1_sel:DWORD
	v_or_b32_sdwa v19, v28, v29 dst_sel:DWORD dst_unused:UNUSED_PAD src0_sel:BYTE_0 src1_sel:DWORD
	v_or_b32_sdwa v20, v30, v31 dst_sel:WORD_1 dst_unused:UNUSED_PAD src0_sel:BYTE_0 src1_sel:DWORD
	s_and_b32 s37, s7, 0xffff
	s_mov_b32 s39, 0x20000
	v_or_b32_sdwa v19, v19, v20 dst_sel:DWORD dst_unused:UNUSED_PAD src0_sel:WORD_0 src1_sel:DWORD
	buffer_store_dwordx4 v[16:19], v36, s[36:39], 0 offen
	;;#ASMSTART
	s_nop 0
	;;#ASMEND
.LBB116_20:
	s_or_b64 exec, exec, s[4:5]
	s_cmp_eq_u32 s8, 1
	s_mov_b32 s42, 1
	s_cbranch_scc1 .LBB116_35
.LBB116_21:
	v_add_u32_e32 v38, 4, v38
	s_mov_b32 s31, 0x20000
	s_mov_b32 s43, 0x2edbe6ff
	v_mov_b32_e32 v39, 0
	s_branch .LBB116_24
.LBB116_22:                             ;   in Loop: Header=BB116_24 Depth=1
	s_or_b64 exec, exec, s[4:5]
.LBB116_23:                             ;   in Loop: Header=BB116_24 Depth=1
	s_add_i32 s42, s42, 1
	s_cmp_eq_u32 s8, s42
	v_add_u32_e32 v38, 4, v38
	s_cbranch_scc1 .LBB116_35
.LBB116_24:                             ; =>This Inner Loop Header: Depth=1
	s_and_b32 s4, s42, 63
	s_cmp_lg_u32 s4, 0
	s_cbranch_scc1 .LBB116_26
; %bb.25:                               ;   in Loop: Header=BB116_24 Depth=1
	s_mov_b32 s27, s31
	buffer_load_dword v16, v38, s[24:27], 0 offen
	s_waitcnt vmcnt(0)
	v_lshlrev_b32_e32 v16, 2, v16
	ds_read_b32 v37, v16
.LBB116_26:                             ;   in Loop: Header=BB116_24 Depth=1
	s_waitcnt lgkmcnt(0)
	v_readlane_b32 s28, v37, s4
	s_cmp_lt_i32 s28, 0
	s_cbranch_scc1 .LBB116_23
; %bb.27:                               ;   in Loop: Header=BB116_24 Depth=1
	s_add_i32 s4, s34, s42
	s_abs_i32 s7, s4
	s_mul_hi_u32 s27, s7, s41
	s_mul_i32 s29, s27, s40
	s_ashr_i32 s5, s4, 31
	s_sub_i32 s7, s7, s29
	s_xor_b32 s5, s5, s33
	s_add_i32 s29, s27, 1
	s_sub_i32 s36, s7, s40
	s_cmp_ge_u32 s7, s40
	s_cselect_b32 s27, s29, s27
	s_cselect_b32 s7, s36, s7
	s_add_i32 s29, s27, 1
	s_cmp_ge_u32 s7, s40
	s_cselect_b32 s7, s29, s27
	s_xor_b32 s7, s7, s5
	s_sub_i32 s27, s7, s5
	s_mul_i32 s5, s27, s10
	s_sub_i32 s36, s4, s5
	s_mul_i32 s29, s36, s12
	s_mul_i32 s4, s27, s11
	s_add_i32 s29, s29, s4
	s_cmp_eq_u32 s29, s35
	s_cbranch_scc1 .LBB116_29
; %bb.28:                               ;   in Loop: Header=BB116_24 Depth=1
	s_mul_hi_i32 s5, s29, s15
	s_mul_i32 s4, s29, s15
	s_lshl_b64 s[4:5], s[4:5], 1
	s_add_u32 s4, s20, s4
	s_addc_u32 s5, s21, s5
	s_and_b32 s5, s5, 0xffff
	s_mov_b32 s7, s31
	buffer_load_dwordx4 v[4:7], v32, s[4:7], 0 offen
	buffer_load_dwordx4 v[12:15], v32, s[4:7], 16 offen
	s_mov_b32 s35, s29
	s_waitcnt vmcnt(1)
	v_cvt_f32_f16_e32 v0, v4
	v_cvt_f32_f16_sdwa v1, v4 dst_sel:DWORD dst_unused:UNUSED_PAD src0_sel:WORD_1
	v_cvt_f32_f16_e32 v2, v5
	v_cvt_f32_f16_sdwa v3, v5 dst_sel:DWORD dst_unused:UNUSED_PAD src0_sel:WORD_1
	v_cvt_f32_f16_e32 v4, v6
	v_cvt_f32_f16_sdwa v5, v6 dst_sel:DWORD dst_unused:UNUSED_PAD src0_sel:WORD_1
	v_cvt_f32_f16_e32 v6, v7
	v_cvt_f32_f16_sdwa v7, v7 dst_sel:DWORD dst_unused:UNUSED_PAD src0_sel:WORD_1
	s_waitcnt vmcnt(0)
	v_cvt_f32_f16_e32 v8, v12
	v_cvt_f32_f16_sdwa v9, v12 dst_sel:DWORD dst_unused:UNUSED_PAD src0_sel:WORD_1
	v_cvt_f32_f16_e32 v10, v13
	v_cvt_f32_f16_sdwa v11, v13 dst_sel:DWORD dst_unused:UNUSED_PAD src0_sel:WORD_1
	;; [unrolled: 2-line block ×4, first 2 shown]
.LBB116_29:                             ;   in Loop: Header=BB116_24 Depth=1
	s_mul_i32 s4, s28, s9
	s_ashr_i32 s5, s4, 31
	s_lshl_b64 s[4:5], s[4:5], 2
	s_add_u32 s28, s22, s4
	s_addc_u32 s4, s23, s5
	s_and_b32 s29, s4, 0xffff
	buffer_load_dwordx4 v[16:19], v33, s[28:31], 0 offen
	buffer_load_dwordx4 v[20:23], v33, s[28:31], 16 offen
	;; [unrolled: 1-line block ×4, first 2 shown]
	s_waitcnt vmcnt(3)
	v_pk_mul_f32 v[16:17], v[0:1], v[16:17]
	v_pk_mul_f32 v[18:19], v[2:3], v[18:19]
	v_max3_f32 v40, |v16|, s43, |v17|
	s_waitcnt vmcnt(2)
	v_pk_mul_f32 v[20:21], v[4:5], v[20:21]
	v_max3_f32 v40, v40, |v18|, |v19|
	v_pk_mul_f32 v[22:23], v[6:7], v[22:23]
	v_max3_f32 v40, v40, |v20|, |v21|
	s_waitcnt vmcnt(1)
	v_pk_mul_f32 v[24:25], v[8:9], v[24:25]
	v_max3_f32 v40, v40, |v22|, |v23|
	v_pk_mul_f32 v[26:27], v[10:11], v[26:27]
	v_max3_f32 v40, v40, |v24|, |v25|
	;; [unrolled: 5-line block ×3, first 2 shown]
	v_max3_f32 v40, v40, |v30|, |v31|
	s_nop 1
	v_mov_b32_dpp v41, v40 quad_perm:[1,0,3,2] row_mask:0xf bank_mask:0xf
	v_cmp_gt_f32_e64 s[4:5], v40, v41
	v_cndmask_b32_e64 v40, v41, v40, s[4:5]
	s_nop 1
	v_mov_b32_dpp v41, v40 quad_perm:[2,3,0,1] row_mask:0xf bank_mask:0xf
	v_cmp_gt_f32_e64 s[4:5], v40, v41
	v_cndmask_b32_e64 v40, v41, v40, s[4:5]
	s_nop 1
	v_mov_b32_dpp v41, v40 row_half_mirror row_mask:0xf bank_mask:0xf
	v_cmp_gt_f32_e64 s[4:5], v40, v41
	v_cndmask_b32_e64 v40, v41, v40, s[4:5]
	s_nop 1
	v_mov_b32_dpp v41, v40 row_mirror row_mask:0xf bank_mask:0xf
	v_cmp_gt_f32_e64 s[4:5], v40, v41
	v_cndmask_b32_e64 v40, v41, v40, s[4:5]
	s_nop 1
	v_mov_b32_dpp v41, v40 row_bcast:15 row_mask:0xf bank_mask:0xf
	v_cmp_gt_f32_e64 s[4:5], v40, v41
	v_cndmask_b32_e64 v40, v41, v40, s[4:5]
	s_nop 1
	v_mov_b32_dpp v41, v40 row_bcast:31 row_mask:0xf bank_mask:0xf
	s_and_saveexec_b64 s[28:29], s[0:1]
	s_cbranch_execz .LBB116_31
; %bb.30:                               ;   in Loop: Header=BB116_24 Depth=1
	v_cmp_gt_f32_e64 s[4:5], v40, v41
	v_cndmask_b32_e64 v40, v41, v40, s[4:5]
	ds_write_b32 v34, v40
.LBB116_31:                             ;   in Loop: Header=BB116_24 Depth=1
	s_or_b64 exec, exec, s[28:29]
	s_waitcnt lgkmcnt(0)
	s_barrier
	ds_read_b32 v40, v35
	s_mul_i32 s27, s27, s13
	s_waitcnt lgkmcnt(0)
	v_mov_b32_dpp v41, v40 quad_perm:[1,0,3,2] row_mask:0xf bank_mask:0xf
	v_cmp_gt_f32_e64 s[4:5], v40, v41
	v_cndmask_b32_e64 v40, v41, v40, s[4:5]
	s_nop 1
	v_mov_b32_dpp v41, v40 quad_perm:[2,3,0,1] row_mask:0xf bank_mask:0xf
	v_cmp_gt_f32_e64 s[4:5], v40, v41
	v_cndmask_b32_e64 v40, v41, v40, s[4:5]
	s_mul_i32 s4, s36, s14
	v_mul_f32_e32 v40, 0x3c010204, v40
	s_add_i32 s28, s4, s27
	s_and_saveexec_b64 s[4:5], vcc
	s_cbranch_execz .LBB116_33
; %bb.32:                               ;   in Loop: Header=BB116_24 Depth=1
	s_ashr_i32 s29, s28, 31
	s_lshl_b64 s[36:37], s[28:29], 2
	s_add_u32 s36, s18, s36
	s_addc_u32 s37, s19, s37
	global_store_dword v39, v40, s[36:37]
.LBB116_33:                             ;   in Loop: Header=BB116_24 Depth=1
	s_or_b64 exec, exec, s[4:5]
	s_and_saveexec_b64 s[4:5], s[2:3]
	s_cbranch_execz .LBB116_22
; %bb.34:                               ;   in Loop: Header=BB116_24 Depth=1
	v_rcp_f32_e32 v40, v40
	s_mul_i32 s27, s28, s15
	s_mul_hi_i32 s7, s28, s15
	s_add_u32 s36, s16, s27
	v_mov_b32_e32 v41, v40
	;;#ASMSTART
	v_pk_mul_f32 v[16:17], v[16:17], v[40:41]
	;;#ASMEND
	v_cvt_i32_f32_e32 v42, v16
	v_cvt_i32_f32_sdwa v43, v17 dst_sel:BYTE_1 dst_unused:UNUSED_PAD src0_sel:DWORD
	;;#ASMSTART
	v_pk_mul_f32 v[16:17], v[18:19], v[40:41]
	;;#ASMEND
	v_cvt_i32_f32_e32 v18, v16
	v_cvt_i32_f32_sdwa v19, v17 dst_sel:BYTE_1 dst_unused:UNUSED_PAD src0_sel:DWORD
	;; [unrolled: 5-line block ×8, first 2 shown]
	v_or_b32_sdwa v16, v42, v43 dst_sel:DWORD dst_unused:UNUSED_PAD src0_sel:BYTE_0 src1_sel:DWORD
	v_or_b32_sdwa v17, v18, v19 dst_sel:WORD_1 dst_unused:UNUSED_PAD src0_sel:BYTE_0 src1_sel:DWORD
	v_or_b32_sdwa v16, v16, v17 dst_sel:DWORD dst_unused:UNUSED_PAD src0_sel:WORD_0 src1_sel:DWORD
	v_or_b32_sdwa v17, v20, v21 dst_sel:DWORD dst_unused:UNUSED_PAD src0_sel:BYTE_0 src1_sel:DWORD
	v_or_b32_sdwa v18, v22, v23 dst_sel:WORD_1 dst_unused:UNUSED_PAD src0_sel:BYTE_0 src1_sel:DWORD
	v_or_b32_sdwa v17, v17, v18 dst_sel:DWORD dst_unused:UNUSED_PAD src0_sel:WORD_0 src1_sel:DWORD
	v_or_b32_sdwa v18, v24, v25 dst_sel:DWORD dst_unused:UNUSED_PAD src0_sel:BYTE_0 src1_sel:DWORD
	v_or_b32_sdwa v19, v26, v27 dst_sel:WORD_1 dst_unused:UNUSED_PAD src0_sel:BYTE_0 src1_sel:DWORD
	s_addc_u32 s7, s17, s7
	v_or_b32_sdwa v18, v18, v19 dst_sel:DWORD dst_unused:UNUSED_PAD src0_sel:WORD_0 src1_sel:DWORD
	v_or_b32_sdwa v19, v28, v29 dst_sel:DWORD dst_unused:UNUSED_PAD src0_sel:BYTE_0 src1_sel:DWORD
	v_or_b32_sdwa v20, v30, v31 dst_sel:WORD_1 dst_unused:UNUSED_PAD src0_sel:BYTE_0 src1_sel:DWORD
	s_and_b32 s37, s7, 0xffff
	s_mov_b32 s39, s31
	v_or_b32_sdwa v19, v19, v20 dst_sel:DWORD dst_unused:UNUSED_PAD src0_sel:WORD_0 src1_sel:DWORD
	buffer_store_dwordx4 v[16:19], v36, s[36:39], 0 offen
	;;#ASMSTART
	s_nop 0
	;;#ASMEND
	s_branch .LBB116_22
.LBB116_35:
	s_endpgm
	.section	.rodata,"a",@progbits
	.p2align	6, 0x0
	.amdhsa_kernel _ZN5aiter36smooth_per_token_scaled_quant_kernelIDF16_aLi256ELi16ELb0ELb1ELb1ELi1024EEEvPT0_PfPT_S3_PiS6_iiPKiiiiiiiii
		.amdhsa_group_segment_fixed_size 4112
		.amdhsa_private_segment_fixed_size 0
		.amdhsa_kernarg_size 96
		.amdhsa_user_sgpr_count 6
		.amdhsa_user_sgpr_private_segment_buffer 1
		.amdhsa_user_sgpr_dispatch_ptr 0
		.amdhsa_user_sgpr_queue_ptr 0
		.amdhsa_user_sgpr_kernarg_segment_ptr 1
		.amdhsa_user_sgpr_dispatch_id 0
		.amdhsa_user_sgpr_flat_scratch_init 0
		.amdhsa_user_sgpr_kernarg_preload_length 0
		.amdhsa_user_sgpr_kernarg_preload_offset 0
		.amdhsa_user_sgpr_private_segment_size 0
		.amdhsa_uses_dynamic_stack 0
		.amdhsa_system_sgpr_private_segment_wavefront_offset 0
		.amdhsa_system_sgpr_workgroup_id_x 1
		.amdhsa_system_sgpr_workgroup_id_y 0
		.amdhsa_system_sgpr_workgroup_id_z 0
		.amdhsa_system_sgpr_workgroup_info 0
		.amdhsa_system_vgpr_workitem_id 0
		.amdhsa_next_free_vgpr 44
		.amdhsa_next_free_sgpr 44
		.amdhsa_accum_offset 44
		.amdhsa_reserve_vcc 1
		.amdhsa_reserve_flat_scratch 0
		.amdhsa_float_round_mode_32 0
		.amdhsa_float_round_mode_16_64 0
		.amdhsa_float_denorm_mode_32 3
		.amdhsa_float_denorm_mode_16_64 3
		.amdhsa_dx10_clamp 1
		.amdhsa_ieee_mode 1
		.amdhsa_fp16_overflow 0
		.amdhsa_tg_split 0
		.amdhsa_exception_fp_ieee_invalid_op 0
		.amdhsa_exception_fp_denorm_src 0
		.amdhsa_exception_fp_ieee_div_zero 0
		.amdhsa_exception_fp_ieee_overflow 0
		.amdhsa_exception_fp_ieee_underflow 0
		.amdhsa_exception_fp_ieee_inexact 0
		.amdhsa_exception_int_div_zero 0
	.end_amdhsa_kernel
	.section	.text._ZN5aiter36smooth_per_token_scaled_quant_kernelIDF16_aLi256ELi16ELb0ELb1ELb1ELi1024EEEvPT0_PfPT_S3_PiS6_iiPKiiiiiiiii,"axG",@progbits,_ZN5aiter36smooth_per_token_scaled_quant_kernelIDF16_aLi256ELi16ELb0ELb1ELb1ELi1024EEEvPT0_PfPT_S3_PiS6_iiPKiiiiiiiii,comdat
.Lfunc_end116:
	.size	_ZN5aiter36smooth_per_token_scaled_quant_kernelIDF16_aLi256ELi16ELb0ELb1ELb1ELi1024EEEvPT0_PfPT_S3_PiS6_iiPKiiiiiiiii, .Lfunc_end116-_ZN5aiter36smooth_per_token_scaled_quant_kernelIDF16_aLi256ELi16ELb0ELb1ELb1ELi1024EEEvPT0_PfPT_S3_PiS6_iiPKiiiiiiiii
                                        ; -- End function
	.section	.AMDGPU.csdata,"",@progbits
; Kernel info:
; codeLenInByte = 3060
; NumSgprs: 48
; NumVgprs: 44
; NumAgprs: 0
; TotalNumVgprs: 44
; ScratchSize: 0
; MemoryBound: 0
; FloatMode: 240
; IeeeMode: 1
; LDSByteSize: 4112 bytes/workgroup (compile time only)
; SGPRBlocks: 5
; VGPRBlocks: 5
; NumSGPRsForWavesPerEU: 48
; NumVGPRsForWavesPerEU: 44
; AccumOffset: 44
; Occupancy: 8
; WaveLimiterHint : 0
; COMPUTE_PGM_RSRC2:SCRATCH_EN: 0
; COMPUTE_PGM_RSRC2:USER_SGPR: 6
; COMPUTE_PGM_RSRC2:TRAP_HANDLER: 0
; COMPUTE_PGM_RSRC2:TGID_X_EN: 1
; COMPUTE_PGM_RSRC2:TGID_Y_EN: 0
; COMPUTE_PGM_RSRC2:TGID_Z_EN: 0
; COMPUTE_PGM_RSRC2:TIDIG_COMP_CNT: 0
; COMPUTE_PGM_RSRC3_GFX90A:ACCUM_OFFSET: 10
; COMPUTE_PGM_RSRC3_GFX90A:TG_SPLIT: 0
	.section	.text._ZN5aiter36smooth_per_token_scaled_quant_kernelItaLi256ELi16ELb0ELb1ELb1ELi1024EEEvPT0_PfPT_S3_PiS6_iiPKiiiiiiiii,"axG",@progbits,_ZN5aiter36smooth_per_token_scaled_quant_kernelItaLi256ELi16ELb0ELb1ELb1ELi1024EEEvPT0_PfPT_S3_PiS6_iiPKiiiiiiiii,comdat
	.protected	_ZN5aiter36smooth_per_token_scaled_quant_kernelItaLi256ELi16ELb0ELb1ELb1ELi1024EEEvPT0_PfPT_S3_PiS6_iiPKiiiiiiiii ; -- Begin function _ZN5aiter36smooth_per_token_scaled_quant_kernelItaLi256ELi16ELb0ELb1ELb1ELi1024EEEvPT0_PfPT_S3_PiS6_iiPKiiiiiiiii
	.globl	_ZN5aiter36smooth_per_token_scaled_quant_kernelItaLi256ELi16ELb0ELb1ELb1ELi1024EEEvPT0_PfPT_S3_PiS6_iiPKiiiiiiiii
	.p2align	8
	.type	_ZN5aiter36smooth_per_token_scaled_quant_kernelItaLi256ELi16ELb0ELb1ELb1ELi1024EEEvPT0_PfPT_S3_PiS6_iiPKiiiiiiiii,@function
_ZN5aiter36smooth_per_token_scaled_quant_kernelItaLi256ELi16ELb0ELb1ELb1ELi1024EEEvPT0_PfPT_S3_PiS6_iiPKiiiiiiiii: ; @_ZN5aiter36smooth_per_token_scaled_quant_kernelItaLi256ELi16ELb0ELb1ELb1ELi1024EEEvPT0_PfPT_S3_PiS6_iiPKiiiiiiiii
; %bb.0:
	s_load_dwordx2 s[16:17], s[4:5], 0x38
	s_load_dwordx2 s[0:1], s[4:5], 0x28
	s_load_dwordx8 s[8:15], s[4:5], 0x40
	s_mov_b64 s[2:3], 0
	s_waitcnt lgkmcnt(0)
	s_cmp_lg_u64 s[16:17], 0
	s_cbranch_scc0 .LBB117_11
; %bb.1:
	s_load_dword s7, s[16:17], 0x0
	s_waitcnt lgkmcnt(0)
	s_mul_i32 s7, s7, s8
	s_andn2_b64 vcc, exec, s[2:3]
	s_cbranch_vccnz .LBB117_3
.LBB117_2:
	s_mul_i32 s7, s10, s9
.LBB117_3:
	s_load_dwordx2 s[8:9], s[4:5], 0x30
	v_and_b32_e32 v1, 0x3c0, v0
	v_lshlrev_b32_e32 v1, 2, v1
	s_lshl_b32 s2, s15, 2
	v_lshlrev_b32_e32 v2, 2, v0
	v_readfirstlane_b32 s15, v1
	v_add_u32_e32 v3, 0x400, v1
	s_and_b32 s1, s1, 0xffff
	s_mov_b32 s3, 0x20000
	;;#ASMSTART
	s_mov_b32 m0 s15
	buffer_load_dword v2, s[0:3], 0 offen offset:0 lds
	
	;;#ASMEND
	v_readfirstlane_b32 s15, v3
	v_add_u32_e32 v3, 0x400, v2
	;;#ASMSTART
	s_mov_b32 m0 s15
	buffer_load_dword v3, s[0:3], 0 offen offset:0 lds
	
	;;#ASMEND
	v_add_u32_e32 v3, 0x800, v1
	s_waitcnt lgkmcnt(0)
	s_abs_i32 s16, s8
	v_readfirstlane_b32 s15, v3
	v_cvt_f32_u32_e32 v3, s16
	v_add_u32_e32 v1, 0xc00, v1
	v_add_u32_e32 v4, 0x800, v2
	v_readfirstlane_b32 s18, v1
	v_rcp_iflag_f32_e32 v3, v3
	v_add_u32_e32 v1, 0xc00, v2
	s_sub_i32 s19, 0, s16
	s_abs_i32 s17, s7
	v_mul_f32_e32 v2, 0x4f7ffffe, v3
	v_cvt_u32_f32_e32 v2, v2
	;;#ASMSTART
	s_mov_b32 m0 s15
	buffer_load_dword v4, s[0:3], 0 offen offset:0 lds
	
	;;#ASMEND
	s_xor_b32 s15, s7, s8
	s_ashr_i32 s15, s15, 31
	v_readfirstlane_b32 s20, v2
	s_mul_i32 s19, s19, s20
	s_mul_hi_u32 s19, s20, s19
	s_add_i32 s20, s20, s19
	s_mul_hi_u32 s19, s17, s20
	s_mul_i32 s20, s19, s16
	s_sub_i32 s17, s17, s20
	s_add_i32 s20, s19, 1
	s_sub_i32 s21, s17, s16
	s_cmp_ge_u32 s17, s16
	s_cselect_b32 s19, s20, s19
	s_cselect_b32 s17, s21, s17
	s_add_i32 s20, s19, 1
	s_cmp_ge_u32 s17, s16
	s_cselect_b32 s16, s20, s19
	s_xor_b32 s16, s16, s15
	s_sub_i32 s15, s16, s15
	s_mul_i32 s8, s15, s8
	s_sub_i32 s8, s7, s8
	s_cmp_lt_u32 s6, s8
	;;#ASMSTART
	s_mov_b32 m0 s18
	buffer_load_dword v1, s[0:3], 0 offen offset:0 lds
	
	;;#ASMEND
	s_cselect_b64 s[16:17], -1, 0
	s_add_i32 s7, s15, 1
	s_cmp_ge_u32 s6, s8
	s_cbranch_scc0 .LBB117_5
; %bb.4:
	s_sub_i32 s1, s6, s8
	s_mul_i32 s0, s8, s7
	s_mul_i32 s1, s1, s15
	s_add_i32 s34, s1, s0
	s_cbranch_execz .LBB117_6
	s_branch .LBB117_7
.LBB117_5:
                                        ; implicit-def: $sgpr34
.LBB117_6:
	s_mul_i32 s34, s7, s6
.LBB117_7:
	v_cndmask_b32_e64 v1, 0, 1, s[16:17]
	v_readfirstlane_b32 s0, v1
	s_add_i32 s8, s15, s0
	s_cmp_lt_i32 s8, 1
	s_cbranch_scc1 .LBB117_35
; %bb.8:
	s_load_dwordx2 s[0:1], s[4:5], 0x20
	s_ashr_i32 s35, s34, 31
	s_lshl_b64 s[2:3], s[34:35], 2
	v_and_b32_e32 v1, 63, v0
	s_mov_b32 s27, 0x20000
	s_waitcnt lgkmcnt(0)
	s_add_u32 s24, s0, s2
	s_addc_u32 s0, s1, s3
	s_lshl_b32 s26, s8, 2
	s_and_b32 s25, s0, 0xffff
	v_lshlrev_b32_e32 v38, 2, v1
	buffer_load_dword v2, v38, s[24:27], 0 offen
	s_abs_i32 s40, s10
	v_cmp_eq_u32_e64 s[0:1], 63, v1
	v_cvt_f32_u32_e32 v1, s40
	s_add_i32 s2, s9, 15
	s_load_dwordx8 s[16:23], s[4:5], 0x0
	s_ashr_i32 s4, s2, 31
	v_rcp_iflag_f32_e32 v1, v1
	s_waitcnt vmcnt(0) lgkmcnt(0)
	s_barrier
	v_mul_f32_e32 v1, 0x4f7ffffe, v1
	v_cvt_u32_f32_e32 v1, v1
	s_add_i32 s3, s9, 3
	s_lshr_b32 s4, s4, 28
	s_ashr_i32 s5, s3, 31
	s_add_i32 s2, s2, s4
	s_sub_i32 s4, 0, s40
	v_readfirstlane_b32 s41, v1
	s_lshr_b32 s5, s5, 30
	s_mul_i32 s4, s4, s41
	s_add_i32 s3, s3, s5
	s_mul_hi_u32 s4, s41, s4
	v_lshrrev_b32_e32 v3, 4, v0
	v_mov_b32_e32 v4, 0x1000
	v_and_b32_e32 v5, 3, v0
	s_lshl_b32 s6, s9, 1
	s_lshl_b32 s30, s9, 2
	s_ashr_i32 s33, s10, 31
	s_ashr_i32 s2, s2, 4
	s_and_b32 s38, s3, -4
	s_add_i32 s41, s41, s4
	s_mov_b32 s15, s9
	v_lshlrev_b32_e32 v32, 5, v0
	v_lshlrev_b32_e32 v33, 6, v0
	v_cmp_eq_u32_e32 vcc, 0, v0
	v_and_or_b32 v34, v3, 60, v4
	v_lshl_or_b32 v35, v5, 2, v4
	v_cmp_gt_u32_e64 s[2:3], s2, v0
	v_lshlrev_b32_e32 v36, 4, v0
	v_lshlrev_b32_e32 v2, 2, v2
	ds_read_b32 v37, v2
	s_waitcnt lgkmcnt(0)
	v_readlane_b32 s28, v37, 0
	s_cmp_lt_i32 s28, 0
	s_cbranch_scc1 .LBB117_12
; %bb.9:
	s_abs_i32 s4, s34
	s_mul_hi_u32 s5, s4, s41
	s_mul_i32 s27, s5, s40
	s_sub_i32 s4, s4, s27
	s_xor_b32 s7, s35, s33
	s_add_i32 s27, s5, 1
	s_sub_i32 s29, s4, s40
	s_cmp_ge_u32 s4, s40
	s_cselect_b32 s5, s27, s5
	s_cselect_b32 s4, s29, s4
	s_add_i32 s27, s5, 1
	s_cmp_ge_u32 s4, s40
	s_cselect_b32 s4, s27, s5
	s_xor_b32 s4, s4, s7
	s_sub_i32 s27, s4, s7
	s_mul_i32 s4, s27, s10
	s_sub_i32 s36, s34, s4
	s_mul_i32 s4, s36, s12
	s_mul_i32 s5, s27, s11
	s_add_i32 s35, s4, s5
	s_cmp_eq_u32 s35, -1
	s_cbranch_scc1 .LBB117_13
; %bb.10:
	s_mul_hi_i32 s5, s35, s15
	s_mul_i32 s4, s35, s15
	s_lshl_b64 s[4:5], s[4:5], 1
	s_add_u32 s4, s20, s4
	s_addc_u32 s5, s21, s5
	s_and_b32 s5, s5, 0xffff
	s_mov_b32 s7, 0x20000
	buffer_load_dwordx4 v[6:9], v32, s[4:7], 0 offen
	buffer_load_dwordx4 v[14:17], v32, s[4:7], 16 offen
	s_waitcnt vmcnt(1)
	v_cvt_f32_u32_sdwa v1, v6 dst_sel:DWORD dst_unused:UNUSED_PAD src0_sel:WORD_1
	v_cvt_f32_u32_sdwa v0, v6 dst_sel:DWORD dst_unused:UNUSED_PAD src0_sel:WORD_0
	v_cvt_f32_u32_sdwa v3, v7 dst_sel:DWORD dst_unused:UNUSED_PAD src0_sel:WORD_1
	v_cvt_f32_u32_sdwa v2, v7 dst_sel:DWORD dst_unused:UNUSED_PAD src0_sel:WORD_0
	;; [unrolled: 2-line block ×4, first 2 shown]
	s_waitcnt vmcnt(0)
	v_cvt_f32_u32_sdwa v9, v14 dst_sel:DWORD dst_unused:UNUSED_PAD src0_sel:WORD_1
	v_cvt_f32_u32_sdwa v8, v14 dst_sel:DWORD dst_unused:UNUSED_PAD src0_sel:WORD_0
	v_cvt_f32_u32_sdwa v11, v15 dst_sel:DWORD dst_unused:UNUSED_PAD src0_sel:WORD_1
	v_cvt_f32_u32_sdwa v10, v15 dst_sel:DWORD dst_unused:UNUSED_PAD src0_sel:WORD_0
	v_cvt_f32_u32_sdwa v13, v16 dst_sel:DWORD dst_unused:UNUSED_PAD src0_sel:WORD_1
	v_cvt_f32_u32_sdwa v12, v16 dst_sel:DWORD dst_unused:UNUSED_PAD src0_sel:WORD_0
	v_cvt_f32_u32_sdwa v15, v17 dst_sel:DWORD dst_unused:UNUSED_PAD src0_sel:WORD_1
	v_cvt_f32_u32_sdwa v14, v17 dst_sel:DWORD dst_unused:UNUSED_PAD src0_sel:WORD_0
	s_branch .LBB117_14
.LBB117_11:
                                        ; implicit-def: $sgpr7
	s_branch .LBB117_2
.LBB117_12:
	s_mov_b32 s35, -1
                                        ; implicit-def: $vgpr0_vgpr1_vgpr2_vgpr3_vgpr4_vgpr5_vgpr6_vgpr7_vgpr8_vgpr9_vgpr10_vgpr11_vgpr12_vgpr13_vgpr14_vgpr15
	s_cmp_eq_u32 s8, 1
	s_mov_b32 s42, 1
	s_cbranch_scc0 .LBB117_21
	s_branch .LBB117_35
.LBB117_13:
                                        ; implicit-def: $vgpr0_vgpr1_vgpr2_vgpr3_vgpr4_vgpr5_vgpr6_vgpr7_vgpr8_vgpr9_vgpr10_vgpr11_vgpr12_vgpr13_vgpr14_vgpr15
.LBB117_14:
	s_mul_i32 s4, s28, s9
	s_ashr_i32 s5, s4, 31
	s_lshl_b64 s[4:5], s[4:5], 2
	s_add_u32 s28, s22, s4
	s_addc_u32 s4, s23, s5
	s_and_b32 s29, s4, 0xffff
	s_mov_b32 s31, 0x20000
	buffer_load_dwordx4 v[16:19], v33, s[28:31], 0 offen
	buffer_load_dwordx4 v[20:23], v33, s[28:31], 16 offen
	;; [unrolled: 1-line block ×4, first 2 shown]
	s_mov_b32 s4, 0x2edbe6ff
	s_waitcnt vmcnt(3)
	v_pk_mul_f32 v[16:17], v[0:1], v[16:17]
	v_pk_mul_f32 v[18:19], v[2:3], v[18:19]
	v_max3_f32 v39, |v16|, s4, |v17|
	s_waitcnt vmcnt(2)
	v_pk_mul_f32 v[20:21], v[4:5], v[20:21]
	v_max3_f32 v39, v39, |v18|, |v19|
	v_pk_mul_f32 v[22:23], v[6:7], v[22:23]
	v_max3_f32 v39, v39, |v20|, |v21|
	s_waitcnt vmcnt(1)
	v_pk_mul_f32 v[24:25], v[8:9], v[24:25]
	v_max3_f32 v39, v39, |v22|, |v23|
	v_pk_mul_f32 v[26:27], v[10:11], v[26:27]
	v_max3_f32 v39, v39, |v24|, |v25|
	;; [unrolled: 5-line block ×3, first 2 shown]
	v_max3_f32 v39, v39, |v30|, |v31|
	s_nop 1
	v_mov_b32_dpp v40, v39 quad_perm:[1,0,3,2] row_mask:0xf bank_mask:0xf
	v_cmp_gt_f32_e64 s[4:5], v39, v40
	v_cndmask_b32_e64 v39, v40, v39, s[4:5]
	s_nop 1
	v_mov_b32_dpp v40, v39 quad_perm:[2,3,0,1] row_mask:0xf bank_mask:0xf
	v_cmp_gt_f32_e64 s[4:5], v39, v40
	v_cndmask_b32_e64 v39, v40, v39, s[4:5]
	s_nop 1
	v_mov_b32_dpp v40, v39 row_half_mirror row_mask:0xf bank_mask:0xf
	v_cmp_gt_f32_e64 s[4:5], v39, v40
	v_cndmask_b32_e64 v39, v40, v39, s[4:5]
	s_nop 1
	v_mov_b32_dpp v40, v39 row_mirror row_mask:0xf bank_mask:0xf
	v_cmp_gt_f32_e64 s[4:5], v39, v40
	v_cndmask_b32_e64 v39, v40, v39, s[4:5]
	s_nop 1
	v_mov_b32_dpp v40, v39 row_bcast:15 row_mask:0xf bank_mask:0xf
	v_cmp_gt_f32_e64 s[4:5], v39, v40
	v_cndmask_b32_e64 v39, v40, v39, s[4:5]
	s_nop 1
	v_mov_b32_dpp v40, v39 row_bcast:31 row_mask:0xf bank_mask:0xf
	s_and_saveexec_b64 s[28:29], s[0:1]
	s_cbranch_execz .LBB117_16
; %bb.15:
	v_cmp_gt_f32_e64 s[4:5], v39, v40
	v_cndmask_b32_e64 v39, v40, v39, s[4:5]
	ds_write_b32 v34, v39
.LBB117_16:
	s_or_b64 exec, exec, s[28:29]
	s_waitcnt lgkmcnt(0)
	s_barrier
	ds_read_b32 v39, v35
	s_mul_i32 s27, s27, s13
	s_waitcnt lgkmcnt(0)
	v_mov_b32_dpp v40, v39 quad_perm:[1,0,3,2] row_mask:0xf bank_mask:0xf
	v_cmp_gt_f32_e64 s[4:5], v39, v40
	v_cndmask_b32_e64 v39, v40, v39, s[4:5]
	s_nop 1
	v_mov_b32_dpp v40, v39 quad_perm:[2,3,0,1] row_mask:0xf bank_mask:0xf
	v_cmp_gt_f32_e64 s[4:5], v39, v40
	v_cndmask_b32_e64 v39, v40, v39, s[4:5]
	s_mul_i32 s4, s36, s14
	v_mul_f32_e32 v39, 0x3c010204, v39
	s_add_i32 s28, s4, s27
	s_and_saveexec_b64 s[4:5], vcc
	s_cbranch_execz .LBB117_18
; %bb.17:
	s_ashr_i32 s29, s28, 31
	s_lshl_b64 s[36:37], s[28:29], 2
	s_add_u32 s36, s18, s36
	s_addc_u32 s37, s19, s37
	v_mov_b32_e32 v40, 0
	global_store_dword v40, v39, s[36:37]
.LBB117_18:
	s_or_b64 exec, exec, s[4:5]
	s_and_saveexec_b64 s[4:5], s[2:3]
	s_cbranch_execz .LBB117_20
; %bb.19:
	v_rcp_f32_e32 v40, v39
	s_mul_i32 s27, s28, s15
	s_mul_hi_i32 s7, s28, s15
	s_add_u32 s36, s16, s27
	v_mov_b32_e32 v41, v40
	;;#ASMSTART
	v_pk_mul_f32 v[16:17], v[16:17], v[40:41]
	;;#ASMEND
	v_cvt_i32_f32_e32 v39, v16
	v_cvt_i32_f32_sdwa v42, v17 dst_sel:BYTE_1 dst_unused:UNUSED_PAD src0_sel:DWORD
	;;#ASMSTART
	v_pk_mul_f32 v[16:17], v[18:19], v[40:41]
	;;#ASMEND
	v_cvt_i32_f32_e32 v18, v16
	v_cvt_i32_f32_sdwa v19, v17 dst_sel:BYTE_1 dst_unused:UNUSED_PAD src0_sel:DWORD
	;; [unrolled: 5-line block ×8, first 2 shown]
	v_or_b32_sdwa v16, v39, v42 dst_sel:DWORD dst_unused:UNUSED_PAD src0_sel:BYTE_0 src1_sel:DWORD
	v_or_b32_sdwa v17, v18, v19 dst_sel:WORD_1 dst_unused:UNUSED_PAD src0_sel:BYTE_0 src1_sel:DWORD
	v_or_b32_sdwa v16, v16, v17 dst_sel:DWORD dst_unused:UNUSED_PAD src0_sel:WORD_0 src1_sel:DWORD
	v_or_b32_sdwa v17, v20, v21 dst_sel:DWORD dst_unused:UNUSED_PAD src0_sel:BYTE_0 src1_sel:DWORD
	v_or_b32_sdwa v18, v22, v23 dst_sel:WORD_1 dst_unused:UNUSED_PAD src0_sel:BYTE_0 src1_sel:DWORD
	v_or_b32_sdwa v17, v17, v18 dst_sel:DWORD dst_unused:UNUSED_PAD src0_sel:WORD_0 src1_sel:DWORD
	v_or_b32_sdwa v18, v24, v25 dst_sel:DWORD dst_unused:UNUSED_PAD src0_sel:BYTE_0 src1_sel:DWORD
	v_or_b32_sdwa v19, v26, v27 dst_sel:WORD_1 dst_unused:UNUSED_PAD src0_sel:BYTE_0 src1_sel:DWORD
	s_addc_u32 s7, s17, s7
	v_or_b32_sdwa v18, v18, v19 dst_sel:DWORD dst_unused:UNUSED_PAD src0_sel:WORD_0 src1_sel:DWORD
	v_or_b32_sdwa v19, v28, v29 dst_sel:DWORD dst_unused:UNUSED_PAD src0_sel:BYTE_0 src1_sel:DWORD
	v_or_b32_sdwa v20, v30, v31 dst_sel:WORD_1 dst_unused:UNUSED_PAD src0_sel:BYTE_0 src1_sel:DWORD
	s_and_b32 s37, s7, 0xffff
	s_mov_b32 s39, 0x20000
	v_or_b32_sdwa v19, v19, v20 dst_sel:DWORD dst_unused:UNUSED_PAD src0_sel:WORD_0 src1_sel:DWORD
	buffer_store_dwordx4 v[16:19], v36, s[36:39], 0 offen
	;;#ASMSTART
	s_nop 0
	;;#ASMEND
.LBB117_20:
	s_or_b64 exec, exec, s[4:5]
	s_cmp_eq_u32 s8, 1
	s_mov_b32 s42, 1
	s_cbranch_scc1 .LBB117_35
.LBB117_21:
	v_add_u32_e32 v38, 4, v38
	s_mov_b32 s31, 0x20000
	s_mov_b32 s43, 0x2edbe6ff
	v_mov_b32_e32 v39, 0
	s_branch .LBB117_24
.LBB117_22:                             ;   in Loop: Header=BB117_24 Depth=1
	s_or_b64 exec, exec, s[4:5]
.LBB117_23:                             ;   in Loop: Header=BB117_24 Depth=1
	s_add_i32 s42, s42, 1
	s_cmp_eq_u32 s8, s42
	v_add_u32_e32 v38, 4, v38
	s_cbranch_scc1 .LBB117_35
.LBB117_24:                             ; =>This Inner Loop Header: Depth=1
	s_and_b32 s4, s42, 63
	s_cmp_lg_u32 s4, 0
	s_cbranch_scc1 .LBB117_26
; %bb.25:                               ;   in Loop: Header=BB117_24 Depth=1
	s_mov_b32 s27, s31
	buffer_load_dword v16, v38, s[24:27], 0 offen
	s_waitcnt vmcnt(0)
	v_lshlrev_b32_e32 v16, 2, v16
	ds_read_b32 v37, v16
.LBB117_26:                             ;   in Loop: Header=BB117_24 Depth=1
	s_waitcnt lgkmcnt(0)
	v_readlane_b32 s28, v37, s4
	s_cmp_lt_i32 s28, 0
	s_cbranch_scc1 .LBB117_23
; %bb.27:                               ;   in Loop: Header=BB117_24 Depth=1
	s_add_i32 s4, s34, s42
	s_abs_i32 s7, s4
	s_mul_hi_u32 s27, s7, s41
	s_mul_i32 s29, s27, s40
	s_ashr_i32 s5, s4, 31
	s_sub_i32 s7, s7, s29
	s_xor_b32 s5, s5, s33
	s_add_i32 s29, s27, 1
	s_sub_i32 s36, s7, s40
	s_cmp_ge_u32 s7, s40
	s_cselect_b32 s27, s29, s27
	s_cselect_b32 s7, s36, s7
	s_add_i32 s29, s27, 1
	s_cmp_ge_u32 s7, s40
	s_cselect_b32 s7, s29, s27
	s_xor_b32 s7, s7, s5
	s_sub_i32 s27, s7, s5
	s_mul_i32 s5, s27, s10
	s_sub_i32 s36, s4, s5
	s_mul_i32 s29, s36, s12
	s_mul_i32 s4, s27, s11
	s_add_i32 s29, s29, s4
	s_cmp_eq_u32 s29, s35
	s_cbranch_scc1 .LBB117_29
; %bb.28:                               ;   in Loop: Header=BB117_24 Depth=1
	s_mul_hi_i32 s5, s29, s15
	s_mul_i32 s4, s29, s15
	s_lshl_b64 s[4:5], s[4:5], 1
	s_add_u32 s4, s20, s4
	s_addc_u32 s5, s21, s5
	s_and_b32 s5, s5, 0xffff
	s_mov_b32 s7, s31
	buffer_load_dwordx4 v[6:9], v32, s[4:7], 0 offen
	buffer_load_dwordx4 v[14:17], v32, s[4:7], 16 offen
	s_mov_b32 s35, s29
	s_waitcnt vmcnt(1)
	v_cvt_f32_u32_sdwa v1, v6 dst_sel:DWORD dst_unused:UNUSED_PAD src0_sel:WORD_1
	v_cvt_f32_u32_sdwa v0, v6 dst_sel:DWORD dst_unused:UNUSED_PAD src0_sel:WORD_0
	v_cvt_f32_u32_sdwa v3, v7 dst_sel:DWORD dst_unused:UNUSED_PAD src0_sel:WORD_1
	v_cvt_f32_u32_sdwa v2, v7 dst_sel:DWORD dst_unused:UNUSED_PAD src0_sel:WORD_0
	;; [unrolled: 2-line block ×4, first 2 shown]
	s_waitcnt vmcnt(0)
	v_cvt_f32_u32_sdwa v9, v14 dst_sel:DWORD dst_unused:UNUSED_PAD src0_sel:WORD_1
	v_cvt_f32_u32_sdwa v8, v14 dst_sel:DWORD dst_unused:UNUSED_PAD src0_sel:WORD_0
	v_cvt_f32_u32_sdwa v11, v15 dst_sel:DWORD dst_unused:UNUSED_PAD src0_sel:WORD_1
	v_cvt_f32_u32_sdwa v10, v15 dst_sel:DWORD dst_unused:UNUSED_PAD src0_sel:WORD_0
	;; [unrolled: 2-line block ×4, first 2 shown]
.LBB117_29:                             ;   in Loop: Header=BB117_24 Depth=1
	s_mul_i32 s4, s28, s9
	s_ashr_i32 s5, s4, 31
	s_lshl_b64 s[4:5], s[4:5], 2
	s_add_u32 s28, s22, s4
	s_addc_u32 s4, s23, s5
	s_and_b32 s29, s4, 0xffff
	buffer_load_dwordx4 v[16:19], v33, s[28:31], 0 offen
	buffer_load_dwordx4 v[20:23], v33, s[28:31], 16 offen
	;; [unrolled: 1-line block ×4, first 2 shown]
	s_waitcnt vmcnt(3)
	v_pk_mul_f32 v[16:17], v[0:1], v[16:17]
	v_pk_mul_f32 v[18:19], v[2:3], v[18:19]
	v_max3_f32 v40, |v16|, s43, |v17|
	s_waitcnt vmcnt(2)
	v_pk_mul_f32 v[20:21], v[4:5], v[20:21]
	v_max3_f32 v40, v40, |v18|, |v19|
	v_pk_mul_f32 v[22:23], v[6:7], v[22:23]
	v_max3_f32 v40, v40, |v20|, |v21|
	s_waitcnt vmcnt(1)
	v_pk_mul_f32 v[24:25], v[8:9], v[24:25]
	v_max3_f32 v40, v40, |v22|, |v23|
	v_pk_mul_f32 v[26:27], v[10:11], v[26:27]
	v_max3_f32 v40, v40, |v24|, |v25|
	;; [unrolled: 5-line block ×3, first 2 shown]
	v_max3_f32 v40, v40, |v30|, |v31|
	s_nop 1
	v_mov_b32_dpp v41, v40 quad_perm:[1,0,3,2] row_mask:0xf bank_mask:0xf
	v_cmp_gt_f32_e64 s[4:5], v40, v41
	v_cndmask_b32_e64 v40, v41, v40, s[4:5]
	s_nop 1
	v_mov_b32_dpp v41, v40 quad_perm:[2,3,0,1] row_mask:0xf bank_mask:0xf
	v_cmp_gt_f32_e64 s[4:5], v40, v41
	v_cndmask_b32_e64 v40, v41, v40, s[4:5]
	s_nop 1
	v_mov_b32_dpp v41, v40 row_half_mirror row_mask:0xf bank_mask:0xf
	v_cmp_gt_f32_e64 s[4:5], v40, v41
	v_cndmask_b32_e64 v40, v41, v40, s[4:5]
	s_nop 1
	v_mov_b32_dpp v41, v40 row_mirror row_mask:0xf bank_mask:0xf
	v_cmp_gt_f32_e64 s[4:5], v40, v41
	v_cndmask_b32_e64 v40, v41, v40, s[4:5]
	s_nop 1
	v_mov_b32_dpp v41, v40 row_bcast:15 row_mask:0xf bank_mask:0xf
	v_cmp_gt_f32_e64 s[4:5], v40, v41
	v_cndmask_b32_e64 v40, v41, v40, s[4:5]
	s_nop 1
	v_mov_b32_dpp v41, v40 row_bcast:31 row_mask:0xf bank_mask:0xf
	s_and_saveexec_b64 s[28:29], s[0:1]
	s_cbranch_execz .LBB117_31
; %bb.30:                               ;   in Loop: Header=BB117_24 Depth=1
	v_cmp_gt_f32_e64 s[4:5], v40, v41
	v_cndmask_b32_e64 v40, v41, v40, s[4:5]
	ds_write_b32 v34, v40
.LBB117_31:                             ;   in Loop: Header=BB117_24 Depth=1
	s_or_b64 exec, exec, s[28:29]
	s_waitcnt lgkmcnt(0)
	s_barrier
	ds_read_b32 v40, v35
	s_mul_i32 s27, s27, s13
	s_waitcnt lgkmcnt(0)
	v_mov_b32_dpp v41, v40 quad_perm:[1,0,3,2] row_mask:0xf bank_mask:0xf
	v_cmp_gt_f32_e64 s[4:5], v40, v41
	v_cndmask_b32_e64 v40, v41, v40, s[4:5]
	s_nop 1
	v_mov_b32_dpp v41, v40 quad_perm:[2,3,0,1] row_mask:0xf bank_mask:0xf
	v_cmp_gt_f32_e64 s[4:5], v40, v41
	v_cndmask_b32_e64 v40, v41, v40, s[4:5]
	s_mul_i32 s4, s36, s14
	v_mul_f32_e32 v40, 0x3c010204, v40
	s_add_i32 s28, s4, s27
	s_and_saveexec_b64 s[4:5], vcc
	s_cbranch_execz .LBB117_33
; %bb.32:                               ;   in Loop: Header=BB117_24 Depth=1
	s_ashr_i32 s29, s28, 31
	s_lshl_b64 s[36:37], s[28:29], 2
	s_add_u32 s36, s18, s36
	s_addc_u32 s37, s19, s37
	global_store_dword v39, v40, s[36:37]
.LBB117_33:                             ;   in Loop: Header=BB117_24 Depth=1
	s_or_b64 exec, exec, s[4:5]
	s_and_saveexec_b64 s[4:5], s[2:3]
	s_cbranch_execz .LBB117_22
; %bb.34:                               ;   in Loop: Header=BB117_24 Depth=1
	v_rcp_f32_e32 v40, v40
	s_mul_i32 s27, s28, s15
	s_mul_hi_i32 s7, s28, s15
	s_add_u32 s36, s16, s27
	v_mov_b32_e32 v41, v40
	;;#ASMSTART
	v_pk_mul_f32 v[16:17], v[16:17], v[40:41]
	;;#ASMEND
	v_cvt_i32_f32_e32 v42, v16
	v_cvt_i32_f32_sdwa v43, v17 dst_sel:BYTE_1 dst_unused:UNUSED_PAD src0_sel:DWORD
	;;#ASMSTART
	v_pk_mul_f32 v[16:17], v[18:19], v[40:41]
	;;#ASMEND
	v_cvt_i32_f32_e32 v18, v16
	v_cvt_i32_f32_sdwa v19, v17 dst_sel:BYTE_1 dst_unused:UNUSED_PAD src0_sel:DWORD
	;; [unrolled: 5-line block ×8, first 2 shown]
	v_or_b32_sdwa v16, v42, v43 dst_sel:DWORD dst_unused:UNUSED_PAD src0_sel:BYTE_0 src1_sel:DWORD
	v_or_b32_sdwa v17, v18, v19 dst_sel:WORD_1 dst_unused:UNUSED_PAD src0_sel:BYTE_0 src1_sel:DWORD
	v_or_b32_sdwa v16, v16, v17 dst_sel:DWORD dst_unused:UNUSED_PAD src0_sel:WORD_0 src1_sel:DWORD
	v_or_b32_sdwa v17, v20, v21 dst_sel:DWORD dst_unused:UNUSED_PAD src0_sel:BYTE_0 src1_sel:DWORD
	v_or_b32_sdwa v18, v22, v23 dst_sel:WORD_1 dst_unused:UNUSED_PAD src0_sel:BYTE_0 src1_sel:DWORD
	v_or_b32_sdwa v17, v17, v18 dst_sel:DWORD dst_unused:UNUSED_PAD src0_sel:WORD_0 src1_sel:DWORD
	v_or_b32_sdwa v18, v24, v25 dst_sel:DWORD dst_unused:UNUSED_PAD src0_sel:BYTE_0 src1_sel:DWORD
	v_or_b32_sdwa v19, v26, v27 dst_sel:WORD_1 dst_unused:UNUSED_PAD src0_sel:BYTE_0 src1_sel:DWORD
	s_addc_u32 s7, s17, s7
	v_or_b32_sdwa v18, v18, v19 dst_sel:DWORD dst_unused:UNUSED_PAD src0_sel:WORD_0 src1_sel:DWORD
	v_or_b32_sdwa v19, v28, v29 dst_sel:DWORD dst_unused:UNUSED_PAD src0_sel:BYTE_0 src1_sel:DWORD
	v_or_b32_sdwa v20, v30, v31 dst_sel:WORD_1 dst_unused:UNUSED_PAD src0_sel:BYTE_0 src1_sel:DWORD
	s_and_b32 s37, s7, 0xffff
	s_mov_b32 s39, s31
	v_or_b32_sdwa v19, v19, v20 dst_sel:DWORD dst_unused:UNUSED_PAD src0_sel:WORD_0 src1_sel:DWORD
	buffer_store_dwordx4 v[16:19], v36, s[36:39], 0 offen
	;;#ASMSTART
	s_nop 0
	;;#ASMEND
	s_branch .LBB117_22
.LBB117_35:
	s_endpgm
	.section	.rodata,"a",@progbits
	.p2align	6, 0x0
	.amdhsa_kernel _ZN5aiter36smooth_per_token_scaled_quant_kernelItaLi256ELi16ELb0ELb1ELb1ELi1024EEEvPT0_PfPT_S3_PiS6_iiPKiiiiiiiii
		.amdhsa_group_segment_fixed_size 4112
		.amdhsa_private_segment_fixed_size 0
		.amdhsa_kernarg_size 96
		.amdhsa_user_sgpr_count 6
		.amdhsa_user_sgpr_private_segment_buffer 1
		.amdhsa_user_sgpr_dispatch_ptr 0
		.amdhsa_user_sgpr_queue_ptr 0
		.amdhsa_user_sgpr_kernarg_segment_ptr 1
		.amdhsa_user_sgpr_dispatch_id 0
		.amdhsa_user_sgpr_flat_scratch_init 0
		.amdhsa_user_sgpr_kernarg_preload_length 0
		.amdhsa_user_sgpr_kernarg_preload_offset 0
		.amdhsa_user_sgpr_private_segment_size 0
		.amdhsa_uses_dynamic_stack 0
		.amdhsa_system_sgpr_private_segment_wavefront_offset 0
		.amdhsa_system_sgpr_workgroup_id_x 1
		.amdhsa_system_sgpr_workgroup_id_y 0
		.amdhsa_system_sgpr_workgroup_id_z 0
		.amdhsa_system_sgpr_workgroup_info 0
		.amdhsa_system_vgpr_workitem_id 0
		.amdhsa_next_free_vgpr 44
		.amdhsa_next_free_sgpr 44
		.amdhsa_accum_offset 44
		.amdhsa_reserve_vcc 1
		.amdhsa_reserve_flat_scratch 0
		.amdhsa_float_round_mode_32 0
		.amdhsa_float_round_mode_16_64 0
		.amdhsa_float_denorm_mode_32 3
		.amdhsa_float_denorm_mode_16_64 3
		.amdhsa_dx10_clamp 1
		.amdhsa_ieee_mode 1
		.amdhsa_fp16_overflow 0
		.amdhsa_tg_split 0
		.amdhsa_exception_fp_ieee_invalid_op 0
		.amdhsa_exception_fp_denorm_src 0
		.amdhsa_exception_fp_ieee_div_zero 0
		.amdhsa_exception_fp_ieee_overflow 0
		.amdhsa_exception_fp_ieee_underflow 0
		.amdhsa_exception_fp_ieee_inexact 0
		.amdhsa_exception_int_div_zero 0
	.end_amdhsa_kernel
	.section	.text._ZN5aiter36smooth_per_token_scaled_quant_kernelItaLi256ELi16ELb0ELb1ELb1ELi1024EEEvPT0_PfPT_S3_PiS6_iiPKiiiiiiiii,"axG",@progbits,_ZN5aiter36smooth_per_token_scaled_quant_kernelItaLi256ELi16ELb0ELb1ELb1ELi1024EEEvPT0_PfPT_S3_PiS6_iiPKiiiiiiiii,comdat
.Lfunc_end117:
	.size	_ZN5aiter36smooth_per_token_scaled_quant_kernelItaLi256ELi16ELb0ELb1ELb1ELi1024EEEvPT0_PfPT_S3_PiS6_iiPKiiiiiiiii, .Lfunc_end117-_ZN5aiter36smooth_per_token_scaled_quant_kernelItaLi256ELi16ELb0ELb1ELb1ELi1024EEEvPT0_PfPT_S3_PiS6_iiPKiiiiiiiii
                                        ; -- End function
	.section	.AMDGPU.csdata,"",@progbits
; Kernel info:
; codeLenInByte = 3124
; NumSgprs: 48
; NumVgprs: 44
; NumAgprs: 0
; TotalNumVgprs: 44
; ScratchSize: 0
; MemoryBound: 0
; FloatMode: 240
; IeeeMode: 1
; LDSByteSize: 4112 bytes/workgroup (compile time only)
; SGPRBlocks: 5
; VGPRBlocks: 5
; NumSGPRsForWavesPerEU: 48
; NumVGPRsForWavesPerEU: 44
; AccumOffset: 44
; Occupancy: 8
; WaveLimiterHint : 0
; COMPUTE_PGM_RSRC2:SCRATCH_EN: 0
; COMPUTE_PGM_RSRC2:USER_SGPR: 6
; COMPUTE_PGM_RSRC2:TRAP_HANDLER: 0
; COMPUTE_PGM_RSRC2:TGID_X_EN: 1
; COMPUTE_PGM_RSRC2:TGID_Y_EN: 0
; COMPUTE_PGM_RSRC2:TGID_Z_EN: 0
; COMPUTE_PGM_RSRC2:TIDIG_COMP_CNT: 0
; COMPUTE_PGM_RSRC3_GFX90A:ACCUM_OFFSET: 10
; COMPUTE_PGM_RSRC3_GFX90A:TG_SPLIT: 0
	.section	.text._ZN5aiter36smooth_per_token_scaled_quant_kernelIDF16_aLi256ELi16ELb0ELb1ELb0ELi1024EEEvPT0_PfPT_S3_PiS6_iiPKiiiiiiiii,"axG",@progbits,_ZN5aiter36smooth_per_token_scaled_quant_kernelIDF16_aLi256ELi16ELb0ELb1ELb0ELi1024EEEvPT0_PfPT_S3_PiS6_iiPKiiiiiiiii,comdat
	.protected	_ZN5aiter36smooth_per_token_scaled_quant_kernelIDF16_aLi256ELi16ELb0ELb1ELb0ELi1024EEEvPT0_PfPT_S3_PiS6_iiPKiiiiiiiii ; -- Begin function _ZN5aiter36smooth_per_token_scaled_quant_kernelIDF16_aLi256ELi16ELb0ELb1ELb0ELi1024EEEvPT0_PfPT_S3_PiS6_iiPKiiiiiiiii
	.globl	_ZN5aiter36smooth_per_token_scaled_quant_kernelIDF16_aLi256ELi16ELb0ELb1ELb0ELi1024EEEvPT0_PfPT_S3_PiS6_iiPKiiiiiiiii
	.p2align	8
	.type	_ZN5aiter36smooth_per_token_scaled_quant_kernelIDF16_aLi256ELi16ELb0ELb1ELb0ELi1024EEEvPT0_PfPT_S3_PiS6_iiPKiiiiiiiii,@function
_ZN5aiter36smooth_per_token_scaled_quant_kernelIDF16_aLi256ELi16ELb0ELb1ELb0ELi1024EEEvPT0_PfPT_S3_PiS6_iiPKiiiiiiiii: ; @_ZN5aiter36smooth_per_token_scaled_quant_kernelIDF16_aLi256ELi16ELb0ELb1ELb0ELi1024EEEvPT0_PfPT_S3_PiS6_iiPKiiiiiiiii
; %bb.0:
	s_load_dwordx2 s[2:3], s[4:5], 0x38
	s_load_dwordx8 s[8:15], s[4:5], 0x40
	s_mov_b64 s[0:1], 0
	s_waitcnt lgkmcnt(0)
	s_cmp_lg_u64 s[2:3], 0
	s_cbranch_scc0 .LBB118_11
; %bb.1:
	s_load_dword s2, s[2:3], 0x0
	s_waitcnt lgkmcnt(0)
	s_mul_i32 s2, s2, s8
	s_andn2_b64 vcc, exec, s[0:1]
	s_cbranch_vccnz .LBB118_3
.LBB118_2:
	s_mul_i32 s2, s10, s9
.LBB118_3:
	s_load_dwordx2 s[8:9], s[4:5], 0x30
	s_abs_i32 s1, s2
	s_waitcnt lgkmcnt(0)
	s_abs_i32 s0, s8
	v_cvt_f32_u32_e32 v1, s0
	s_sub_i32 s7, 0, s0
	s_xor_b32 s3, s2, s8
	s_ashr_i32 s3, s3, 31
	v_rcp_iflag_f32_e32 v1, v1
	v_mul_f32_e32 v1, 0x4f7ffffe, v1
	v_cvt_u32_f32_e32 v1, v1
	v_readfirstlane_b32 s15, v1
	s_mul_i32 s7, s7, s15
	s_mul_hi_u32 s7, s15, s7
	s_add_i32 s15, s15, s7
	s_mul_hi_u32 s7, s1, s15
	s_mul_i32 s15, s7, s0
	s_sub_i32 s1, s1, s15
	s_add_i32 s16, s7, 1
	s_sub_i32 s15, s1, s0
	s_cmp_ge_u32 s1, s0
	s_cselect_b32 s7, s16, s7
	s_cselect_b32 s1, s15, s1
	s_add_i32 s15, s7, 1
	s_cmp_ge_u32 s1, s0
	s_cselect_b32 s0, s15, s7
	s_xor_b32 s0, s0, s3
	s_sub_i32 s7, s0, s3
	s_mul_i32 s0, s7, s8
	s_sub_i32 s2, s2, s0
	s_cmp_lt_u32 s6, s2
	s_cselect_b64 s[0:1], -1, 0
	s_add_i32 s8, s7, 1
	s_cmp_ge_u32 s6, s2
	s_cbranch_scc0 .LBB118_5
; %bb.4:
	s_mul_i32 s3, s2, s8
	s_sub_i32 s2, s6, s2
	s_mul_i32 s2, s2, s7
	s_add_i32 s34, s2, s3
	s_cbranch_execz .LBB118_6
	s_branch .LBB118_7
.LBB118_5:
                                        ; implicit-def: $sgpr34
.LBB118_6:
	s_mul_i32 s34, s8, s6
.LBB118_7:
	v_cndmask_b32_e64 v1, 0, 1, s[0:1]
	v_readfirstlane_b32 s0, v1
	s_add_i32 s8, s7, s0
	s_cmp_lt_i32 s8, 1
	s_cbranch_scc1 .LBB118_35
; %bb.8:
	s_load_dwordx2 s[0:1], s[4:5], 0x20
	s_ashr_i32 s35, s34, 31
	s_lshl_b64 s[2:3], s[34:35], 2
	v_and_b32_e32 v1, 63, v0
	s_mov_b32 s27, 0x20000
	s_waitcnt lgkmcnt(0)
	s_add_u32 s24, s0, s2
	s_addc_u32 s0, s1, s3
	s_lshl_b32 s26, s8, 2
	s_and_b32 s25, s0, 0xffff
	v_lshlrev_b32_e32 v38, 2, v1
	buffer_load_dword v33, v38, s[24:27], 0 offen
	v_cmp_eq_u32_e32 vcc, 63, v1
	v_lshrrev_b32_e32 v1, 4, v0
	v_and_b32_e32 v35, 60, v1
	v_and_b32_e32 v1, 3, v0
	s_abs_i32 s33, s10
	v_lshlrev_b32_e32 v36, 2, v1
	v_cvt_f32_u32_e32 v1, s33
	s_add_i32 s2, s9, 15
	s_ashr_i32 s3, s2, 31
	s_lshr_b32 s3, s3, 28
	v_rcp_iflag_f32_e32 v1, v1
	s_add_i32 s2, s2, s3
	s_ashr_i32 s2, s2, 4
	v_lshlrev_b32_e32 v32, 5, v0
	v_lshlrev_b32_e32 v34, 6, v0
	v_cmp_eq_u32_e64 s[0:1], 0, v0
	v_cmp_gt_u32_e64 s[2:3], s2, v0
	v_lshlrev_b32_e32 v37, 4, v0
	v_mul_f32_e32 v0, 0x4f7ffffe, v1
	s_load_dwordx8 s[16:23], s[4:5], 0x0
	s_add_i32 s4, s9, 3
	v_cvt_u32_f32_e32 v0, v0
	s_ashr_i32 s5, s4, 31
	s_lshr_b32 s5, s5, 30
	s_add_i32 s4, s4, s5
	s_and_b32 s38, s4, -4
	s_sub_i32 s4, 0, s33
	v_readfirstlane_b32 s41, v0
	s_mul_i32 s4, s4, s41
	s_mul_hi_u32 s4, s41, s4
	s_lshl_b32 s6, s9, 1
	s_lshl_b32 s30, s9, 2
	s_ashr_i32 s40, s10, 31
	s_add_i32 s41, s41, s4
	s_mov_b32 s15, s9
	s_waitcnt vmcnt(0) lgkmcnt(0)
	s_barrier
	v_readlane_b32 s28, v33, 0
	s_cmp_lt_i32 s28, 0
	s_cbranch_scc1 .LBB118_12
; %bb.9:
	s_abs_i32 s4, s34
	s_mul_hi_u32 s5, s4, s41
	s_mul_i32 s27, s5, s33
	s_sub_i32 s4, s4, s27
	s_xor_b32 s7, s35, s40
	s_add_i32 s27, s5, 1
	s_sub_i32 s29, s4, s33
	s_cmp_ge_u32 s4, s33
	s_cselect_b32 s5, s27, s5
	s_cselect_b32 s4, s29, s4
	s_add_i32 s27, s5, 1
	s_cmp_ge_u32 s4, s33
	s_cselect_b32 s4, s27, s5
	s_xor_b32 s4, s4, s7
	s_sub_i32 s27, s4, s7
	s_mul_i32 s4, s27, s10
	s_sub_i32 s36, s34, s4
	s_mul_i32 s4, s36, s12
	s_mul_i32 s5, s27, s11
	s_add_i32 s35, s4, s5
	s_cmp_eq_u32 s35, -1
	s_cbranch_scc1 .LBB118_13
; %bb.10:
	s_mul_hi_i32 s5, s35, s15
	s_mul_i32 s4, s35, s15
	s_lshl_b64 s[4:5], s[4:5], 1
	s_add_u32 s4, s20, s4
	s_addc_u32 s5, s21, s5
	s_and_b32 s5, s5, 0xffff
	s_mov_b32 s7, 0x20000
	buffer_load_dwordx4 v[4:7], v32, s[4:7], 0 offen
	buffer_load_dwordx4 v[12:15], v32, s[4:7], 16 offen
	s_waitcnt vmcnt(1)
	v_cvt_f32_f16_e32 v0, v4
	v_cvt_f32_f16_sdwa v1, v4 dst_sel:DWORD dst_unused:UNUSED_PAD src0_sel:WORD_1
	v_cvt_f32_f16_e32 v2, v5
	v_cvt_f32_f16_sdwa v3, v5 dst_sel:DWORD dst_unused:UNUSED_PAD src0_sel:WORD_1
	;; [unrolled: 2-line block ×4, first 2 shown]
	s_waitcnt vmcnt(0)
	v_cvt_f32_f16_e32 v8, v12
	v_cvt_f32_f16_sdwa v9, v12 dst_sel:DWORD dst_unused:UNUSED_PAD src0_sel:WORD_1
	v_cvt_f32_f16_e32 v10, v13
	v_cvt_f32_f16_sdwa v11, v13 dst_sel:DWORD dst_unused:UNUSED_PAD src0_sel:WORD_1
	;; [unrolled: 2-line block ×4, first 2 shown]
	s_branch .LBB118_14
.LBB118_11:
                                        ; implicit-def: $sgpr2
	s_branch .LBB118_2
.LBB118_12:
	s_mov_b32 s35, -1
                                        ; implicit-def: $vgpr0_vgpr1_vgpr2_vgpr3_vgpr4_vgpr5_vgpr6_vgpr7_vgpr8_vgpr9_vgpr10_vgpr11_vgpr12_vgpr13_vgpr14_vgpr15
	s_cmp_eq_u32 s8, 1
	s_mov_b32 s42, 1
	s_cbranch_scc0 .LBB118_21
	s_branch .LBB118_35
.LBB118_13:
                                        ; implicit-def: $vgpr0_vgpr1_vgpr2_vgpr3_vgpr4_vgpr5_vgpr6_vgpr7_vgpr8_vgpr9_vgpr10_vgpr11_vgpr12_vgpr13_vgpr14_vgpr15
.LBB118_14:
	s_mul_i32 s4, s28, s9
	s_ashr_i32 s5, s4, 31
	s_lshl_b64 s[4:5], s[4:5], 2
	s_add_u32 s28, s22, s4
	s_addc_u32 s4, s23, s5
	s_and_b32 s29, s4, 0xffff
	s_mov_b32 s31, 0x20000
	buffer_load_dwordx4 v[16:19], v34, s[28:31], 0 offen
	buffer_load_dwordx4 v[20:23], v34, s[28:31], 16 offen
	;; [unrolled: 1-line block ×4, first 2 shown]
	s_mov_b32 s4, 0x2edbe6ff
	s_waitcnt vmcnt(3)
	v_pk_mul_f32 v[16:17], v[0:1], v[16:17]
	v_pk_mul_f32 v[18:19], v[2:3], v[18:19]
	v_max3_f32 v39, |v16|, s4, |v17|
	s_waitcnt vmcnt(2)
	v_pk_mul_f32 v[20:21], v[4:5], v[20:21]
	v_max3_f32 v39, v39, |v18|, |v19|
	v_pk_mul_f32 v[22:23], v[6:7], v[22:23]
	v_max3_f32 v39, v39, |v20|, |v21|
	s_waitcnt vmcnt(1)
	v_pk_mul_f32 v[24:25], v[8:9], v[24:25]
	v_max3_f32 v39, v39, |v22|, |v23|
	v_pk_mul_f32 v[26:27], v[10:11], v[26:27]
	v_max3_f32 v39, v39, |v24|, |v25|
	s_waitcnt vmcnt(0)
	v_pk_mul_f32 v[28:29], v[12:13], v[28:29]
	v_max3_f32 v39, v39, |v26|, |v27|
	v_pk_mul_f32 v[30:31], v[14:15], v[30:31]
	v_max3_f32 v39, v39, |v28|, |v29|
	v_max3_f32 v39, v39, |v30|, |v31|
	s_nop 1
	v_mov_b32_dpp v40, v39 quad_perm:[1,0,3,2] row_mask:0xf bank_mask:0xf
	v_cmp_gt_f32_e64 s[4:5], v39, v40
	v_cndmask_b32_e64 v39, v40, v39, s[4:5]
	s_nop 1
	v_mov_b32_dpp v40, v39 quad_perm:[2,3,0,1] row_mask:0xf bank_mask:0xf
	v_cmp_gt_f32_e64 s[4:5], v39, v40
	v_cndmask_b32_e64 v39, v40, v39, s[4:5]
	s_nop 1
	v_mov_b32_dpp v40, v39 row_half_mirror row_mask:0xf bank_mask:0xf
	v_cmp_gt_f32_e64 s[4:5], v39, v40
	v_cndmask_b32_e64 v39, v40, v39, s[4:5]
	s_nop 1
	v_mov_b32_dpp v40, v39 row_mirror row_mask:0xf bank_mask:0xf
	v_cmp_gt_f32_e64 s[4:5], v39, v40
	v_cndmask_b32_e64 v39, v40, v39, s[4:5]
	s_nop 1
	v_mov_b32_dpp v40, v39 row_bcast:15 row_mask:0xf bank_mask:0xf
	v_cmp_gt_f32_e64 s[4:5], v39, v40
	v_cndmask_b32_e64 v39, v40, v39, s[4:5]
	s_nop 1
	v_mov_b32_dpp v40, v39 row_bcast:31 row_mask:0xf bank_mask:0xf
	s_and_saveexec_b64 s[28:29], vcc
	s_cbranch_execz .LBB118_16
; %bb.15:
	v_cmp_gt_f32_e64 s[4:5], v39, v40
	v_cndmask_b32_e64 v39, v40, v39, s[4:5]
	ds_write_b32 v35, v39
.LBB118_16:
	s_or_b64 exec, exec, s[28:29]
	s_waitcnt lgkmcnt(0)
	s_barrier
	ds_read_b32 v39, v36
	s_mul_i32 s27, s27, s13
	s_waitcnt lgkmcnt(0)
	v_mov_b32_dpp v40, v39 quad_perm:[1,0,3,2] row_mask:0xf bank_mask:0xf
	v_cmp_gt_f32_e64 s[4:5], v39, v40
	v_cndmask_b32_e64 v39, v40, v39, s[4:5]
	s_nop 1
	v_mov_b32_dpp v40, v39 quad_perm:[2,3,0,1] row_mask:0xf bank_mask:0xf
	v_cmp_gt_f32_e64 s[4:5], v39, v40
	v_cndmask_b32_e64 v39, v40, v39, s[4:5]
	s_mul_i32 s4, s36, s14
	v_mul_f32_e32 v39, 0x3c010204, v39
	s_add_i32 s28, s4, s27
	s_and_saveexec_b64 s[4:5], s[0:1]
	s_cbranch_execz .LBB118_18
; %bb.17:
	s_ashr_i32 s29, s28, 31
	s_lshl_b64 s[36:37], s[28:29], 2
	s_add_u32 s36, s18, s36
	s_addc_u32 s37, s19, s37
	v_mov_b32_e32 v40, 0
	global_store_dword v40, v39, s[36:37]
.LBB118_18:
	s_or_b64 exec, exec, s[4:5]
	s_and_saveexec_b64 s[4:5], s[2:3]
	s_cbranch_execz .LBB118_20
; %bb.19:
	v_rcp_f32_e32 v40, v39
	s_mul_i32 s27, s28, s15
	s_mul_hi_i32 s7, s28, s15
	s_add_u32 s36, s16, s27
	v_mov_b32_e32 v41, v40
	;;#ASMSTART
	v_pk_mul_f32 v[16:17], v[16:17], v[40:41]
	;;#ASMEND
	v_cvt_i32_f32_e32 v39, v16
	v_cvt_i32_f32_sdwa v42, v17 dst_sel:BYTE_1 dst_unused:UNUSED_PAD src0_sel:DWORD
	;;#ASMSTART
	v_pk_mul_f32 v[16:17], v[18:19], v[40:41]
	;;#ASMEND
	v_cvt_i32_f32_e32 v18, v16
	v_cvt_i32_f32_sdwa v19, v17 dst_sel:BYTE_1 dst_unused:UNUSED_PAD src0_sel:DWORD
	;; [unrolled: 5-line block ×8, first 2 shown]
	v_or_b32_sdwa v16, v39, v42 dst_sel:DWORD dst_unused:UNUSED_PAD src0_sel:BYTE_0 src1_sel:DWORD
	v_or_b32_sdwa v17, v18, v19 dst_sel:WORD_1 dst_unused:UNUSED_PAD src0_sel:BYTE_0 src1_sel:DWORD
	v_or_b32_sdwa v16, v16, v17 dst_sel:DWORD dst_unused:UNUSED_PAD src0_sel:WORD_0 src1_sel:DWORD
	v_or_b32_sdwa v17, v20, v21 dst_sel:DWORD dst_unused:UNUSED_PAD src0_sel:BYTE_0 src1_sel:DWORD
	v_or_b32_sdwa v18, v22, v23 dst_sel:WORD_1 dst_unused:UNUSED_PAD src0_sel:BYTE_0 src1_sel:DWORD
	v_or_b32_sdwa v17, v17, v18 dst_sel:DWORD dst_unused:UNUSED_PAD src0_sel:WORD_0 src1_sel:DWORD
	v_or_b32_sdwa v18, v24, v25 dst_sel:DWORD dst_unused:UNUSED_PAD src0_sel:BYTE_0 src1_sel:DWORD
	v_or_b32_sdwa v19, v26, v27 dst_sel:WORD_1 dst_unused:UNUSED_PAD src0_sel:BYTE_0 src1_sel:DWORD
	s_addc_u32 s7, s17, s7
	v_or_b32_sdwa v18, v18, v19 dst_sel:DWORD dst_unused:UNUSED_PAD src0_sel:WORD_0 src1_sel:DWORD
	v_or_b32_sdwa v19, v28, v29 dst_sel:DWORD dst_unused:UNUSED_PAD src0_sel:BYTE_0 src1_sel:DWORD
	v_or_b32_sdwa v20, v30, v31 dst_sel:WORD_1 dst_unused:UNUSED_PAD src0_sel:BYTE_0 src1_sel:DWORD
	s_and_b32 s37, s7, 0xffff
	s_mov_b32 s39, 0x20000
	v_or_b32_sdwa v19, v19, v20 dst_sel:DWORD dst_unused:UNUSED_PAD src0_sel:WORD_0 src1_sel:DWORD
	buffer_store_dwordx4 v[16:19], v37, s[36:39], 0 offen
	;;#ASMSTART
	s_nop 0
	;;#ASMEND
.LBB118_20:
	s_or_b64 exec, exec, s[4:5]
	s_cmp_eq_u32 s8, 1
	s_mov_b32 s42, 1
	s_cbranch_scc1 .LBB118_35
.LBB118_21:
	v_add_u32_e32 v38, 4, v38
	s_mov_b32 s31, 0x20000
	s_mov_b32 s43, 0x2edbe6ff
	v_mov_b32_e32 v39, 0
	s_branch .LBB118_24
.LBB118_22:                             ;   in Loop: Header=BB118_24 Depth=1
	s_or_b64 exec, exec, s[4:5]
.LBB118_23:                             ;   in Loop: Header=BB118_24 Depth=1
	s_add_i32 s42, s42, 1
	s_cmp_eq_u32 s8, s42
	v_add_u32_e32 v38, 4, v38
	s_cbranch_scc1 .LBB118_35
.LBB118_24:                             ; =>This Inner Loop Header: Depth=1
	s_and_b32 s4, s42, 63
	s_cmp_lg_u32 s4, 0
	s_cbranch_scc1 .LBB118_26
; %bb.25:                               ;   in Loop: Header=BB118_24 Depth=1
	s_mov_b32 s27, s31
	buffer_load_dword v33, v38, s[24:27], 0 offen
	s_waitcnt vmcnt(0)
.LBB118_26:                             ;   in Loop: Header=BB118_24 Depth=1
	v_readlane_b32 s28, v33, s4
	s_cmp_lt_i32 s28, 0
	s_cbranch_scc1 .LBB118_23
; %bb.27:                               ;   in Loop: Header=BB118_24 Depth=1
	s_add_i32 s4, s34, s42
	s_abs_i32 s7, s4
	s_mul_hi_u32 s27, s7, s41
	s_mul_i32 s29, s27, s33
	s_ashr_i32 s5, s4, 31
	s_sub_i32 s7, s7, s29
	s_xor_b32 s5, s5, s40
	s_add_i32 s29, s27, 1
	s_sub_i32 s36, s7, s33
	s_cmp_ge_u32 s7, s33
	s_cselect_b32 s27, s29, s27
	s_cselect_b32 s7, s36, s7
	s_add_i32 s29, s27, 1
	s_cmp_ge_u32 s7, s33
	s_cselect_b32 s7, s29, s27
	s_xor_b32 s7, s7, s5
	s_sub_i32 s27, s7, s5
	s_mul_i32 s5, s27, s10
	s_sub_i32 s36, s4, s5
	s_mul_i32 s29, s36, s12
	s_mul_i32 s4, s27, s11
	s_add_i32 s29, s29, s4
	s_cmp_eq_u32 s29, s35
	s_cbranch_scc1 .LBB118_29
; %bb.28:                               ;   in Loop: Header=BB118_24 Depth=1
	s_mul_hi_i32 s5, s29, s15
	s_mul_i32 s4, s29, s15
	s_lshl_b64 s[4:5], s[4:5], 1
	s_add_u32 s4, s20, s4
	s_addc_u32 s5, s21, s5
	s_and_b32 s5, s5, 0xffff
	s_mov_b32 s7, s31
	buffer_load_dwordx4 v[4:7], v32, s[4:7], 0 offen
	buffer_load_dwordx4 v[12:15], v32, s[4:7], 16 offen
	s_mov_b32 s35, s29
	s_waitcnt vmcnt(1)
	v_cvt_f32_f16_e32 v0, v4
	v_cvt_f32_f16_sdwa v1, v4 dst_sel:DWORD dst_unused:UNUSED_PAD src0_sel:WORD_1
	v_cvt_f32_f16_e32 v2, v5
	v_cvt_f32_f16_sdwa v3, v5 dst_sel:DWORD dst_unused:UNUSED_PAD src0_sel:WORD_1
	;; [unrolled: 2-line block ×4, first 2 shown]
	s_waitcnt vmcnt(0)
	v_cvt_f32_f16_e32 v8, v12
	v_cvt_f32_f16_sdwa v9, v12 dst_sel:DWORD dst_unused:UNUSED_PAD src0_sel:WORD_1
	v_cvt_f32_f16_e32 v10, v13
	v_cvt_f32_f16_sdwa v11, v13 dst_sel:DWORD dst_unused:UNUSED_PAD src0_sel:WORD_1
	;; [unrolled: 2-line block ×4, first 2 shown]
.LBB118_29:                             ;   in Loop: Header=BB118_24 Depth=1
	s_mul_i32 s4, s28, s9
	s_ashr_i32 s5, s4, 31
	s_lshl_b64 s[4:5], s[4:5], 2
	s_add_u32 s28, s22, s4
	s_addc_u32 s4, s23, s5
	s_and_b32 s29, s4, 0xffff
	buffer_load_dwordx4 v[16:19], v34, s[28:31], 0 offen
	buffer_load_dwordx4 v[20:23], v34, s[28:31], 16 offen
	;; [unrolled: 1-line block ×4, first 2 shown]
	s_waitcnt vmcnt(3)
	v_pk_mul_f32 v[16:17], v[0:1], v[16:17]
	v_pk_mul_f32 v[18:19], v[2:3], v[18:19]
	v_max3_f32 v40, |v16|, s43, |v17|
	s_waitcnt vmcnt(2)
	v_pk_mul_f32 v[20:21], v[4:5], v[20:21]
	v_max3_f32 v40, v40, |v18|, |v19|
	v_pk_mul_f32 v[22:23], v[6:7], v[22:23]
	v_max3_f32 v40, v40, |v20|, |v21|
	s_waitcnt vmcnt(1)
	v_pk_mul_f32 v[24:25], v[8:9], v[24:25]
	v_max3_f32 v40, v40, |v22|, |v23|
	v_pk_mul_f32 v[26:27], v[10:11], v[26:27]
	v_max3_f32 v40, v40, |v24|, |v25|
	;; [unrolled: 5-line block ×3, first 2 shown]
	v_max3_f32 v40, v40, |v30|, |v31|
	s_nop 1
	v_mov_b32_dpp v41, v40 quad_perm:[1,0,3,2] row_mask:0xf bank_mask:0xf
	v_cmp_gt_f32_e64 s[4:5], v40, v41
	v_cndmask_b32_e64 v40, v41, v40, s[4:5]
	s_nop 1
	v_mov_b32_dpp v41, v40 quad_perm:[2,3,0,1] row_mask:0xf bank_mask:0xf
	v_cmp_gt_f32_e64 s[4:5], v40, v41
	v_cndmask_b32_e64 v40, v41, v40, s[4:5]
	s_nop 1
	v_mov_b32_dpp v41, v40 row_half_mirror row_mask:0xf bank_mask:0xf
	v_cmp_gt_f32_e64 s[4:5], v40, v41
	v_cndmask_b32_e64 v40, v41, v40, s[4:5]
	s_nop 1
	v_mov_b32_dpp v41, v40 row_mirror row_mask:0xf bank_mask:0xf
	v_cmp_gt_f32_e64 s[4:5], v40, v41
	v_cndmask_b32_e64 v40, v41, v40, s[4:5]
	s_nop 1
	v_mov_b32_dpp v41, v40 row_bcast:15 row_mask:0xf bank_mask:0xf
	v_cmp_gt_f32_e64 s[4:5], v40, v41
	v_cndmask_b32_e64 v40, v41, v40, s[4:5]
	s_nop 1
	v_mov_b32_dpp v41, v40 row_bcast:31 row_mask:0xf bank_mask:0xf
	s_and_saveexec_b64 s[28:29], vcc
	s_cbranch_execz .LBB118_31
; %bb.30:                               ;   in Loop: Header=BB118_24 Depth=1
	v_cmp_gt_f32_e64 s[4:5], v40, v41
	v_cndmask_b32_e64 v40, v41, v40, s[4:5]
	ds_write_b32 v35, v40
.LBB118_31:                             ;   in Loop: Header=BB118_24 Depth=1
	s_or_b64 exec, exec, s[28:29]
	s_waitcnt lgkmcnt(0)
	s_barrier
	ds_read_b32 v40, v36
	s_mul_i32 s27, s27, s13
	s_waitcnt lgkmcnt(0)
	v_mov_b32_dpp v41, v40 quad_perm:[1,0,3,2] row_mask:0xf bank_mask:0xf
	v_cmp_gt_f32_e64 s[4:5], v40, v41
	v_cndmask_b32_e64 v40, v41, v40, s[4:5]
	s_nop 1
	v_mov_b32_dpp v41, v40 quad_perm:[2,3,0,1] row_mask:0xf bank_mask:0xf
	v_cmp_gt_f32_e64 s[4:5], v40, v41
	v_cndmask_b32_e64 v40, v41, v40, s[4:5]
	s_mul_i32 s4, s36, s14
	v_mul_f32_e32 v40, 0x3c010204, v40
	s_add_i32 s28, s4, s27
	s_and_saveexec_b64 s[4:5], s[0:1]
	s_cbranch_execz .LBB118_33
; %bb.32:                               ;   in Loop: Header=BB118_24 Depth=1
	s_ashr_i32 s29, s28, 31
	s_lshl_b64 s[36:37], s[28:29], 2
	s_add_u32 s36, s18, s36
	s_addc_u32 s37, s19, s37
	global_store_dword v39, v40, s[36:37]
.LBB118_33:                             ;   in Loop: Header=BB118_24 Depth=1
	s_or_b64 exec, exec, s[4:5]
	s_and_saveexec_b64 s[4:5], s[2:3]
	s_cbranch_execz .LBB118_22
; %bb.34:                               ;   in Loop: Header=BB118_24 Depth=1
	v_rcp_f32_e32 v40, v40
	s_mul_i32 s27, s28, s15
	s_mul_hi_i32 s7, s28, s15
	s_add_u32 s36, s16, s27
	v_mov_b32_e32 v41, v40
	;;#ASMSTART
	v_pk_mul_f32 v[16:17], v[16:17], v[40:41]
	;;#ASMEND
	v_cvt_i32_f32_e32 v42, v16
	v_cvt_i32_f32_sdwa v43, v17 dst_sel:BYTE_1 dst_unused:UNUSED_PAD src0_sel:DWORD
	;;#ASMSTART
	v_pk_mul_f32 v[16:17], v[18:19], v[40:41]
	;;#ASMEND
	v_cvt_i32_f32_e32 v18, v16
	v_cvt_i32_f32_sdwa v19, v17 dst_sel:BYTE_1 dst_unused:UNUSED_PAD src0_sel:DWORD
	;; [unrolled: 5-line block ×8, first 2 shown]
	v_or_b32_sdwa v16, v42, v43 dst_sel:DWORD dst_unused:UNUSED_PAD src0_sel:BYTE_0 src1_sel:DWORD
	v_or_b32_sdwa v17, v18, v19 dst_sel:WORD_1 dst_unused:UNUSED_PAD src0_sel:BYTE_0 src1_sel:DWORD
	v_or_b32_sdwa v16, v16, v17 dst_sel:DWORD dst_unused:UNUSED_PAD src0_sel:WORD_0 src1_sel:DWORD
	v_or_b32_sdwa v17, v20, v21 dst_sel:DWORD dst_unused:UNUSED_PAD src0_sel:BYTE_0 src1_sel:DWORD
	v_or_b32_sdwa v18, v22, v23 dst_sel:WORD_1 dst_unused:UNUSED_PAD src0_sel:BYTE_0 src1_sel:DWORD
	v_or_b32_sdwa v17, v17, v18 dst_sel:DWORD dst_unused:UNUSED_PAD src0_sel:WORD_0 src1_sel:DWORD
	v_or_b32_sdwa v18, v24, v25 dst_sel:DWORD dst_unused:UNUSED_PAD src0_sel:BYTE_0 src1_sel:DWORD
	v_or_b32_sdwa v19, v26, v27 dst_sel:WORD_1 dst_unused:UNUSED_PAD src0_sel:BYTE_0 src1_sel:DWORD
	s_addc_u32 s7, s17, s7
	v_or_b32_sdwa v18, v18, v19 dst_sel:DWORD dst_unused:UNUSED_PAD src0_sel:WORD_0 src1_sel:DWORD
	v_or_b32_sdwa v19, v28, v29 dst_sel:DWORD dst_unused:UNUSED_PAD src0_sel:BYTE_0 src1_sel:DWORD
	v_or_b32_sdwa v20, v30, v31 dst_sel:WORD_1 dst_unused:UNUSED_PAD src0_sel:BYTE_0 src1_sel:DWORD
	s_and_b32 s37, s7, 0xffff
	s_mov_b32 s39, s31
	v_or_b32_sdwa v19, v19, v20 dst_sel:DWORD dst_unused:UNUSED_PAD src0_sel:WORD_0 src1_sel:DWORD
	buffer_store_dwordx4 v[16:19], v37, s[36:39], 0 offen
	;;#ASMSTART
	s_nop 0
	;;#ASMEND
	s_branch .LBB118_22
.LBB118_35:
	s_endpgm
	.section	.rodata,"a",@progbits
	.p2align	6, 0x0
	.amdhsa_kernel _ZN5aiter36smooth_per_token_scaled_quant_kernelIDF16_aLi256ELi16ELb0ELb1ELb0ELi1024EEEvPT0_PfPT_S3_PiS6_iiPKiiiiiiiii
		.amdhsa_group_segment_fixed_size 16
		.amdhsa_private_segment_fixed_size 0
		.amdhsa_kernarg_size 96
		.amdhsa_user_sgpr_count 6
		.amdhsa_user_sgpr_private_segment_buffer 1
		.amdhsa_user_sgpr_dispatch_ptr 0
		.amdhsa_user_sgpr_queue_ptr 0
		.amdhsa_user_sgpr_kernarg_segment_ptr 1
		.amdhsa_user_sgpr_dispatch_id 0
		.amdhsa_user_sgpr_flat_scratch_init 0
		.amdhsa_user_sgpr_kernarg_preload_length 0
		.amdhsa_user_sgpr_kernarg_preload_offset 0
		.amdhsa_user_sgpr_private_segment_size 0
		.amdhsa_uses_dynamic_stack 0
		.amdhsa_system_sgpr_private_segment_wavefront_offset 0
		.amdhsa_system_sgpr_workgroup_id_x 1
		.amdhsa_system_sgpr_workgroup_id_y 0
		.amdhsa_system_sgpr_workgroup_id_z 0
		.amdhsa_system_sgpr_workgroup_info 0
		.amdhsa_system_vgpr_workitem_id 0
		.amdhsa_next_free_vgpr 44
		.amdhsa_next_free_sgpr 44
		.amdhsa_accum_offset 44
		.amdhsa_reserve_vcc 1
		.amdhsa_reserve_flat_scratch 0
		.amdhsa_float_round_mode_32 0
		.amdhsa_float_round_mode_16_64 0
		.amdhsa_float_denorm_mode_32 3
		.amdhsa_float_denorm_mode_16_64 3
		.amdhsa_dx10_clamp 1
		.amdhsa_ieee_mode 1
		.amdhsa_fp16_overflow 0
		.amdhsa_tg_split 0
		.amdhsa_exception_fp_ieee_invalid_op 0
		.amdhsa_exception_fp_denorm_src 0
		.amdhsa_exception_fp_ieee_div_zero 0
		.amdhsa_exception_fp_ieee_overflow 0
		.amdhsa_exception_fp_ieee_underflow 0
		.amdhsa_exception_fp_ieee_inexact 0
		.amdhsa_exception_int_div_zero 0
	.end_amdhsa_kernel
	.section	.text._ZN5aiter36smooth_per_token_scaled_quant_kernelIDF16_aLi256ELi16ELb0ELb1ELb0ELi1024EEEvPT0_PfPT_S3_PiS6_iiPKiiiiiiiii,"axG",@progbits,_ZN5aiter36smooth_per_token_scaled_quant_kernelIDF16_aLi256ELi16ELb0ELb1ELb0ELi1024EEEvPT0_PfPT_S3_PiS6_iiPKiiiiiiiii,comdat
.Lfunc_end118:
	.size	_ZN5aiter36smooth_per_token_scaled_quant_kernelIDF16_aLi256ELi16ELb0ELb1ELb0ELi1024EEEvPT0_PfPT_S3_PiS6_iiPKiiiiiiiii, .Lfunc_end118-_ZN5aiter36smooth_per_token_scaled_quant_kernelIDF16_aLi256ELi16ELb0ELb1ELb0ELi1024EEEvPT0_PfPT_S3_PiS6_iiPKiiiiiiiii
                                        ; -- End function
	.section	.AMDGPU.csdata,"",@progbits
; Kernel info:
; codeLenInByte = 2840
; NumSgprs: 48
; NumVgprs: 44
; NumAgprs: 0
; TotalNumVgprs: 44
; ScratchSize: 0
; MemoryBound: 0
; FloatMode: 240
; IeeeMode: 1
; LDSByteSize: 16 bytes/workgroup (compile time only)
; SGPRBlocks: 5
; VGPRBlocks: 5
; NumSGPRsForWavesPerEU: 48
; NumVGPRsForWavesPerEU: 44
; AccumOffset: 44
; Occupancy: 8
; WaveLimiterHint : 0
; COMPUTE_PGM_RSRC2:SCRATCH_EN: 0
; COMPUTE_PGM_RSRC2:USER_SGPR: 6
; COMPUTE_PGM_RSRC2:TRAP_HANDLER: 0
; COMPUTE_PGM_RSRC2:TGID_X_EN: 1
; COMPUTE_PGM_RSRC2:TGID_Y_EN: 0
; COMPUTE_PGM_RSRC2:TGID_Z_EN: 0
; COMPUTE_PGM_RSRC2:TIDIG_COMP_CNT: 0
; COMPUTE_PGM_RSRC3_GFX90A:ACCUM_OFFSET: 10
; COMPUTE_PGM_RSRC3_GFX90A:TG_SPLIT: 0
	.section	.text._ZN5aiter36smooth_per_token_scaled_quant_kernelItaLi256ELi16ELb0ELb1ELb0ELi1024EEEvPT0_PfPT_S3_PiS6_iiPKiiiiiiiii,"axG",@progbits,_ZN5aiter36smooth_per_token_scaled_quant_kernelItaLi256ELi16ELb0ELb1ELb0ELi1024EEEvPT0_PfPT_S3_PiS6_iiPKiiiiiiiii,comdat
	.protected	_ZN5aiter36smooth_per_token_scaled_quant_kernelItaLi256ELi16ELb0ELb1ELb0ELi1024EEEvPT0_PfPT_S3_PiS6_iiPKiiiiiiiii ; -- Begin function _ZN5aiter36smooth_per_token_scaled_quant_kernelItaLi256ELi16ELb0ELb1ELb0ELi1024EEEvPT0_PfPT_S3_PiS6_iiPKiiiiiiiii
	.globl	_ZN5aiter36smooth_per_token_scaled_quant_kernelItaLi256ELi16ELb0ELb1ELb0ELi1024EEEvPT0_PfPT_S3_PiS6_iiPKiiiiiiiii
	.p2align	8
	.type	_ZN5aiter36smooth_per_token_scaled_quant_kernelItaLi256ELi16ELb0ELb1ELb0ELi1024EEEvPT0_PfPT_S3_PiS6_iiPKiiiiiiiii,@function
_ZN5aiter36smooth_per_token_scaled_quant_kernelItaLi256ELi16ELb0ELb1ELb0ELi1024EEEvPT0_PfPT_S3_PiS6_iiPKiiiiiiiii: ; @_ZN5aiter36smooth_per_token_scaled_quant_kernelItaLi256ELi16ELb0ELb1ELb0ELi1024EEEvPT0_PfPT_S3_PiS6_iiPKiiiiiiiii
; %bb.0:
	s_load_dwordx2 s[2:3], s[4:5], 0x38
	s_load_dwordx8 s[8:15], s[4:5], 0x40
	s_mov_b64 s[0:1], 0
	s_waitcnt lgkmcnt(0)
	s_cmp_lg_u64 s[2:3], 0
	s_cbranch_scc0 .LBB119_11
; %bb.1:
	s_load_dword s2, s[2:3], 0x0
	s_waitcnt lgkmcnt(0)
	s_mul_i32 s2, s2, s8
	s_andn2_b64 vcc, exec, s[0:1]
	s_cbranch_vccnz .LBB119_3
.LBB119_2:
	s_mul_i32 s2, s10, s9
.LBB119_3:
	s_load_dwordx2 s[8:9], s[4:5], 0x30
	s_abs_i32 s1, s2
	s_waitcnt lgkmcnt(0)
	s_abs_i32 s0, s8
	v_cvt_f32_u32_e32 v1, s0
	s_sub_i32 s7, 0, s0
	s_xor_b32 s3, s2, s8
	s_ashr_i32 s3, s3, 31
	v_rcp_iflag_f32_e32 v1, v1
	v_mul_f32_e32 v1, 0x4f7ffffe, v1
	v_cvt_u32_f32_e32 v1, v1
	v_readfirstlane_b32 s15, v1
	s_mul_i32 s7, s7, s15
	s_mul_hi_u32 s7, s15, s7
	s_add_i32 s15, s15, s7
	s_mul_hi_u32 s7, s1, s15
	s_mul_i32 s15, s7, s0
	s_sub_i32 s1, s1, s15
	s_add_i32 s16, s7, 1
	s_sub_i32 s15, s1, s0
	s_cmp_ge_u32 s1, s0
	s_cselect_b32 s7, s16, s7
	s_cselect_b32 s1, s15, s1
	s_add_i32 s15, s7, 1
	s_cmp_ge_u32 s1, s0
	s_cselect_b32 s0, s15, s7
	s_xor_b32 s0, s0, s3
	s_sub_i32 s7, s0, s3
	s_mul_i32 s0, s7, s8
	s_sub_i32 s2, s2, s0
	s_cmp_lt_u32 s6, s2
	s_cselect_b64 s[0:1], -1, 0
	s_add_i32 s8, s7, 1
	s_cmp_ge_u32 s6, s2
	s_cbranch_scc0 .LBB119_5
; %bb.4:
	s_mul_i32 s3, s2, s8
	s_sub_i32 s2, s6, s2
	s_mul_i32 s2, s2, s7
	s_add_i32 s34, s2, s3
	s_cbranch_execz .LBB119_6
	s_branch .LBB119_7
.LBB119_5:
                                        ; implicit-def: $sgpr34
.LBB119_6:
	s_mul_i32 s34, s8, s6
.LBB119_7:
	v_cndmask_b32_e64 v1, 0, 1, s[0:1]
	v_readfirstlane_b32 s0, v1
	s_add_i32 s8, s7, s0
	s_cmp_lt_i32 s8, 1
	s_cbranch_scc1 .LBB119_35
; %bb.8:
	s_load_dwordx2 s[0:1], s[4:5], 0x20
	s_ashr_i32 s35, s34, 31
	s_lshl_b64 s[2:3], s[34:35], 2
	v_and_b32_e32 v1, 63, v0
	s_mov_b32 s27, 0x20000
	s_waitcnt lgkmcnt(0)
	s_add_u32 s24, s0, s2
	s_addc_u32 s0, s1, s3
	s_lshl_b32 s26, s8, 2
	s_and_b32 s25, s0, 0xffff
	v_lshlrev_b32_e32 v38, 2, v1
	buffer_load_dword v33, v38, s[24:27], 0 offen
	v_cmp_eq_u32_e32 vcc, 63, v1
	v_lshrrev_b32_e32 v1, 4, v0
	v_and_b32_e32 v35, 60, v1
	v_and_b32_e32 v1, 3, v0
	s_abs_i32 s33, s10
	v_lshlrev_b32_e32 v36, 2, v1
	v_cvt_f32_u32_e32 v1, s33
	s_add_i32 s2, s9, 15
	s_ashr_i32 s3, s2, 31
	s_lshr_b32 s3, s3, 28
	v_rcp_iflag_f32_e32 v1, v1
	s_add_i32 s2, s2, s3
	s_ashr_i32 s2, s2, 4
	v_lshlrev_b32_e32 v32, 5, v0
	v_lshlrev_b32_e32 v34, 6, v0
	v_cmp_eq_u32_e64 s[0:1], 0, v0
	v_cmp_gt_u32_e64 s[2:3], s2, v0
	v_lshlrev_b32_e32 v37, 4, v0
	v_mul_f32_e32 v0, 0x4f7ffffe, v1
	s_load_dwordx8 s[16:23], s[4:5], 0x0
	s_add_i32 s4, s9, 3
	v_cvt_u32_f32_e32 v0, v0
	s_ashr_i32 s5, s4, 31
	s_lshr_b32 s5, s5, 30
	s_add_i32 s4, s4, s5
	s_and_b32 s38, s4, -4
	s_sub_i32 s4, 0, s33
	v_readfirstlane_b32 s41, v0
	s_mul_i32 s4, s4, s41
	s_mul_hi_u32 s4, s41, s4
	s_lshl_b32 s6, s9, 1
	s_lshl_b32 s30, s9, 2
	s_ashr_i32 s40, s10, 31
	s_add_i32 s41, s41, s4
	s_mov_b32 s15, s9
	s_waitcnt vmcnt(0) lgkmcnt(0)
	s_barrier
	v_readlane_b32 s28, v33, 0
	s_cmp_lt_i32 s28, 0
	s_cbranch_scc1 .LBB119_12
; %bb.9:
	s_abs_i32 s4, s34
	s_mul_hi_u32 s5, s4, s41
	s_mul_i32 s27, s5, s33
	s_sub_i32 s4, s4, s27
	s_xor_b32 s7, s35, s40
	s_add_i32 s27, s5, 1
	s_sub_i32 s29, s4, s33
	s_cmp_ge_u32 s4, s33
	s_cselect_b32 s5, s27, s5
	s_cselect_b32 s4, s29, s4
	s_add_i32 s27, s5, 1
	s_cmp_ge_u32 s4, s33
	s_cselect_b32 s4, s27, s5
	s_xor_b32 s4, s4, s7
	s_sub_i32 s27, s4, s7
	s_mul_i32 s4, s27, s10
	s_sub_i32 s36, s34, s4
	s_mul_i32 s4, s36, s12
	s_mul_i32 s5, s27, s11
	s_add_i32 s35, s4, s5
	s_cmp_eq_u32 s35, -1
	s_cbranch_scc1 .LBB119_13
; %bb.10:
	s_mul_hi_i32 s5, s35, s15
	s_mul_i32 s4, s35, s15
	s_lshl_b64 s[4:5], s[4:5], 1
	s_add_u32 s4, s20, s4
	s_addc_u32 s5, s21, s5
	s_and_b32 s5, s5, 0xffff
	s_mov_b32 s7, 0x20000
	buffer_load_dwordx4 v[6:9], v32, s[4:7], 0 offen
	buffer_load_dwordx4 v[14:17], v32, s[4:7], 16 offen
	s_waitcnt vmcnt(1)
	v_cvt_f32_u32_sdwa v1, v6 dst_sel:DWORD dst_unused:UNUSED_PAD src0_sel:WORD_1
	v_cvt_f32_u32_sdwa v0, v6 dst_sel:DWORD dst_unused:UNUSED_PAD src0_sel:WORD_0
	v_cvt_f32_u32_sdwa v3, v7 dst_sel:DWORD dst_unused:UNUSED_PAD src0_sel:WORD_1
	v_cvt_f32_u32_sdwa v2, v7 dst_sel:DWORD dst_unused:UNUSED_PAD src0_sel:WORD_0
	;; [unrolled: 2-line block ×4, first 2 shown]
	s_waitcnt vmcnt(0)
	v_cvt_f32_u32_sdwa v9, v14 dst_sel:DWORD dst_unused:UNUSED_PAD src0_sel:WORD_1
	v_cvt_f32_u32_sdwa v8, v14 dst_sel:DWORD dst_unused:UNUSED_PAD src0_sel:WORD_0
	v_cvt_f32_u32_sdwa v11, v15 dst_sel:DWORD dst_unused:UNUSED_PAD src0_sel:WORD_1
	v_cvt_f32_u32_sdwa v10, v15 dst_sel:DWORD dst_unused:UNUSED_PAD src0_sel:WORD_0
	;; [unrolled: 2-line block ×4, first 2 shown]
	s_branch .LBB119_14
.LBB119_11:
                                        ; implicit-def: $sgpr2
	s_branch .LBB119_2
.LBB119_12:
	s_mov_b32 s35, -1
                                        ; implicit-def: $vgpr0_vgpr1_vgpr2_vgpr3_vgpr4_vgpr5_vgpr6_vgpr7_vgpr8_vgpr9_vgpr10_vgpr11_vgpr12_vgpr13_vgpr14_vgpr15
	s_cmp_eq_u32 s8, 1
	s_mov_b32 s42, 1
	s_cbranch_scc0 .LBB119_21
	s_branch .LBB119_35
.LBB119_13:
                                        ; implicit-def: $vgpr0_vgpr1_vgpr2_vgpr3_vgpr4_vgpr5_vgpr6_vgpr7_vgpr8_vgpr9_vgpr10_vgpr11_vgpr12_vgpr13_vgpr14_vgpr15
.LBB119_14:
	s_mul_i32 s4, s28, s9
	s_ashr_i32 s5, s4, 31
	s_lshl_b64 s[4:5], s[4:5], 2
	s_add_u32 s28, s22, s4
	s_addc_u32 s4, s23, s5
	s_and_b32 s29, s4, 0xffff
	s_mov_b32 s31, 0x20000
	buffer_load_dwordx4 v[16:19], v34, s[28:31], 0 offen
	buffer_load_dwordx4 v[20:23], v34, s[28:31], 16 offen
	;; [unrolled: 1-line block ×4, first 2 shown]
	s_mov_b32 s4, 0x2edbe6ff
	s_waitcnt vmcnt(3)
	v_pk_mul_f32 v[16:17], v[0:1], v[16:17]
	v_pk_mul_f32 v[18:19], v[2:3], v[18:19]
	v_max3_f32 v39, |v16|, s4, |v17|
	s_waitcnt vmcnt(2)
	v_pk_mul_f32 v[20:21], v[4:5], v[20:21]
	v_max3_f32 v39, v39, |v18|, |v19|
	v_pk_mul_f32 v[22:23], v[6:7], v[22:23]
	v_max3_f32 v39, v39, |v20|, |v21|
	s_waitcnt vmcnt(1)
	v_pk_mul_f32 v[24:25], v[8:9], v[24:25]
	v_max3_f32 v39, v39, |v22|, |v23|
	v_pk_mul_f32 v[26:27], v[10:11], v[26:27]
	v_max3_f32 v39, v39, |v24|, |v25|
	;; [unrolled: 5-line block ×3, first 2 shown]
	v_max3_f32 v39, v39, |v30|, |v31|
	s_nop 1
	v_mov_b32_dpp v40, v39 quad_perm:[1,0,3,2] row_mask:0xf bank_mask:0xf
	v_cmp_gt_f32_e64 s[4:5], v39, v40
	v_cndmask_b32_e64 v39, v40, v39, s[4:5]
	s_nop 1
	v_mov_b32_dpp v40, v39 quad_perm:[2,3,0,1] row_mask:0xf bank_mask:0xf
	v_cmp_gt_f32_e64 s[4:5], v39, v40
	v_cndmask_b32_e64 v39, v40, v39, s[4:5]
	s_nop 1
	v_mov_b32_dpp v40, v39 row_half_mirror row_mask:0xf bank_mask:0xf
	v_cmp_gt_f32_e64 s[4:5], v39, v40
	v_cndmask_b32_e64 v39, v40, v39, s[4:5]
	s_nop 1
	v_mov_b32_dpp v40, v39 row_mirror row_mask:0xf bank_mask:0xf
	v_cmp_gt_f32_e64 s[4:5], v39, v40
	v_cndmask_b32_e64 v39, v40, v39, s[4:5]
	s_nop 1
	v_mov_b32_dpp v40, v39 row_bcast:15 row_mask:0xf bank_mask:0xf
	v_cmp_gt_f32_e64 s[4:5], v39, v40
	v_cndmask_b32_e64 v39, v40, v39, s[4:5]
	s_nop 1
	v_mov_b32_dpp v40, v39 row_bcast:31 row_mask:0xf bank_mask:0xf
	s_and_saveexec_b64 s[28:29], vcc
	s_cbranch_execz .LBB119_16
; %bb.15:
	v_cmp_gt_f32_e64 s[4:5], v39, v40
	v_cndmask_b32_e64 v39, v40, v39, s[4:5]
	ds_write_b32 v35, v39
.LBB119_16:
	s_or_b64 exec, exec, s[28:29]
	s_waitcnt lgkmcnt(0)
	s_barrier
	ds_read_b32 v39, v36
	s_mul_i32 s27, s27, s13
	s_waitcnt lgkmcnt(0)
	v_mov_b32_dpp v40, v39 quad_perm:[1,0,3,2] row_mask:0xf bank_mask:0xf
	v_cmp_gt_f32_e64 s[4:5], v39, v40
	v_cndmask_b32_e64 v39, v40, v39, s[4:5]
	s_nop 1
	v_mov_b32_dpp v40, v39 quad_perm:[2,3,0,1] row_mask:0xf bank_mask:0xf
	v_cmp_gt_f32_e64 s[4:5], v39, v40
	v_cndmask_b32_e64 v39, v40, v39, s[4:5]
	s_mul_i32 s4, s36, s14
	v_mul_f32_e32 v39, 0x3c010204, v39
	s_add_i32 s28, s4, s27
	s_and_saveexec_b64 s[4:5], s[0:1]
	s_cbranch_execz .LBB119_18
; %bb.17:
	s_ashr_i32 s29, s28, 31
	s_lshl_b64 s[36:37], s[28:29], 2
	s_add_u32 s36, s18, s36
	s_addc_u32 s37, s19, s37
	v_mov_b32_e32 v40, 0
	global_store_dword v40, v39, s[36:37]
.LBB119_18:
	s_or_b64 exec, exec, s[4:5]
	s_and_saveexec_b64 s[4:5], s[2:3]
	s_cbranch_execz .LBB119_20
; %bb.19:
	v_rcp_f32_e32 v40, v39
	s_mul_i32 s27, s28, s15
	s_mul_hi_i32 s7, s28, s15
	s_add_u32 s36, s16, s27
	v_mov_b32_e32 v41, v40
	;;#ASMSTART
	v_pk_mul_f32 v[16:17], v[16:17], v[40:41]
	;;#ASMEND
	v_cvt_i32_f32_e32 v39, v16
	v_cvt_i32_f32_sdwa v42, v17 dst_sel:BYTE_1 dst_unused:UNUSED_PAD src0_sel:DWORD
	;;#ASMSTART
	v_pk_mul_f32 v[16:17], v[18:19], v[40:41]
	;;#ASMEND
	v_cvt_i32_f32_e32 v18, v16
	v_cvt_i32_f32_sdwa v19, v17 dst_sel:BYTE_1 dst_unused:UNUSED_PAD src0_sel:DWORD
	;; [unrolled: 5-line block ×8, first 2 shown]
	v_or_b32_sdwa v16, v39, v42 dst_sel:DWORD dst_unused:UNUSED_PAD src0_sel:BYTE_0 src1_sel:DWORD
	v_or_b32_sdwa v17, v18, v19 dst_sel:WORD_1 dst_unused:UNUSED_PAD src0_sel:BYTE_0 src1_sel:DWORD
	v_or_b32_sdwa v16, v16, v17 dst_sel:DWORD dst_unused:UNUSED_PAD src0_sel:WORD_0 src1_sel:DWORD
	v_or_b32_sdwa v17, v20, v21 dst_sel:DWORD dst_unused:UNUSED_PAD src0_sel:BYTE_0 src1_sel:DWORD
	v_or_b32_sdwa v18, v22, v23 dst_sel:WORD_1 dst_unused:UNUSED_PAD src0_sel:BYTE_0 src1_sel:DWORD
	v_or_b32_sdwa v17, v17, v18 dst_sel:DWORD dst_unused:UNUSED_PAD src0_sel:WORD_0 src1_sel:DWORD
	v_or_b32_sdwa v18, v24, v25 dst_sel:DWORD dst_unused:UNUSED_PAD src0_sel:BYTE_0 src1_sel:DWORD
	v_or_b32_sdwa v19, v26, v27 dst_sel:WORD_1 dst_unused:UNUSED_PAD src0_sel:BYTE_0 src1_sel:DWORD
	s_addc_u32 s7, s17, s7
	v_or_b32_sdwa v18, v18, v19 dst_sel:DWORD dst_unused:UNUSED_PAD src0_sel:WORD_0 src1_sel:DWORD
	v_or_b32_sdwa v19, v28, v29 dst_sel:DWORD dst_unused:UNUSED_PAD src0_sel:BYTE_0 src1_sel:DWORD
	v_or_b32_sdwa v20, v30, v31 dst_sel:WORD_1 dst_unused:UNUSED_PAD src0_sel:BYTE_0 src1_sel:DWORD
	s_and_b32 s37, s7, 0xffff
	s_mov_b32 s39, 0x20000
	v_or_b32_sdwa v19, v19, v20 dst_sel:DWORD dst_unused:UNUSED_PAD src0_sel:WORD_0 src1_sel:DWORD
	buffer_store_dwordx4 v[16:19], v37, s[36:39], 0 offen
	;;#ASMSTART
	s_nop 0
	;;#ASMEND
.LBB119_20:
	s_or_b64 exec, exec, s[4:5]
	s_cmp_eq_u32 s8, 1
	s_mov_b32 s42, 1
	s_cbranch_scc1 .LBB119_35
.LBB119_21:
	v_add_u32_e32 v38, 4, v38
	s_mov_b32 s31, 0x20000
	s_mov_b32 s43, 0x2edbe6ff
	v_mov_b32_e32 v39, 0
	s_branch .LBB119_24
.LBB119_22:                             ;   in Loop: Header=BB119_24 Depth=1
	s_or_b64 exec, exec, s[4:5]
.LBB119_23:                             ;   in Loop: Header=BB119_24 Depth=1
	s_add_i32 s42, s42, 1
	s_cmp_eq_u32 s8, s42
	v_add_u32_e32 v38, 4, v38
	s_cbranch_scc1 .LBB119_35
.LBB119_24:                             ; =>This Inner Loop Header: Depth=1
	s_and_b32 s4, s42, 63
	s_cmp_lg_u32 s4, 0
	s_cbranch_scc1 .LBB119_26
; %bb.25:                               ;   in Loop: Header=BB119_24 Depth=1
	s_mov_b32 s27, s31
	buffer_load_dword v33, v38, s[24:27], 0 offen
	s_waitcnt vmcnt(0)
.LBB119_26:                             ;   in Loop: Header=BB119_24 Depth=1
	v_readlane_b32 s28, v33, s4
	s_cmp_lt_i32 s28, 0
	s_cbranch_scc1 .LBB119_23
; %bb.27:                               ;   in Loop: Header=BB119_24 Depth=1
	s_add_i32 s4, s34, s42
	s_abs_i32 s7, s4
	s_mul_hi_u32 s27, s7, s41
	s_mul_i32 s29, s27, s33
	s_ashr_i32 s5, s4, 31
	s_sub_i32 s7, s7, s29
	s_xor_b32 s5, s5, s40
	s_add_i32 s29, s27, 1
	s_sub_i32 s36, s7, s33
	s_cmp_ge_u32 s7, s33
	s_cselect_b32 s27, s29, s27
	s_cselect_b32 s7, s36, s7
	s_add_i32 s29, s27, 1
	s_cmp_ge_u32 s7, s33
	s_cselect_b32 s7, s29, s27
	s_xor_b32 s7, s7, s5
	s_sub_i32 s27, s7, s5
	s_mul_i32 s5, s27, s10
	s_sub_i32 s36, s4, s5
	s_mul_i32 s29, s36, s12
	s_mul_i32 s4, s27, s11
	s_add_i32 s29, s29, s4
	s_cmp_eq_u32 s29, s35
	s_cbranch_scc1 .LBB119_29
; %bb.28:                               ;   in Loop: Header=BB119_24 Depth=1
	s_mul_hi_i32 s5, s29, s15
	s_mul_i32 s4, s29, s15
	s_lshl_b64 s[4:5], s[4:5], 1
	s_add_u32 s4, s20, s4
	s_addc_u32 s5, s21, s5
	s_and_b32 s5, s5, 0xffff
	s_mov_b32 s7, s31
	buffer_load_dwordx4 v[6:9], v32, s[4:7], 0 offen
	buffer_load_dwordx4 v[14:17], v32, s[4:7], 16 offen
	s_mov_b32 s35, s29
	s_waitcnt vmcnt(1)
	v_cvt_f32_u32_sdwa v1, v6 dst_sel:DWORD dst_unused:UNUSED_PAD src0_sel:WORD_1
	v_cvt_f32_u32_sdwa v0, v6 dst_sel:DWORD dst_unused:UNUSED_PAD src0_sel:WORD_0
	v_cvt_f32_u32_sdwa v3, v7 dst_sel:DWORD dst_unused:UNUSED_PAD src0_sel:WORD_1
	v_cvt_f32_u32_sdwa v2, v7 dst_sel:DWORD dst_unused:UNUSED_PAD src0_sel:WORD_0
	;; [unrolled: 2-line block ×4, first 2 shown]
	s_waitcnt vmcnt(0)
	v_cvt_f32_u32_sdwa v9, v14 dst_sel:DWORD dst_unused:UNUSED_PAD src0_sel:WORD_1
	v_cvt_f32_u32_sdwa v8, v14 dst_sel:DWORD dst_unused:UNUSED_PAD src0_sel:WORD_0
	v_cvt_f32_u32_sdwa v11, v15 dst_sel:DWORD dst_unused:UNUSED_PAD src0_sel:WORD_1
	v_cvt_f32_u32_sdwa v10, v15 dst_sel:DWORD dst_unused:UNUSED_PAD src0_sel:WORD_0
	;; [unrolled: 2-line block ×4, first 2 shown]
.LBB119_29:                             ;   in Loop: Header=BB119_24 Depth=1
	s_mul_i32 s4, s28, s9
	s_ashr_i32 s5, s4, 31
	s_lshl_b64 s[4:5], s[4:5], 2
	s_add_u32 s28, s22, s4
	s_addc_u32 s4, s23, s5
	s_and_b32 s29, s4, 0xffff
	buffer_load_dwordx4 v[16:19], v34, s[28:31], 0 offen
	buffer_load_dwordx4 v[20:23], v34, s[28:31], 16 offen
	;; [unrolled: 1-line block ×4, first 2 shown]
	s_waitcnt vmcnt(3)
	v_pk_mul_f32 v[16:17], v[0:1], v[16:17]
	v_pk_mul_f32 v[18:19], v[2:3], v[18:19]
	v_max3_f32 v40, |v16|, s43, |v17|
	s_waitcnt vmcnt(2)
	v_pk_mul_f32 v[20:21], v[4:5], v[20:21]
	v_max3_f32 v40, v40, |v18|, |v19|
	v_pk_mul_f32 v[22:23], v[6:7], v[22:23]
	v_max3_f32 v40, v40, |v20|, |v21|
	s_waitcnt vmcnt(1)
	v_pk_mul_f32 v[24:25], v[8:9], v[24:25]
	v_max3_f32 v40, v40, |v22|, |v23|
	v_pk_mul_f32 v[26:27], v[10:11], v[26:27]
	v_max3_f32 v40, v40, |v24|, |v25|
	;; [unrolled: 5-line block ×3, first 2 shown]
	v_max3_f32 v40, v40, |v30|, |v31|
	s_nop 1
	v_mov_b32_dpp v41, v40 quad_perm:[1,0,3,2] row_mask:0xf bank_mask:0xf
	v_cmp_gt_f32_e64 s[4:5], v40, v41
	v_cndmask_b32_e64 v40, v41, v40, s[4:5]
	s_nop 1
	v_mov_b32_dpp v41, v40 quad_perm:[2,3,0,1] row_mask:0xf bank_mask:0xf
	v_cmp_gt_f32_e64 s[4:5], v40, v41
	v_cndmask_b32_e64 v40, v41, v40, s[4:5]
	s_nop 1
	v_mov_b32_dpp v41, v40 row_half_mirror row_mask:0xf bank_mask:0xf
	v_cmp_gt_f32_e64 s[4:5], v40, v41
	v_cndmask_b32_e64 v40, v41, v40, s[4:5]
	s_nop 1
	v_mov_b32_dpp v41, v40 row_mirror row_mask:0xf bank_mask:0xf
	v_cmp_gt_f32_e64 s[4:5], v40, v41
	v_cndmask_b32_e64 v40, v41, v40, s[4:5]
	s_nop 1
	v_mov_b32_dpp v41, v40 row_bcast:15 row_mask:0xf bank_mask:0xf
	v_cmp_gt_f32_e64 s[4:5], v40, v41
	v_cndmask_b32_e64 v40, v41, v40, s[4:5]
	s_nop 1
	v_mov_b32_dpp v41, v40 row_bcast:31 row_mask:0xf bank_mask:0xf
	s_and_saveexec_b64 s[28:29], vcc
	s_cbranch_execz .LBB119_31
; %bb.30:                               ;   in Loop: Header=BB119_24 Depth=1
	v_cmp_gt_f32_e64 s[4:5], v40, v41
	v_cndmask_b32_e64 v40, v41, v40, s[4:5]
	ds_write_b32 v35, v40
.LBB119_31:                             ;   in Loop: Header=BB119_24 Depth=1
	s_or_b64 exec, exec, s[28:29]
	s_waitcnt lgkmcnt(0)
	s_barrier
	ds_read_b32 v40, v36
	s_mul_i32 s27, s27, s13
	s_waitcnt lgkmcnt(0)
	v_mov_b32_dpp v41, v40 quad_perm:[1,0,3,2] row_mask:0xf bank_mask:0xf
	v_cmp_gt_f32_e64 s[4:5], v40, v41
	v_cndmask_b32_e64 v40, v41, v40, s[4:5]
	s_nop 1
	v_mov_b32_dpp v41, v40 quad_perm:[2,3,0,1] row_mask:0xf bank_mask:0xf
	v_cmp_gt_f32_e64 s[4:5], v40, v41
	v_cndmask_b32_e64 v40, v41, v40, s[4:5]
	s_mul_i32 s4, s36, s14
	v_mul_f32_e32 v40, 0x3c010204, v40
	s_add_i32 s28, s4, s27
	s_and_saveexec_b64 s[4:5], s[0:1]
	s_cbranch_execz .LBB119_33
; %bb.32:                               ;   in Loop: Header=BB119_24 Depth=1
	s_ashr_i32 s29, s28, 31
	s_lshl_b64 s[36:37], s[28:29], 2
	s_add_u32 s36, s18, s36
	s_addc_u32 s37, s19, s37
	global_store_dword v39, v40, s[36:37]
.LBB119_33:                             ;   in Loop: Header=BB119_24 Depth=1
	s_or_b64 exec, exec, s[4:5]
	s_and_saveexec_b64 s[4:5], s[2:3]
	s_cbranch_execz .LBB119_22
; %bb.34:                               ;   in Loop: Header=BB119_24 Depth=1
	v_rcp_f32_e32 v40, v40
	s_mul_i32 s27, s28, s15
	s_mul_hi_i32 s7, s28, s15
	s_add_u32 s36, s16, s27
	v_mov_b32_e32 v41, v40
	;;#ASMSTART
	v_pk_mul_f32 v[16:17], v[16:17], v[40:41]
	;;#ASMEND
	v_cvt_i32_f32_e32 v42, v16
	v_cvt_i32_f32_sdwa v43, v17 dst_sel:BYTE_1 dst_unused:UNUSED_PAD src0_sel:DWORD
	;;#ASMSTART
	v_pk_mul_f32 v[16:17], v[18:19], v[40:41]
	;;#ASMEND
	v_cvt_i32_f32_e32 v18, v16
	v_cvt_i32_f32_sdwa v19, v17 dst_sel:BYTE_1 dst_unused:UNUSED_PAD src0_sel:DWORD
	;; [unrolled: 5-line block ×8, first 2 shown]
	v_or_b32_sdwa v16, v42, v43 dst_sel:DWORD dst_unused:UNUSED_PAD src0_sel:BYTE_0 src1_sel:DWORD
	v_or_b32_sdwa v17, v18, v19 dst_sel:WORD_1 dst_unused:UNUSED_PAD src0_sel:BYTE_0 src1_sel:DWORD
	v_or_b32_sdwa v16, v16, v17 dst_sel:DWORD dst_unused:UNUSED_PAD src0_sel:WORD_0 src1_sel:DWORD
	v_or_b32_sdwa v17, v20, v21 dst_sel:DWORD dst_unused:UNUSED_PAD src0_sel:BYTE_0 src1_sel:DWORD
	v_or_b32_sdwa v18, v22, v23 dst_sel:WORD_1 dst_unused:UNUSED_PAD src0_sel:BYTE_0 src1_sel:DWORD
	v_or_b32_sdwa v17, v17, v18 dst_sel:DWORD dst_unused:UNUSED_PAD src0_sel:WORD_0 src1_sel:DWORD
	v_or_b32_sdwa v18, v24, v25 dst_sel:DWORD dst_unused:UNUSED_PAD src0_sel:BYTE_0 src1_sel:DWORD
	v_or_b32_sdwa v19, v26, v27 dst_sel:WORD_1 dst_unused:UNUSED_PAD src0_sel:BYTE_0 src1_sel:DWORD
	s_addc_u32 s7, s17, s7
	v_or_b32_sdwa v18, v18, v19 dst_sel:DWORD dst_unused:UNUSED_PAD src0_sel:WORD_0 src1_sel:DWORD
	v_or_b32_sdwa v19, v28, v29 dst_sel:DWORD dst_unused:UNUSED_PAD src0_sel:BYTE_0 src1_sel:DWORD
	v_or_b32_sdwa v20, v30, v31 dst_sel:WORD_1 dst_unused:UNUSED_PAD src0_sel:BYTE_0 src1_sel:DWORD
	s_and_b32 s37, s7, 0xffff
	s_mov_b32 s39, s31
	v_or_b32_sdwa v19, v19, v20 dst_sel:DWORD dst_unused:UNUSED_PAD src0_sel:WORD_0 src1_sel:DWORD
	buffer_store_dwordx4 v[16:19], v37, s[36:39], 0 offen
	;;#ASMSTART
	s_nop 0
	;;#ASMEND
	s_branch .LBB119_22
.LBB119_35:
	s_endpgm
	.section	.rodata,"a",@progbits
	.p2align	6, 0x0
	.amdhsa_kernel _ZN5aiter36smooth_per_token_scaled_quant_kernelItaLi256ELi16ELb0ELb1ELb0ELi1024EEEvPT0_PfPT_S3_PiS6_iiPKiiiiiiiii
		.amdhsa_group_segment_fixed_size 16
		.amdhsa_private_segment_fixed_size 0
		.amdhsa_kernarg_size 96
		.amdhsa_user_sgpr_count 6
		.amdhsa_user_sgpr_private_segment_buffer 1
		.amdhsa_user_sgpr_dispatch_ptr 0
		.amdhsa_user_sgpr_queue_ptr 0
		.amdhsa_user_sgpr_kernarg_segment_ptr 1
		.amdhsa_user_sgpr_dispatch_id 0
		.amdhsa_user_sgpr_flat_scratch_init 0
		.amdhsa_user_sgpr_kernarg_preload_length 0
		.amdhsa_user_sgpr_kernarg_preload_offset 0
		.amdhsa_user_sgpr_private_segment_size 0
		.amdhsa_uses_dynamic_stack 0
		.amdhsa_system_sgpr_private_segment_wavefront_offset 0
		.amdhsa_system_sgpr_workgroup_id_x 1
		.amdhsa_system_sgpr_workgroup_id_y 0
		.amdhsa_system_sgpr_workgroup_id_z 0
		.amdhsa_system_sgpr_workgroup_info 0
		.amdhsa_system_vgpr_workitem_id 0
		.amdhsa_next_free_vgpr 44
		.amdhsa_next_free_sgpr 44
		.amdhsa_accum_offset 44
		.amdhsa_reserve_vcc 1
		.amdhsa_reserve_flat_scratch 0
		.amdhsa_float_round_mode_32 0
		.amdhsa_float_round_mode_16_64 0
		.amdhsa_float_denorm_mode_32 3
		.amdhsa_float_denorm_mode_16_64 3
		.amdhsa_dx10_clamp 1
		.amdhsa_ieee_mode 1
		.amdhsa_fp16_overflow 0
		.amdhsa_tg_split 0
		.amdhsa_exception_fp_ieee_invalid_op 0
		.amdhsa_exception_fp_denorm_src 0
		.amdhsa_exception_fp_ieee_div_zero 0
		.amdhsa_exception_fp_ieee_overflow 0
		.amdhsa_exception_fp_ieee_underflow 0
		.amdhsa_exception_fp_ieee_inexact 0
		.amdhsa_exception_int_div_zero 0
	.end_amdhsa_kernel
	.section	.text._ZN5aiter36smooth_per_token_scaled_quant_kernelItaLi256ELi16ELb0ELb1ELb0ELi1024EEEvPT0_PfPT_S3_PiS6_iiPKiiiiiiiii,"axG",@progbits,_ZN5aiter36smooth_per_token_scaled_quant_kernelItaLi256ELi16ELb0ELb1ELb0ELi1024EEEvPT0_PfPT_S3_PiS6_iiPKiiiiiiiii,comdat
.Lfunc_end119:
	.size	_ZN5aiter36smooth_per_token_scaled_quant_kernelItaLi256ELi16ELb0ELb1ELb0ELi1024EEEvPT0_PfPT_S3_PiS6_iiPKiiiiiiiii, .Lfunc_end119-_ZN5aiter36smooth_per_token_scaled_quant_kernelItaLi256ELi16ELb0ELb1ELb0ELi1024EEEvPT0_PfPT_S3_PiS6_iiPKiiiiiiiii
                                        ; -- End function
	.section	.AMDGPU.csdata,"",@progbits
; Kernel info:
; codeLenInByte = 2904
; NumSgprs: 48
; NumVgprs: 44
; NumAgprs: 0
; TotalNumVgprs: 44
; ScratchSize: 0
; MemoryBound: 0
; FloatMode: 240
; IeeeMode: 1
; LDSByteSize: 16 bytes/workgroup (compile time only)
; SGPRBlocks: 5
; VGPRBlocks: 5
; NumSGPRsForWavesPerEU: 48
; NumVGPRsForWavesPerEU: 44
; AccumOffset: 44
; Occupancy: 8
; WaveLimiterHint : 0
; COMPUTE_PGM_RSRC2:SCRATCH_EN: 0
; COMPUTE_PGM_RSRC2:USER_SGPR: 6
; COMPUTE_PGM_RSRC2:TRAP_HANDLER: 0
; COMPUTE_PGM_RSRC2:TGID_X_EN: 1
; COMPUTE_PGM_RSRC2:TGID_Y_EN: 0
; COMPUTE_PGM_RSRC2:TGID_Z_EN: 0
; COMPUTE_PGM_RSRC2:TIDIG_COMP_CNT: 0
; COMPUTE_PGM_RSRC3_GFX90A:ACCUM_OFFSET: 10
; COMPUTE_PGM_RSRC3_GFX90A:TG_SPLIT: 0
	.section	.text._ZN5aiter36smooth_per_token_scaled_quant_kernelIDF16_aLi256ELi16ELb0ELb0ELb0ELi1024EEEvPT0_PfPT_S3_PiS6_iiPKiiiiiiiii,"axG",@progbits,_ZN5aiter36smooth_per_token_scaled_quant_kernelIDF16_aLi256ELi16ELb0ELb0ELb0ELi1024EEEvPT0_PfPT_S3_PiS6_iiPKiiiiiiiii,comdat
	.protected	_ZN5aiter36smooth_per_token_scaled_quant_kernelIDF16_aLi256ELi16ELb0ELb0ELb0ELi1024EEEvPT0_PfPT_S3_PiS6_iiPKiiiiiiiii ; -- Begin function _ZN5aiter36smooth_per_token_scaled_quant_kernelIDF16_aLi256ELi16ELb0ELb0ELb0ELi1024EEEvPT0_PfPT_S3_PiS6_iiPKiiiiiiiii
	.globl	_ZN5aiter36smooth_per_token_scaled_quant_kernelIDF16_aLi256ELi16ELb0ELb0ELb0ELi1024EEEvPT0_PfPT_S3_PiS6_iiPKiiiiiiiii
	.p2align	8
	.type	_ZN5aiter36smooth_per_token_scaled_quant_kernelIDF16_aLi256ELi16ELb0ELb0ELb0ELi1024EEEvPT0_PfPT_S3_PiS6_iiPKiiiiiiiii,@function
_ZN5aiter36smooth_per_token_scaled_quant_kernelIDF16_aLi256ELi16ELb0ELb0ELb0ELi1024EEEvPT0_PfPT_S3_PiS6_iiPKiiiiiiiii: ; @_ZN5aiter36smooth_per_token_scaled_quant_kernelIDF16_aLi256ELi16ELb0ELb0ELb0ELi1024EEEvPT0_PfPT_S3_PiS6_iiPKiiiiiiiii
; %bb.0:
	s_load_dwordx2 s[2:3], s[4:5], 0x38
	s_load_dwordx8 s[8:15], s[4:5], 0x40
	s_mov_b64 s[0:1], 0
	s_waitcnt lgkmcnt(0)
	s_cmp_lg_u64 s[2:3], 0
	s_cbranch_scc0 .LBB120_19
; %bb.1:
	s_load_dword s2, s[2:3], 0x0
	s_waitcnt lgkmcnt(0)
	s_mul_i32 s2, s2, s8
	s_andn2_b64 vcc, exec, s[0:1]
	s_cbranch_vccnz .LBB120_3
.LBB120_2:
	s_mul_i32 s2, s10, s9
.LBB120_3:
	s_load_dwordx2 s[8:9], s[4:5], 0x30
	s_abs_i32 s1, s2
	s_waitcnt lgkmcnt(0)
	s_abs_i32 s0, s8
	v_cvt_f32_u32_e32 v1, s0
	s_sub_i32 s7, 0, s0
	s_xor_b32 s3, s2, s8
	s_ashr_i32 s3, s3, 31
	v_rcp_iflag_f32_e32 v1, v1
	v_mul_f32_e32 v1, 0x4f7ffffe, v1
	v_cvt_u32_f32_e32 v1, v1
	v_readfirstlane_b32 s15, v1
	s_mul_i32 s7, s7, s15
	s_mul_hi_u32 s7, s15, s7
	s_add_i32 s15, s15, s7
	s_mul_hi_u32 s7, s1, s15
	s_mul_i32 s15, s7, s0
	s_sub_i32 s1, s1, s15
	s_add_i32 s16, s7, 1
	s_sub_i32 s15, s1, s0
	s_cmp_ge_u32 s1, s0
	s_cselect_b32 s7, s16, s7
	s_cselect_b32 s1, s15, s1
	s_add_i32 s15, s7, 1
	s_cmp_ge_u32 s1, s0
	s_cselect_b32 s0, s15, s7
	s_xor_b32 s0, s0, s3
	s_sub_i32 s7, s0, s3
	s_mul_i32 s0, s7, s8
	s_sub_i32 s2, s2, s0
	s_cmp_lt_u32 s6, s2
	s_cselect_b64 s[0:1], -1, 0
	s_add_i32 s8, s7, 1
	s_cmp_ge_u32 s6, s2
	s_cbranch_scc0 .LBB120_5
; %bb.4:
	s_mul_i32 s3, s2, s8
	s_sub_i32 s2, s6, s2
	s_mul_i32 s2, s2, s7
	s_add_i32 s15, s2, s3
	s_cbranch_execz .LBB120_6
	s_branch .LBB120_7
.LBB120_5:
                                        ; implicit-def: $sgpr15
.LBB120_6:
	s_mul_i32 s15, s8, s6
.LBB120_7:
	v_cndmask_b32_e64 v1, 0, 1, s[0:1]
	v_readfirstlane_b32 s0, v1
	s_add_i32 s33, s7, s0
	s_cmp_lt_i32 s33, 1
	s_cbranch_scc1 .LBB120_18
; %bb.8:
	v_and_b32_e32 v1, 63, v0
	v_cmp_eq_u32_e32 vcc, 63, v1
	v_lshrrev_b32_e32 v1, 4, v0
	v_and_b32_e32 v74, 60, v1
	v_and_b32_e32 v1, 3, v0
	s_abs_i32 s35, s10
	v_lshlrev_b32_e32 v75, 2, v1
	v_cvt_f32_u32_e32 v1, s35
	s_add_i32 s2, s9, 15
	s_ashr_i32 s3, s2, 31
	s_load_dwordx8 s[16:23], s[4:5], 0x0
	v_rcp_iflag_f32_e32 v1, v1
	s_lshr_b32 s3, s3, 28
	s_add_i32 s4, s9, 3
	s_add_i32 s2, s2, s3
	v_mul_f32_e32 v1, 0x4f7ffffe, v1
	v_cvt_u32_f32_e32 v1, v1
	s_ashr_i32 s5, s4, 31
	s_ashr_i32 s2, s2, 4
	s_lshr_b32 s5, s5, 30
	v_lshlrev_b32_e32 v72, 5, v0
	v_lshlrev_b32_e32 v73, 6, v0
	v_cmp_eq_u32_e64 s[0:1], 0, v0
	v_cmp_gt_u32_e64 s[2:3], s2, v0
	s_add_i32 s4, s4, s5
	v_lshlrev_b32_e32 v76, 4, v0
	v_readfirstlane_b32 s5, v1
                                        ; implicit-def: $vgpr0_vgpr1_vgpr2_vgpr3_vgpr4_vgpr5_vgpr6_vgpr7_vgpr8_vgpr9_vgpr10_vgpr11_vgpr12_vgpr13_vgpr14_vgpr15
                                        ; implicit-def: $vgpr4_vgpr5_vgpr6_vgpr7_vgpr8_vgpr9_vgpr10_vgpr11_vgpr12_vgpr13_vgpr14_vgpr15_vgpr16_vgpr17_vgpr18_vgpr19
	s_and_b32 s30, s4, -4
	s_sub_i32 s4, 0, s35
                                        ; implicit-def: $vgpr10_vgpr11_vgpr12_vgpr13_vgpr14_vgpr15_vgpr16_vgpr17_vgpr18_vgpr19_vgpr20_vgpr21_vgpr22_vgpr23_vgpr24_vgpr25
	s_mul_i32 s4, s4, s5
                                        ; implicit-def: $vgpr18_vgpr19_vgpr20_vgpr21_vgpr22_vgpr23_vgpr24_vgpr25_vgpr26_vgpr27_vgpr28_vgpr29_vgpr30_vgpr31_vgpr32_vgpr33
	s_mov_b32 s7, 0x20000
	s_waitcnt lgkmcnt(0)
	s_and_b32 s23, s23, 0xffff
	s_mul_hi_u32 s4, s5, s4
                                        ; implicit-def: $vgpr28_vgpr29_vgpr30_vgpr31_vgpr32_vgpr33_vgpr34_vgpr35_vgpr36_vgpr37_vgpr38_vgpr39_vgpr40_vgpr41_vgpr42_vgpr43
	s_mov_b32 s34, s9
	s_lshl_b32 s6, s9, 1
	s_lshl_b32 s26, s9, 2
	s_mov_b32 s27, s7
	s_ashr_i32 s36, s10, 31
	s_add_i32 s37, s5, s4
	s_mov_b32 s38, -1
	s_mov_b32 s24, s22
	s_mov_b32 s25, s23
	;; [unrolled: 1-line block ×3, first 2 shown]
	v_mov_b32_e32 v77, 0
                                        ; implicit-def: $vgpr40_vgpr41_vgpr42_vgpr43_vgpr44_vgpr45_vgpr46_vgpr47_vgpr48_vgpr49_vgpr50_vgpr51_vgpr52_vgpr53_vgpr54_vgpr55
                                        ; implicit-def: $vgpr70
                                        ; implicit-def: $vgpr54_vgpr55_vgpr56_vgpr57_vgpr58_vgpr59_vgpr60_vgpr61_vgpr62_vgpr63_vgpr64_vgpr65_vgpr66_vgpr67_vgpr68_vgpr69
	s_branch .LBB120_10
.LBB120_9:                              ;   in Loop: Header=BB120_10 Depth=1
	s_or_b64 exec, exec, s[4:5]
	s_add_i32 s33, s33, -1
	s_add_i32 s15, s15, 1
	s_cmp_eq_u32 s33, 0
	s_cbranch_scc1 .LBB120_18
.LBB120_10:                             ; =>This Inner Loop Header: Depth=1
	s_abs_i32 s5, s15
	s_mul_hi_u32 s8, s5, s37
	s_mul_i32 s9, s8, s35
	s_ashr_i32 s4, s15, 31
	s_sub_i32 s5, s5, s9
	s_xor_b32 s4, s4, s36
	s_add_i32 s9, s8, 1
	s_sub_i32 s23, s5, s35
	s_cmp_ge_u32 s5, s35
	s_cselect_b32 s8, s9, s8
	s_cselect_b32 s5, s23, s5
	s_add_i32 s9, s8, 1
	s_cmp_ge_u32 s5, s35
	s_cselect_b32 s5, s9, s8
	s_xor_b32 s5, s5, s4
	s_sub_i32 s23, s5, s4
	s_mul_i32 s4, s23, s10
	s_sub_i32 s28, s15, s4
	s_mul_i32 s8, s28, s12
	s_mul_i32 s4, s23, s11
	s_add_i32 s8, s8, s4
	s_cmp_eq_u32 s8, s38
	s_cbranch_scc1 .LBB120_12
; %bb.11:                               ;   in Loop: Header=BB120_10 Depth=1
	s_mul_hi_i32 s5, s8, s34
	s_mul_i32 s4, s8, s34
	s_lshl_b64 s[4:5], s[4:5], 1
	s_add_u32 s4, s20, s4
	s_addc_u32 s5, s21, s5
	s_and_b32 s5, s5, 0xffff
	buffer_load_dwordx4 v[2:5], v72, s[4:7], 0 offen
	buffer_load_dwordx4 v[10:13], v72, s[4:7], 16 offen
	s_mov_b32 s38, s8
	s_waitcnt vmcnt(1)
	v_cvt_f32_f16_e32 v70, v2
	v_cvt_f32_f16_sdwa v71, v2 dst_sel:DWORD dst_unused:UNUSED_PAD src0_sel:WORD_1
	v_cvt_f32_f16_e32 v2, v3
	v_cvt_f32_f16_sdwa v3, v3 dst_sel:DWORD dst_unused:UNUSED_PAD src0_sel:WORD_1
	;; [unrolled: 2-line block ×4, first 2 shown]
	s_waitcnt vmcnt(0)
	v_cvt_f32_f16_e32 v26, v10
	v_cvt_f32_f16_sdwa v27, v10 dst_sel:DWORD dst_unused:UNUSED_PAD src0_sel:WORD_1
	v_cvt_f32_f16_e32 v38, v11
	v_cvt_f32_f16_sdwa v39, v11 dst_sel:DWORD dst_unused:UNUSED_PAD src0_sel:WORD_1
	;; [unrolled: 2-line block ×4, first 2 shown]
.LBB120_12:                             ;   in Loop: Header=BB120_10 Depth=1
	buffer_load_dwordx4 v[4:7], v73, s[24:27], 0 offen
	buffer_load_dwordx4 v[10:13], v73, s[24:27], 16 offen
	s_waitcnt vmcnt(1)
	v_pk_mul_f32 v[0:1], v[70:71], v[4:5]
	v_pk_mul_f32 v[4:5], v[2:3], v[6:7]
	s_waitcnt vmcnt(0)
	v_pk_mul_f32 v[6:7], v[8:9], v[10:11]
	v_pk_mul_f32 v[10:11], v[16:17], v[12:13]
	buffer_load_dwordx4 v[12:15], v73, s[24:27], 32 offen
	buffer_load_dwordx4 v[18:21], v73, s[24:27], 48 offen
	v_max3_f32 v22, |v0|, s22, |v1|
	v_max3_f32 v22, v22, |v4|, |v5|
	v_max3_f32 v22, v22, |v6|, |v7|
	;; [unrolled: 1-line block ×3, first 2 shown]
	s_waitcnt vmcnt(1)
	v_pk_mul_f32 v[12:13], v[26:27], v[12:13]
	v_pk_mul_f32 v[14:15], v[38:39], v[14:15]
	v_max3_f32 v22, v22, |v12|, |v13|
	s_waitcnt vmcnt(0)
	v_pk_mul_f32 v[18:19], v[52:53], v[18:19]
	v_max3_f32 v22, v22, |v14|, |v15|
	v_pk_mul_f32 v[20:21], v[68:69], v[20:21]
	v_max3_f32 v22, v22, |v18|, |v19|
	v_max3_f32 v22, v22, |v20|, |v21|
	s_nop 1
	v_mov_b32_dpp v23, v22 quad_perm:[1,0,3,2] row_mask:0xf bank_mask:0xf
	v_cmp_gt_f32_e64 s[4:5], v22, v23
	v_cndmask_b32_e64 v22, v23, v22, s[4:5]
	s_nop 1
	v_mov_b32_dpp v23, v22 quad_perm:[2,3,0,1] row_mask:0xf bank_mask:0xf
	v_cmp_gt_f32_e64 s[4:5], v22, v23
	v_cndmask_b32_e64 v22, v23, v22, s[4:5]
	s_nop 1
	v_mov_b32_dpp v23, v22 row_half_mirror row_mask:0xf bank_mask:0xf
	v_cmp_gt_f32_e64 s[4:5], v22, v23
	v_cndmask_b32_e64 v22, v23, v22, s[4:5]
	s_nop 1
	v_mov_b32_dpp v23, v22 row_mirror row_mask:0xf bank_mask:0xf
	v_cmp_gt_f32_e64 s[4:5], v22, v23
	v_cndmask_b32_e64 v22, v23, v22, s[4:5]
	s_nop 1
	v_mov_b32_dpp v23, v22 row_bcast:15 row_mask:0xf bank_mask:0xf
	v_cmp_gt_f32_e64 s[4:5], v22, v23
	v_cndmask_b32_e64 v22, v23, v22, s[4:5]
	s_nop 1
	v_mov_b32_dpp v23, v22 row_bcast:31 row_mask:0xf bank_mask:0xf
	s_and_saveexec_b64 s[8:9], vcc
	s_cbranch_execz .LBB120_14
; %bb.13:                               ;   in Loop: Header=BB120_10 Depth=1
	v_cmp_gt_f32_e64 s[4:5], v22, v23
	v_cndmask_b32_e64 v22, v23, v22, s[4:5]
	ds_write_b32 v74, v22
.LBB120_14:                             ;   in Loop: Header=BB120_10 Depth=1
	s_or_b64 exec, exec, s[8:9]
	s_waitcnt lgkmcnt(0)
	s_barrier
	ds_read_b32 v22, v75
	s_mul_i32 s23, s23, s13
	s_waitcnt lgkmcnt(0)
	v_mov_b32_dpp v23, v22 quad_perm:[1,0,3,2] row_mask:0xf bank_mask:0xf
	v_cmp_gt_f32_e64 s[4:5], v22, v23
	v_cndmask_b32_e64 v22, v23, v22, s[4:5]
	s_nop 1
	v_mov_b32_dpp v23, v22 quad_perm:[2,3,0,1] row_mask:0xf bank_mask:0xf
	v_cmp_gt_f32_e64 s[4:5], v22, v23
	v_cndmask_b32_e64 v22, v23, v22, s[4:5]
	s_mul_i32 s4, s28, s14
	v_mul_f32_e32 v22, 0x3c010204, v22
	s_add_i32 s8, s4, s23
	s_and_saveexec_b64 s[4:5], s[0:1]
	s_cbranch_execz .LBB120_16
; %bb.15:                               ;   in Loop: Header=BB120_10 Depth=1
	s_ashr_i32 s9, s8, 31
	s_lshl_b64 s[28:29], s[8:9], 2
	s_add_u32 s28, s18, s28
	s_addc_u32 s29, s19, s29
	global_store_dword v77, v22, s[28:29]
.LBB120_16:                             ;   in Loop: Header=BB120_10 Depth=1
	s_or_b64 exec, exec, s[4:5]
	s_and_saveexec_b64 s[4:5], s[2:3]
	s_cbranch_execz .LBB120_9
; %bb.17:                               ;   in Loop: Header=BB120_10 Depth=1
	v_rcp_f32_e32 v22, v22
	s_mul_hi_i32 s9, s8, s34
	s_mul_i32 s8, s8, s34
	s_add_u32 s28, s16, s8
	v_mov_b32_e32 v23, v22
	;;#ASMSTART
	v_pk_mul_f32 v[0:1], v[0:1], v[22:23]
	;;#ASMEND
	v_cvt_i32_f32_e32 v24, v0
	v_cvt_i32_f32_sdwa v25, v1 dst_sel:BYTE_1 dst_unused:UNUSED_PAD src0_sel:DWORD
	;;#ASMSTART
	v_pk_mul_f32 v[0:1], v[4:5], v[22:23]
	;;#ASMEND
	v_cvt_i32_f32_e32 v4, v0
	v_cvt_i32_f32_sdwa v5, v1 dst_sel:BYTE_1 dst_unused:UNUSED_PAD src0_sel:DWORD
	;; [unrolled: 5-line block ×8, first 2 shown]
	v_or_b32_sdwa v4, v4, v5 dst_sel:WORD_1 dst_unused:UNUSED_PAD src0_sel:BYTE_0 src1_sel:DWORD
	v_or_b32_sdwa v5, v6, v7 dst_sel:DWORD dst_unused:UNUSED_PAD src0_sel:BYTE_0 src1_sel:DWORD
	v_or_b32_sdwa v6, v10, v11 dst_sel:WORD_1 dst_unused:UNUSED_PAD src0_sel:BYTE_0 src1_sel:DWORD
	v_or_b32_sdwa v5, v5, v6 dst_sel:DWORD dst_unused:UNUSED_PAD src0_sel:WORD_0 src1_sel:DWORD
	v_or_b32_sdwa v6, v12, v13 dst_sel:DWORD dst_unused:UNUSED_PAD src0_sel:BYTE_0 src1_sel:DWORD
	v_or_b32_sdwa v7, v14, v15 dst_sel:WORD_1 dst_unused:UNUSED_PAD src0_sel:BYTE_0 src1_sel:DWORD
	s_addc_u32 s8, s17, s9
	v_or_b32_sdwa v20, v24, v25 dst_sel:DWORD dst_unused:UNUSED_PAD src0_sel:BYTE_0 src1_sel:DWORD
	v_or_b32_sdwa v6, v6, v7 dst_sel:DWORD dst_unused:UNUSED_PAD src0_sel:WORD_0 src1_sel:DWORD
	v_or_b32_sdwa v7, v18, v19 dst_sel:DWORD dst_unused:UNUSED_PAD src0_sel:BYTE_0 src1_sel:DWORD
	v_or_b32_sdwa v0, v0, v1 dst_sel:WORD_1 dst_unused:UNUSED_PAD src0_sel:BYTE_0 src1_sel:DWORD
	s_and_b32 s29, s8, 0xffff
	s_mov_b32 s31, s7
	v_or_b32_sdwa v4, v20, v4 dst_sel:DWORD dst_unused:UNUSED_PAD src0_sel:WORD_0 src1_sel:DWORD
	v_or_b32_sdwa v7, v7, v0 dst_sel:DWORD dst_unused:UNUSED_PAD src0_sel:WORD_0 src1_sel:DWORD
	buffer_store_dwordx4 v[4:7], v76, s[28:31], 0 offen
	;;#ASMSTART
	s_nop 0
	;;#ASMEND
	s_branch .LBB120_9
.LBB120_18:
	s_endpgm
.LBB120_19:
                                        ; implicit-def: $sgpr2
	s_branch .LBB120_2
	.section	.rodata,"a",@progbits
	.p2align	6, 0x0
	.amdhsa_kernel _ZN5aiter36smooth_per_token_scaled_quant_kernelIDF16_aLi256ELi16ELb0ELb0ELb0ELi1024EEEvPT0_PfPT_S3_PiS6_iiPKiiiiiiiii
		.amdhsa_group_segment_fixed_size 16
		.amdhsa_private_segment_fixed_size 0
		.amdhsa_kernarg_size 96
		.amdhsa_user_sgpr_count 6
		.amdhsa_user_sgpr_private_segment_buffer 1
		.amdhsa_user_sgpr_dispatch_ptr 0
		.amdhsa_user_sgpr_queue_ptr 0
		.amdhsa_user_sgpr_kernarg_segment_ptr 1
		.amdhsa_user_sgpr_dispatch_id 0
		.amdhsa_user_sgpr_flat_scratch_init 0
		.amdhsa_user_sgpr_kernarg_preload_length 0
		.amdhsa_user_sgpr_kernarg_preload_offset 0
		.amdhsa_user_sgpr_private_segment_size 0
		.amdhsa_uses_dynamic_stack 0
		.amdhsa_system_sgpr_private_segment_wavefront_offset 0
		.amdhsa_system_sgpr_workgroup_id_x 1
		.amdhsa_system_sgpr_workgroup_id_y 0
		.amdhsa_system_sgpr_workgroup_id_z 0
		.amdhsa_system_sgpr_workgroup_info 0
		.amdhsa_system_vgpr_workitem_id 0
		.amdhsa_next_free_vgpr 78
		.amdhsa_next_free_sgpr 39
		.amdhsa_accum_offset 80
		.amdhsa_reserve_vcc 1
		.amdhsa_reserve_flat_scratch 0
		.amdhsa_float_round_mode_32 0
		.amdhsa_float_round_mode_16_64 0
		.amdhsa_float_denorm_mode_32 3
		.amdhsa_float_denorm_mode_16_64 3
		.amdhsa_dx10_clamp 1
		.amdhsa_ieee_mode 1
		.amdhsa_fp16_overflow 0
		.amdhsa_tg_split 0
		.amdhsa_exception_fp_ieee_invalid_op 0
		.amdhsa_exception_fp_denorm_src 0
		.amdhsa_exception_fp_ieee_div_zero 0
		.amdhsa_exception_fp_ieee_overflow 0
		.amdhsa_exception_fp_ieee_underflow 0
		.amdhsa_exception_fp_ieee_inexact 0
		.amdhsa_exception_int_div_zero 0
	.end_amdhsa_kernel
	.section	.text._ZN5aiter36smooth_per_token_scaled_quant_kernelIDF16_aLi256ELi16ELb0ELb0ELb0ELi1024EEEvPT0_PfPT_S3_PiS6_iiPKiiiiiiiii,"axG",@progbits,_ZN5aiter36smooth_per_token_scaled_quant_kernelIDF16_aLi256ELi16ELb0ELb0ELb0ELi1024EEEvPT0_PfPT_S3_PiS6_iiPKiiiiiiiii,comdat
.Lfunc_end120:
	.size	_ZN5aiter36smooth_per_token_scaled_quant_kernelIDF16_aLi256ELi16ELb0ELb0ELb0ELi1024EEEvPT0_PfPT_S3_PiS6_iiPKiiiiiiiii, .Lfunc_end120-_ZN5aiter36smooth_per_token_scaled_quant_kernelIDF16_aLi256ELi16ELb0ELb0ELb0ELi1024EEEvPT0_PfPT_S3_PiS6_iiPKiiiiiiiii
                                        ; -- End function
	.section	.AMDGPU.csdata,"",@progbits
; Kernel info:
; codeLenInByte = 1556
; NumSgprs: 43
; NumVgprs: 78
; NumAgprs: 0
; TotalNumVgprs: 78
; ScratchSize: 0
; MemoryBound: 0
; FloatMode: 240
; IeeeMode: 1
; LDSByteSize: 16 bytes/workgroup (compile time only)
; SGPRBlocks: 5
; VGPRBlocks: 9
; NumSGPRsForWavesPerEU: 43
; NumVGPRsForWavesPerEU: 78
; AccumOffset: 80
; Occupancy: 6
; WaveLimiterHint : 0
; COMPUTE_PGM_RSRC2:SCRATCH_EN: 0
; COMPUTE_PGM_RSRC2:USER_SGPR: 6
; COMPUTE_PGM_RSRC2:TRAP_HANDLER: 0
; COMPUTE_PGM_RSRC2:TGID_X_EN: 1
; COMPUTE_PGM_RSRC2:TGID_Y_EN: 0
; COMPUTE_PGM_RSRC2:TGID_Z_EN: 0
; COMPUTE_PGM_RSRC2:TIDIG_COMP_CNT: 0
; COMPUTE_PGM_RSRC3_GFX90A:ACCUM_OFFSET: 19
; COMPUTE_PGM_RSRC3_GFX90A:TG_SPLIT: 0
	.section	.text._ZN5aiter36smooth_per_token_scaled_quant_kernelItaLi256ELi16ELb0ELb0ELb0ELi1024EEEvPT0_PfPT_S3_PiS6_iiPKiiiiiiiii,"axG",@progbits,_ZN5aiter36smooth_per_token_scaled_quant_kernelItaLi256ELi16ELb0ELb0ELb0ELi1024EEEvPT0_PfPT_S3_PiS6_iiPKiiiiiiiii,comdat
	.protected	_ZN5aiter36smooth_per_token_scaled_quant_kernelItaLi256ELi16ELb0ELb0ELb0ELi1024EEEvPT0_PfPT_S3_PiS6_iiPKiiiiiiiii ; -- Begin function _ZN5aiter36smooth_per_token_scaled_quant_kernelItaLi256ELi16ELb0ELb0ELb0ELi1024EEEvPT0_PfPT_S3_PiS6_iiPKiiiiiiiii
	.globl	_ZN5aiter36smooth_per_token_scaled_quant_kernelItaLi256ELi16ELb0ELb0ELb0ELi1024EEEvPT0_PfPT_S3_PiS6_iiPKiiiiiiiii
	.p2align	8
	.type	_ZN5aiter36smooth_per_token_scaled_quant_kernelItaLi256ELi16ELb0ELb0ELb0ELi1024EEEvPT0_PfPT_S3_PiS6_iiPKiiiiiiiii,@function
_ZN5aiter36smooth_per_token_scaled_quant_kernelItaLi256ELi16ELb0ELb0ELb0ELi1024EEEvPT0_PfPT_S3_PiS6_iiPKiiiiiiiii: ; @_ZN5aiter36smooth_per_token_scaled_quant_kernelItaLi256ELi16ELb0ELb0ELb0ELi1024EEEvPT0_PfPT_S3_PiS6_iiPKiiiiiiiii
; %bb.0:
	s_load_dwordx2 s[2:3], s[4:5], 0x38
	s_load_dwordx8 s[8:15], s[4:5], 0x40
	s_mov_b64 s[0:1], 0
	s_waitcnt lgkmcnt(0)
	s_cmp_lg_u64 s[2:3], 0
	s_cbranch_scc0 .LBB121_19
; %bb.1:
	s_load_dword s2, s[2:3], 0x0
	s_waitcnt lgkmcnt(0)
	s_mul_i32 s2, s2, s8
	s_andn2_b64 vcc, exec, s[0:1]
	s_cbranch_vccnz .LBB121_3
.LBB121_2:
	s_mul_i32 s2, s10, s9
.LBB121_3:
	s_load_dwordx2 s[8:9], s[4:5], 0x30
	s_abs_i32 s1, s2
	s_waitcnt lgkmcnt(0)
	s_abs_i32 s0, s8
	v_cvt_f32_u32_e32 v1, s0
	s_sub_i32 s7, 0, s0
	s_xor_b32 s3, s2, s8
	s_ashr_i32 s3, s3, 31
	v_rcp_iflag_f32_e32 v1, v1
	v_mul_f32_e32 v1, 0x4f7ffffe, v1
	v_cvt_u32_f32_e32 v1, v1
	v_readfirstlane_b32 s15, v1
	s_mul_i32 s7, s7, s15
	s_mul_hi_u32 s7, s15, s7
	s_add_i32 s15, s15, s7
	s_mul_hi_u32 s7, s1, s15
	s_mul_i32 s15, s7, s0
	s_sub_i32 s1, s1, s15
	s_add_i32 s16, s7, 1
	s_sub_i32 s15, s1, s0
	s_cmp_ge_u32 s1, s0
	s_cselect_b32 s7, s16, s7
	s_cselect_b32 s1, s15, s1
	s_add_i32 s15, s7, 1
	s_cmp_ge_u32 s1, s0
	s_cselect_b32 s0, s15, s7
	s_xor_b32 s0, s0, s3
	s_sub_i32 s7, s0, s3
	s_mul_i32 s0, s7, s8
	s_sub_i32 s2, s2, s0
	s_cmp_lt_u32 s6, s2
	s_cselect_b64 s[0:1], -1, 0
	s_add_i32 s8, s7, 1
	s_cmp_ge_u32 s6, s2
	s_cbranch_scc0 .LBB121_5
; %bb.4:
	s_mul_i32 s3, s2, s8
	s_sub_i32 s2, s6, s2
	s_mul_i32 s2, s2, s7
	s_add_i32 s15, s2, s3
	s_cbranch_execz .LBB121_6
	s_branch .LBB121_7
.LBB121_5:
                                        ; implicit-def: $sgpr15
.LBB121_6:
	s_mul_i32 s15, s8, s6
.LBB121_7:
	v_cndmask_b32_e64 v1, 0, 1, s[0:1]
	v_readfirstlane_b32 s0, v1
	s_add_i32 s33, s7, s0
	s_cmp_lt_i32 s33, 1
	s_cbranch_scc1 .LBB121_18
; %bb.8:
	v_and_b32_e32 v1, 63, v0
	v_cmp_eq_u32_e32 vcc, 63, v1
	v_lshrrev_b32_e32 v1, 4, v0
	v_and_b32_e32 v74, 60, v1
	v_and_b32_e32 v1, 3, v0
	s_abs_i32 s35, s10
	v_lshlrev_b32_e32 v75, 2, v1
	v_cvt_f32_u32_e32 v1, s35
	s_add_i32 s2, s9, 15
	s_ashr_i32 s3, s2, 31
	s_load_dwordx8 s[16:23], s[4:5], 0x0
	v_rcp_iflag_f32_e32 v1, v1
	s_lshr_b32 s3, s3, 28
	s_add_i32 s4, s9, 3
	s_add_i32 s2, s2, s3
	v_mul_f32_e32 v1, 0x4f7ffffe, v1
	v_cvt_u32_f32_e32 v1, v1
	s_ashr_i32 s5, s4, 31
	s_ashr_i32 s2, s2, 4
	s_lshr_b32 s5, s5, 30
	v_lshlrev_b32_e32 v72, 5, v0
	v_lshlrev_b32_e32 v73, 6, v0
	v_cmp_eq_u32_e64 s[0:1], 0, v0
	v_cmp_gt_u32_e64 s[2:3], s2, v0
	s_add_i32 s4, s4, s5
	v_lshlrev_b32_e32 v76, 4, v0
	v_readfirstlane_b32 s5, v1
                                        ; implicit-def: $vgpr0_vgpr1_vgpr2_vgpr3_vgpr4_vgpr5_vgpr6_vgpr7_vgpr8_vgpr9_vgpr10_vgpr11_vgpr12_vgpr13_vgpr14_vgpr15
                                        ; implicit-def: $vgpr4_vgpr5_vgpr6_vgpr7_vgpr8_vgpr9_vgpr10_vgpr11_vgpr12_vgpr13_vgpr14_vgpr15_vgpr16_vgpr17_vgpr18_vgpr19
	s_and_b32 s30, s4, -4
	s_sub_i32 s4, 0, s35
                                        ; implicit-def: $vgpr10_vgpr11_vgpr12_vgpr13_vgpr14_vgpr15_vgpr16_vgpr17_vgpr18_vgpr19_vgpr20_vgpr21_vgpr22_vgpr23_vgpr24_vgpr25
	s_mul_i32 s4, s4, s5
                                        ; implicit-def: $vgpr18_vgpr19_vgpr20_vgpr21_vgpr22_vgpr23_vgpr24_vgpr25_vgpr26_vgpr27_vgpr28_vgpr29_vgpr30_vgpr31_vgpr32_vgpr33
	s_mov_b32 s7, 0x20000
	s_waitcnt lgkmcnt(0)
	s_and_b32 s23, s23, 0xffff
	s_mul_hi_u32 s4, s5, s4
                                        ; implicit-def: $vgpr28_vgpr29_vgpr30_vgpr31_vgpr32_vgpr33_vgpr34_vgpr35_vgpr36_vgpr37_vgpr38_vgpr39_vgpr40_vgpr41_vgpr42_vgpr43
	s_mov_b32 s34, s9
	s_lshl_b32 s6, s9, 1
	s_lshl_b32 s26, s9, 2
	s_mov_b32 s27, s7
	s_ashr_i32 s36, s10, 31
	s_add_i32 s37, s5, s4
	s_mov_b32 s38, -1
	s_mov_b32 s24, s22
	s_mov_b32 s25, s23
	;; [unrolled: 1-line block ×3, first 2 shown]
	v_mov_b32_e32 v77, 0
                                        ; implicit-def: $vgpr40_vgpr41_vgpr42_vgpr43_vgpr44_vgpr45_vgpr46_vgpr47_vgpr48_vgpr49_vgpr50_vgpr51_vgpr52_vgpr53_vgpr54_vgpr55
                                        ; implicit-def: $vgpr70
                                        ; implicit-def: $vgpr54_vgpr55_vgpr56_vgpr57_vgpr58_vgpr59_vgpr60_vgpr61_vgpr62_vgpr63_vgpr64_vgpr65_vgpr66_vgpr67_vgpr68_vgpr69
	s_branch .LBB121_10
.LBB121_9:                              ;   in Loop: Header=BB121_10 Depth=1
	s_or_b64 exec, exec, s[4:5]
	s_add_i32 s33, s33, -1
	s_add_i32 s15, s15, 1
	s_cmp_eq_u32 s33, 0
	s_cbranch_scc1 .LBB121_18
.LBB121_10:                             ; =>This Inner Loop Header: Depth=1
	s_abs_i32 s5, s15
	s_mul_hi_u32 s8, s5, s37
	s_mul_i32 s9, s8, s35
	s_ashr_i32 s4, s15, 31
	s_sub_i32 s5, s5, s9
	s_xor_b32 s4, s4, s36
	s_add_i32 s9, s8, 1
	s_sub_i32 s23, s5, s35
	s_cmp_ge_u32 s5, s35
	s_cselect_b32 s8, s9, s8
	s_cselect_b32 s5, s23, s5
	s_add_i32 s9, s8, 1
	s_cmp_ge_u32 s5, s35
	s_cselect_b32 s5, s9, s8
	s_xor_b32 s5, s5, s4
	s_sub_i32 s23, s5, s4
	s_mul_i32 s4, s23, s10
	s_sub_i32 s28, s15, s4
	s_mul_i32 s8, s28, s12
	s_mul_i32 s4, s23, s11
	s_add_i32 s8, s8, s4
	s_cmp_eq_u32 s8, s38
	s_cbranch_scc1 .LBB121_12
; %bb.11:                               ;   in Loop: Header=BB121_10 Depth=1
	s_mul_hi_i32 s5, s8, s34
	s_mul_i32 s4, s8, s34
	s_lshl_b64 s[4:5], s[4:5], 1
	s_add_u32 s4, s20, s4
	s_addc_u32 s5, s21, s5
	s_and_b32 s5, s5, 0xffff
	buffer_load_dwordx4 v[4:7], v72, s[4:7], 0 offen
	buffer_load_dwordx4 v[10:13], v72, s[4:7], 16 offen
	s_mov_b32 s38, s8
	s_waitcnt vmcnt(1)
	v_cvt_f32_u32_sdwa v71, v4 dst_sel:DWORD dst_unused:UNUSED_PAD src0_sel:WORD_1
	v_cvt_f32_u32_sdwa v70, v4 dst_sel:DWORD dst_unused:UNUSED_PAD src0_sel:WORD_0
	v_cvt_f32_u32_sdwa v3, v5 dst_sel:DWORD dst_unused:UNUSED_PAD src0_sel:WORD_1
	v_cvt_f32_u32_sdwa v2, v5 dst_sel:DWORD dst_unused:UNUSED_PAD src0_sel:WORD_0
	;; [unrolled: 2-line block ×4, first 2 shown]
	s_waitcnt vmcnt(0)
	v_cvt_f32_u32_sdwa v27, v10 dst_sel:DWORD dst_unused:UNUSED_PAD src0_sel:WORD_1
	v_cvt_f32_u32_sdwa v26, v10 dst_sel:DWORD dst_unused:UNUSED_PAD src0_sel:WORD_0
	v_cvt_f32_u32_sdwa v39, v11 dst_sel:DWORD dst_unused:UNUSED_PAD src0_sel:WORD_1
	v_cvt_f32_u32_sdwa v38, v11 dst_sel:DWORD dst_unused:UNUSED_PAD src0_sel:WORD_0
	;; [unrolled: 2-line block ×4, first 2 shown]
.LBB121_12:                             ;   in Loop: Header=BB121_10 Depth=1
	buffer_load_dwordx4 v[4:7], v73, s[24:27], 0 offen
	buffer_load_dwordx4 v[10:13], v73, s[24:27], 16 offen
	s_waitcnt vmcnt(1)
	v_pk_mul_f32 v[0:1], v[70:71], v[4:5]
	v_pk_mul_f32 v[4:5], v[2:3], v[6:7]
	s_waitcnt vmcnt(0)
	v_pk_mul_f32 v[6:7], v[8:9], v[10:11]
	v_pk_mul_f32 v[10:11], v[16:17], v[12:13]
	buffer_load_dwordx4 v[12:15], v73, s[24:27], 32 offen
	buffer_load_dwordx4 v[18:21], v73, s[24:27], 48 offen
	v_max3_f32 v22, |v0|, s22, |v1|
	v_max3_f32 v22, v22, |v4|, |v5|
	v_max3_f32 v22, v22, |v6|, |v7|
	;; [unrolled: 1-line block ×3, first 2 shown]
	s_waitcnt vmcnt(1)
	v_pk_mul_f32 v[12:13], v[26:27], v[12:13]
	v_pk_mul_f32 v[14:15], v[38:39], v[14:15]
	v_max3_f32 v22, v22, |v12|, |v13|
	s_waitcnt vmcnt(0)
	v_pk_mul_f32 v[18:19], v[52:53], v[18:19]
	v_max3_f32 v22, v22, |v14|, |v15|
	v_pk_mul_f32 v[20:21], v[68:69], v[20:21]
	v_max3_f32 v22, v22, |v18|, |v19|
	v_max3_f32 v22, v22, |v20|, |v21|
	s_nop 1
	v_mov_b32_dpp v23, v22 quad_perm:[1,0,3,2] row_mask:0xf bank_mask:0xf
	v_cmp_gt_f32_e64 s[4:5], v22, v23
	v_cndmask_b32_e64 v22, v23, v22, s[4:5]
	s_nop 1
	v_mov_b32_dpp v23, v22 quad_perm:[2,3,0,1] row_mask:0xf bank_mask:0xf
	v_cmp_gt_f32_e64 s[4:5], v22, v23
	v_cndmask_b32_e64 v22, v23, v22, s[4:5]
	s_nop 1
	v_mov_b32_dpp v23, v22 row_half_mirror row_mask:0xf bank_mask:0xf
	v_cmp_gt_f32_e64 s[4:5], v22, v23
	v_cndmask_b32_e64 v22, v23, v22, s[4:5]
	s_nop 1
	v_mov_b32_dpp v23, v22 row_mirror row_mask:0xf bank_mask:0xf
	v_cmp_gt_f32_e64 s[4:5], v22, v23
	v_cndmask_b32_e64 v22, v23, v22, s[4:5]
	s_nop 1
	v_mov_b32_dpp v23, v22 row_bcast:15 row_mask:0xf bank_mask:0xf
	v_cmp_gt_f32_e64 s[4:5], v22, v23
	v_cndmask_b32_e64 v22, v23, v22, s[4:5]
	s_nop 1
	v_mov_b32_dpp v23, v22 row_bcast:31 row_mask:0xf bank_mask:0xf
	s_and_saveexec_b64 s[8:9], vcc
	s_cbranch_execz .LBB121_14
; %bb.13:                               ;   in Loop: Header=BB121_10 Depth=1
	v_cmp_gt_f32_e64 s[4:5], v22, v23
	v_cndmask_b32_e64 v22, v23, v22, s[4:5]
	ds_write_b32 v74, v22
.LBB121_14:                             ;   in Loop: Header=BB121_10 Depth=1
	s_or_b64 exec, exec, s[8:9]
	s_waitcnt lgkmcnt(0)
	s_barrier
	ds_read_b32 v22, v75
	s_mul_i32 s23, s23, s13
	s_waitcnt lgkmcnt(0)
	v_mov_b32_dpp v23, v22 quad_perm:[1,0,3,2] row_mask:0xf bank_mask:0xf
	v_cmp_gt_f32_e64 s[4:5], v22, v23
	v_cndmask_b32_e64 v22, v23, v22, s[4:5]
	s_nop 1
	v_mov_b32_dpp v23, v22 quad_perm:[2,3,0,1] row_mask:0xf bank_mask:0xf
	v_cmp_gt_f32_e64 s[4:5], v22, v23
	v_cndmask_b32_e64 v22, v23, v22, s[4:5]
	s_mul_i32 s4, s28, s14
	v_mul_f32_e32 v22, 0x3c010204, v22
	s_add_i32 s8, s4, s23
	s_and_saveexec_b64 s[4:5], s[0:1]
	s_cbranch_execz .LBB121_16
; %bb.15:                               ;   in Loop: Header=BB121_10 Depth=1
	s_ashr_i32 s9, s8, 31
	s_lshl_b64 s[28:29], s[8:9], 2
	s_add_u32 s28, s18, s28
	s_addc_u32 s29, s19, s29
	global_store_dword v77, v22, s[28:29]
.LBB121_16:                             ;   in Loop: Header=BB121_10 Depth=1
	s_or_b64 exec, exec, s[4:5]
	s_and_saveexec_b64 s[4:5], s[2:3]
	s_cbranch_execz .LBB121_9
; %bb.17:                               ;   in Loop: Header=BB121_10 Depth=1
	v_rcp_f32_e32 v22, v22
	s_mul_hi_i32 s9, s8, s34
	s_mul_i32 s8, s8, s34
	s_add_u32 s28, s16, s8
	v_mov_b32_e32 v23, v22
	;;#ASMSTART
	v_pk_mul_f32 v[0:1], v[0:1], v[22:23]
	;;#ASMEND
	v_cvt_i32_f32_e32 v24, v0
	v_cvt_i32_f32_sdwa v25, v1 dst_sel:BYTE_1 dst_unused:UNUSED_PAD src0_sel:DWORD
	;;#ASMSTART
	v_pk_mul_f32 v[0:1], v[4:5], v[22:23]
	;;#ASMEND
	v_cvt_i32_f32_e32 v4, v0
	v_cvt_i32_f32_sdwa v5, v1 dst_sel:BYTE_1 dst_unused:UNUSED_PAD src0_sel:DWORD
	;; [unrolled: 5-line block ×8, first 2 shown]
	v_or_b32_sdwa v4, v4, v5 dst_sel:WORD_1 dst_unused:UNUSED_PAD src0_sel:BYTE_0 src1_sel:DWORD
	v_or_b32_sdwa v5, v6, v7 dst_sel:DWORD dst_unused:UNUSED_PAD src0_sel:BYTE_0 src1_sel:DWORD
	v_or_b32_sdwa v6, v10, v11 dst_sel:WORD_1 dst_unused:UNUSED_PAD src0_sel:BYTE_0 src1_sel:DWORD
	v_or_b32_sdwa v5, v5, v6 dst_sel:DWORD dst_unused:UNUSED_PAD src0_sel:WORD_0 src1_sel:DWORD
	v_or_b32_sdwa v6, v12, v13 dst_sel:DWORD dst_unused:UNUSED_PAD src0_sel:BYTE_0 src1_sel:DWORD
	v_or_b32_sdwa v7, v14, v15 dst_sel:WORD_1 dst_unused:UNUSED_PAD src0_sel:BYTE_0 src1_sel:DWORD
	s_addc_u32 s8, s17, s9
	v_or_b32_sdwa v20, v24, v25 dst_sel:DWORD dst_unused:UNUSED_PAD src0_sel:BYTE_0 src1_sel:DWORD
	v_or_b32_sdwa v6, v6, v7 dst_sel:DWORD dst_unused:UNUSED_PAD src0_sel:WORD_0 src1_sel:DWORD
	v_or_b32_sdwa v7, v18, v19 dst_sel:DWORD dst_unused:UNUSED_PAD src0_sel:BYTE_0 src1_sel:DWORD
	v_or_b32_sdwa v0, v0, v1 dst_sel:WORD_1 dst_unused:UNUSED_PAD src0_sel:BYTE_0 src1_sel:DWORD
	s_and_b32 s29, s8, 0xffff
	s_mov_b32 s31, s7
	v_or_b32_sdwa v4, v20, v4 dst_sel:DWORD dst_unused:UNUSED_PAD src0_sel:WORD_0 src1_sel:DWORD
	v_or_b32_sdwa v7, v7, v0 dst_sel:DWORD dst_unused:UNUSED_PAD src0_sel:WORD_0 src1_sel:DWORD
	buffer_store_dwordx4 v[4:7], v76, s[28:31], 0 offen
	;;#ASMSTART
	s_nop 0
	;;#ASMEND
	s_branch .LBB121_9
.LBB121_18:
	s_endpgm
.LBB121_19:
                                        ; implicit-def: $sgpr2
	s_branch .LBB121_2
	.section	.rodata,"a",@progbits
	.p2align	6, 0x0
	.amdhsa_kernel _ZN5aiter36smooth_per_token_scaled_quant_kernelItaLi256ELi16ELb0ELb0ELb0ELi1024EEEvPT0_PfPT_S3_PiS6_iiPKiiiiiiiii
		.amdhsa_group_segment_fixed_size 16
		.amdhsa_private_segment_fixed_size 0
		.amdhsa_kernarg_size 96
		.amdhsa_user_sgpr_count 6
		.amdhsa_user_sgpr_private_segment_buffer 1
		.amdhsa_user_sgpr_dispatch_ptr 0
		.amdhsa_user_sgpr_queue_ptr 0
		.amdhsa_user_sgpr_kernarg_segment_ptr 1
		.amdhsa_user_sgpr_dispatch_id 0
		.amdhsa_user_sgpr_flat_scratch_init 0
		.amdhsa_user_sgpr_kernarg_preload_length 0
		.amdhsa_user_sgpr_kernarg_preload_offset 0
		.amdhsa_user_sgpr_private_segment_size 0
		.amdhsa_uses_dynamic_stack 0
		.amdhsa_system_sgpr_private_segment_wavefront_offset 0
		.amdhsa_system_sgpr_workgroup_id_x 1
		.amdhsa_system_sgpr_workgroup_id_y 0
		.amdhsa_system_sgpr_workgroup_id_z 0
		.amdhsa_system_sgpr_workgroup_info 0
		.amdhsa_system_vgpr_workitem_id 0
		.amdhsa_next_free_vgpr 78
		.amdhsa_next_free_sgpr 39
		.amdhsa_accum_offset 80
		.amdhsa_reserve_vcc 1
		.amdhsa_reserve_flat_scratch 0
		.amdhsa_float_round_mode_32 0
		.amdhsa_float_round_mode_16_64 0
		.amdhsa_float_denorm_mode_32 3
		.amdhsa_float_denorm_mode_16_64 3
		.amdhsa_dx10_clamp 1
		.amdhsa_ieee_mode 1
		.amdhsa_fp16_overflow 0
		.amdhsa_tg_split 0
		.amdhsa_exception_fp_ieee_invalid_op 0
		.amdhsa_exception_fp_denorm_src 0
		.amdhsa_exception_fp_ieee_div_zero 0
		.amdhsa_exception_fp_ieee_overflow 0
		.amdhsa_exception_fp_ieee_underflow 0
		.amdhsa_exception_fp_ieee_inexact 0
		.amdhsa_exception_int_div_zero 0
	.end_amdhsa_kernel
	.section	.text._ZN5aiter36smooth_per_token_scaled_quant_kernelItaLi256ELi16ELb0ELb0ELb0ELi1024EEEvPT0_PfPT_S3_PiS6_iiPKiiiiiiiii,"axG",@progbits,_ZN5aiter36smooth_per_token_scaled_quant_kernelItaLi256ELi16ELb0ELb0ELb0ELi1024EEEvPT0_PfPT_S3_PiS6_iiPKiiiiiiiii,comdat
.Lfunc_end121:
	.size	_ZN5aiter36smooth_per_token_scaled_quant_kernelItaLi256ELi16ELb0ELb0ELb0ELi1024EEEvPT0_PfPT_S3_PiS6_iiPKiiiiiiiii, .Lfunc_end121-_ZN5aiter36smooth_per_token_scaled_quant_kernelItaLi256ELi16ELb0ELb0ELb0ELi1024EEEvPT0_PfPT_S3_PiS6_iiPKiiiiiiiii
                                        ; -- End function
	.section	.AMDGPU.csdata,"",@progbits
; Kernel info:
; codeLenInByte = 1588
; NumSgprs: 43
; NumVgprs: 78
; NumAgprs: 0
; TotalNumVgprs: 78
; ScratchSize: 0
; MemoryBound: 0
; FloatMode: 240
; IeeeMode: 1
; LDSByteSize: 16 bytes/workgroup (compile time only)
; SGPRBlocks: 5
; VGPRBlocks: 9
; NumSGPRsForWavesPerEU: 43
; NumVGPRsForWavesPerEU: 78
; AccumOffset: 80
; Occupancy: 6
; WaveLimiterHint : 0
; COMPUTE_PGM_RSRC2:SCRATCH_EN: 0
; COMPUTE_PGM_RSRC2:USER_SGPR: 6
; COMPUTE_PGM_RSRC2:TRAP_HANDLER: 0
; COMPUTE_PGM_RSRC2:TGID_X_EN: 1
; COMPUTE_PGM_RSRC2:TGID_Y_EN: 0
; COMPUTE_PGM_RSRC2:TGID_Z_EN: 0
; COMPUTE_PGM_RSRC2:TIDIG_COMP_CNT: 0
; COMPUTE_PGM_RSRC3_GFX90A:ACCUM_OFFSET: 19
; COMPUTE_PGM_RSRC3_GFX90A:TG_SPLIT: 0
	.section	.text._ZN5aiter36smooth_per_token_scaled_quant_kernelIDF16_aLi512ELi16ELb1ELb1ELb1ELi1024EEEvPT0_PfPT_S3_PiS6_iiPKiiiiiiiii,"axG",@progbits,_ZN5aiter36smooth_per_token_scaled_quant_kernelIDF16_aLi512ELi16ELb1ELb1ELb1ELi1024EEEvPT0_PfPT_S3_PiS6_iiPKiiiiiiiii,comdat
	.protected	_ZN5aiter36smooth_per_token_scaled_quant_kernelIDF16_aLi512ELi16ELb1ELb1ELb1ELi1024EEEvPT0_PfPT_S3_PiS6_iiPKiiiiiiiii ; -- Begin function _ZN5aiter36smooth_per_token_scaled_quant_kernelIDF16_aLi512ELi16ELb1ELb1ELb1ELi1024EEEvPT0_PfPT_S3_PiS6_iiPKiiiiiiiii
	.globl	_ZN5aiter36smooth_per_token_scaled_quant_kernelIDF16_aLi512ELi16ELb1ELb1ELb1ELi1024EEEvPT0_PfPT_S3_PiS6_iiPKiiiiiiiii
	.p2align	8
	.type	_ZN5aiter36smooth_per_token_scaled_quant_kernelIDF16_aLi512ELi16ELb1ELb1ELb1ELi1024EEEvPT0_PfPT_S3_PiS6_iiPKiiiiiiiii,@function
_ZN5aiter36smooth_per_token_scaled_quant_kernelIDF16_aLi512ELi16ELb1ELb1ELb1ELi1024EEEvPT0_PfPT_S3_PiS6_iiPKiiiiiiiii: ; @_ZN5aiter36smooth_per_token_scaled_quant_kernelIDF16_aLi512ELi16ELb1ELb1ELb1ELi1024EEEvPT0_PfPT_S3_PiS6_iiPKiiiiiiiii
; %bb.0:
	s_load_dwordx2 s[16:17], s[4:5], 0x38
	s_load_dwordx2 s[0:1], s[4:5], 0x28
	s_load_dwordx8 s[8:15], s[4:5], 0x40
	s_mov_b64 s[2:3], 0
	s_waitcnt lgkmcnt(0)
	s_cmp_lg_u64 s[16:17], 0
	s_cbranch_scc0 .LBB122_11
; %bb.1:
	s_load_dword s7, s[16:17], 0x0
	s_waitcnt lgkmcnt(0)
	s_mul_i32 s7, s7, s8
	s_andn2_b64 vcc, exec, s[2:3]
	s_cbranch_vccnz .LBB122_3
.LBB122_2:
	s_mul_i32 s7, s10, s9
.LBB122_3:
	s_load_dwordx2 s[34:35], s[4:5], 0x30
	v_and_b32_e32 v1, 0x3c0, v0
	v_lshlrev_b32_e32 v1, 2, v1
	s_lshl_b32 s2, s15, 2
	v_lshlrev_b32_e32 v2, 2, v0
	s_waitcnt lgkmcnt(0)
	s_abs_i32 s8, s34
	v_cvt_f32_u32_e32 v3, s8
	v_readfirstlane_b32 s15, v1
	v_add_u32_e32 v1, 0x800, v1
	s_and_b32 s1, s1, 0xffff
	v_rcp_iflag_f32_e32 v3, v3
	s_mov_b32 s3, 0x20000
	;;#ASMSTART
	s_mov_b32 m0 s15
	buffer_load_dword v2, s[0:3], 0 offen offset:0 lds
	
	;;#ASMEND
	v_readfirstlane_b32 s18, v1
	v_add_u32_e32 v1, 0x800, v2
	v_mul_f32_e32 v2, 0x4f7ffffe, v3
	v_cvt_u32_f32_e32 v2, v2
	s_sub_i32 s17, 0, s8
	s_abs_i32 s16, s7
	s_xor_b32 s15, s7, s34
	v_readfirstlane_b32 s19, v2
	s_mul_i32 s17, s17, s19
	s_mul_hi_u32 s17, s19, s17
	s_add_i32 s19, s19, s17
	s_mul_hi_u32 s17, s16, s19
	s_mul_i32 s19, s17, s8
	s_sub_i32 s16, s16, s19
	s_ashr_i32 s15, s15, 31
	s_add_i32 s19, s17, 1
	s_sub_i32 s20, s16, s8
	s_cmp_ge_u32 s16, s8
	s_cselect_b32 s17, s19, s17
	s_cselect_b32 s16, s20, s16
	s_add_i32 s19, s17, 1
	s_cmp_ge_u32 s16, s8
	s_cselect_b32 s8, s19, s17
	s_xor_b32 s8, s8, s15
	s_sub_i32 s8, s8, s15
	s_mul_i32 s15, s8, s34
	s_sub_i32 s15, s7, s15
	s_cmp_lt_u32 s6, s15
	;;#ASMSTART
	s_mov_b32 m0 s18
	buffer_load_dword v1, s[0:3], 0 offen offset:0 lds
	
	;;#ASMEND
	s_cselect_b64 s[16:17], -1, 0
	s_add_i32 s7, s8, 1
	s_cmp_ge_u32 s6, s15
	s_cbranch_scc0 .LBB122_5
; %bb.4:
	s_sub_i32 s1, s6, s15
	s_mul_i32 s0, s15, s7
	s_mul_i32 s1, s1, s8
	s_add_i32 s40, s1, s0
	s_cbranch_execz .LBB122_6
	s_branch .LBB122_7
.LBB122_5:
                                        ; implicit-def: $sgpr40
.LBB122_6:
	s_mul_i32 s40, s7, s6
.LBB122_7:
	v_cndmask_b32_e64 v1, 0, 1, s[16:17]
	v_readfirstlane_b32 s0, v1
	s_add_i32 s8, s8, s0
	s_cmp_lt_i32 s8, 1
	s_cbranch_scc1 .LBB122_35
; %bb.8:
	s_load_dwordx2 s[0:1], s[4:5], 0x20
	s_ashr_i32 s41, s40, 31
	s_lshl_b64 s[2:3], s[40:41], 2
	v_and_b32_e32 v1, 63, v0
	s_mov_b32 s27, 0x20000
	s_waitcnt lgkmcnt(0)
	s_add_u32 s24, s0, s2
	s_addc_u32 s0, s1, s3
	s_lshl_b32 s26, s8, 2
	s_and_b32 s25, s0, 0xffff
	v_lshlrev_b32_e32 v38, 2, v1
	buffer_load_dword v2, v38, s[24:27], 0 offen
	s_abs_i32 s34, s10
	v_cmp_eq_u32_e64 s[0:1], 63, v1
	v_cvt_f32_u32_e32 v1, s34
	s_add_i32 s2, s35, 15
	s_load_dwordx8 s[16:23], s[4:5], 0x0
	s_ashr_i32 s4, s2, 31
	v_rcp_iflag_f32_e32 v1, v1
	s_waitcnt vmcnt(0) lgkmcnt(0)
	s_barrier
	v_mul_f32_e32 v1, 0x4f7ffffe, v1
	v_cvt_u32_f32_e32 v1, v1
	s_add_i32 s3, s35, 3
	s_lshr_b32 s4, s4, 28
	s_ashr_i32 s5, s3, 31
	s_add_i32 s2, s2, s4
	s_sub_i32 s4, 0, s34
	v_readfirstlane_b32 s42, v1
	s_lshr_b32 s5, s5, 30
	s_mul_i32 s4, s4, s42
	s_add_i32 s3, s3, s5
	s_mul_hi_u32 s4, s42, s4
	v_lshrrev_b32_e32 v3, 4, v0
	v_mov_b32_e32 v4, 0x1000
	v_and_b32_e32 v5, 7, v0
	s_lshl_b32 s6, s35, 1
	s_lshl_b32 s30, s35, 2
	s_ashr_i32 s33, s10, 31
	s_ashr_i32 s2, s2, 4
	s_and_b32 s38, s3, -4
	s_add_i32 s42, s42, s4
	s_mov_b32 s15, s35
	v_lshlrev_b32_e32 v32, 5, v0
	v_lshlrev_b32_e32 v33, 6, v0
	v_cmp_eq_u32_e32 vcc, 0, v0
	v_and_or_b32 v34, v3, 60, v4
	v_lshl_or_b32 v35, v5, 2, v4
	v_cmp_gt_u32_e64 s[2:3], s2, v0
	v_lshlrev_b32_e32 v36, 4, v0
	v_lshlrev_b32_e32 v2, 2, v2
	ds_read_b32 v37, v2
	s_waitcnt lgkmcnt(0)
	v_readlane_b32 s28, v37, 0
	s_cmp_lt_i32 s28, 0
	s_cbranch_scc1 .LBB122_12
; %bb.9:
	s_abs_i32 s27, s40
	s_mul_hi_u32 s4, s27, s42
	s_mul_i32 s7, s4, s34
	s_sub_i32 s7, s27, s7
	s_xor_b32 s5, s41, s33
	s_add_i32 s29, s4, 1
	s_sub_i32 s31, s7, s34
	s_cmp_ge_u32 s7, s34
	s_cselect_b32 s4, s29, s4
	s_cselect_b32 s7, s31, s7
	s_add_i32 s29, s4, 1
	s_cmp_ge_u32 s7, s34
	s_cselect_b32 s4, s29, s4
	s_xor_b32 s4, s4, s5
	s_sub_i32 s4, s4, s5
	s_mul_i32 s5, s4, s10
	s_sub_i32 s5, s40, s5
	s_mul_i32 s5, s5, s12
	s_mul_i32 s4, s4, s11
	s_add_i32 s43, s5, s4
	s_cmp_eq_u32 s43, -1
	s_cbranch_scc1 .LBB122_13
; %bb.10:
	s_mul_hi_i32 s5, s43, s15
	s_mul_i32 s4, s43, s15
	s_lshl_b64 s[4:5], s[4:5], 1
	s_add_u32 s4, s20, s4
	s_addc_u32 s5, s21, s5
	s_and_b32 s5, s5, 0xffff
	s_mov_b32 s7, 0x20000
	buffer_load_dwordx4 v[4:7], v32, s[4:7], 0 offen
	buffer_load_dwordx4 v[12:15], v32, s[4:7], 16 offen
	s_waitcnt vmcnt(1)
	v_cvt_f32_f16_e32 v0, v4
	v_cvt_f32_f16_sdwa v1, v4 dst_sel:DWORD dst_unused:UNUSED_PAD src0_sel:WORD_1
	v_cvt_f32_f16_e32 v2, v5
	v_cvt_f32_f16_sdwa v3, v5 dst_sel:DWORD dst_unused:UNUSED_PAD src0_sel:WORD_1
	;; [unrolled: 2-line block ×4, first 2 shown]
	s_waitcnt vmcnt(0)
	v_cvt_f32_f16_e32 v8, v12
	v_cvt_f32_f16_sdwa v9, v12 dst_sel:DWORD dst_unused:UNUSED_PAD src0_sel:WORD_1
	v_cvt_f32_f16_e32 v10, v13
	v_cvt_f32_f16_sdwa v11, v13 dst_sel:DWORD dst_unused:UNUSED_PAD src0_sel:WORD_1
	;; [unrolled: 2-line block ×4, first 2 shown]
	s_branch .LBB122_14
.LBB122_11:
                                        ; implicit-def: $sgpr7
	s_branch .LBB122_2
.LBB122_12:
	s_mov_b32 s43, -1
                                        ; implicit-def: $vgpr0_vgpr1_vgpr2_vgpr3_vgpr4_vgpr5_vgpr6_vgpr7_vgpr8_vgpr9_vgpr10_vgpr11_vgpr12_vgpr13_vgpr14_vgpr15
	s_cmp_eq_u32 s8, 1
	s_mov_b32 s41, 1
	s_cbranch_scc0 .LBB122_21
	s_branch .LBB122_35
.LBB122_13:
                                        ; implicit-def: $vgpr0_vgpr1_vgpr2_vgpr3_vgpr4_vgpr5_vgpr6_vgpr7_vgpr8_vgpr9_vgpr10_vgpr11_vgpr12_vgpr13_vgpr14_vgpr15
.LBB122_14:
	s_mul_i32 s4, s28, s35
	s_ashr_i32 s5, s4, 31
	s_lshl_b64 s[4:5], s[4:5], 2
	s_add_u32 s28, s22, s4
	s_addc_u32 s4, s23, s5
	s_and_b32 s29, s4, 0xffff
	s_mov_b32 s31, 0x20000
	buffer_load_dwordx4 v[16:19], v33, s[28:31], 0 offen
	buffer_load_dwordx4 v[20:23], v33, s[28:31], 16 offen
	;; [unrolled: 1-line block ×4, first 2 shown]
	s_mov_b32 s4, 0x2edbe6ff
	s_waitcnt vmcnt(3)
	v_pk_mul_f32 v[16:17], v[0:1], v[16:17]
	v_pk_mul_f32 v[18:19], v[2:3], v[18:19]
	v_max3_f32 v39, |v16|, s4, |v17|
	s_waitcnt vmcnt(2)
	v_pk_mul_f32 v[20:21], v[4:5], v[20:21]
	v_max3_f32 v39, v39, |v18|, |v19|
	v_pk_mul_f32 v[22:23], v[6:7], v[22:23]
	v_max3_f32 v39, v39, |v20|, |v21|
	s_waitcnt vmcnt(1)
	v_pk_mul_f32 v[24:25], v[8:9], v[24:25]
	v_max3_f32 v39, v39, |v22|, |v23|
	v_pk_mul_f32 v[26:27], v[10:11], v[26:27]
	v_max3_f32 v39, v39, |v24|, |v25|
	;; [unrolled: 5-line block ×3, first 2 shown]
	v_max3_f32 v39, v39, |v30|, |v31|
	s_nop 1
	v_mov_b32_dpp v40, v39 quad_perm:[1,0,3,2] row_mask:0xf bank_mask:0xf
	v_cmp_gt_f32_e64 s[4:5], v39, v40
	v_cndmask_b32_e64 v39, v40, v39, s[4:5]
	s_nop 1
	v_mov_b32_dpp v40, v39 quad_perm:[2,3,0,1] row_mask:0xf bank_mask:0xf
	v_cmp_gt_f32_e64 s[4:5], v39, v40
	v_cndmask_b32_e64 v39, v40, v39, s[4:5]
	s_nop 1
	v_mov_b32_dpp v40, v39 row_half_mirror row_mask:0xf bank_mask:0xf
	v_cmp_gt_f32_e64 s[4:5], v39, v40
	v_cndmask_b32_e64 v39, v40, v39, s[4:5]
	s_nop 1
	v_mov_b32_dpp v40, v39 row_mirror row_mask:0xf bank_mask:0xf
	v_cmp_gt_f32_e64 s[4:5], v39, v40
	v_cndmask_b32_e64 v39, v40, v39, s[4:5]
	s_nop 1
	v_mov_b32_dpp v40, v39 row_bcast:15 row_mask:0xf bank_mask:0xf
	v_cmp_gt_f32_e64 s[4:5], v39, v40
	v_cndmask_b32_e64 v39, v40, v39, s[4:5]
	s_nop 1
	v_mov_b32_dpp v40, v39 row_bcast:31 row_mask:0xf bank_mask:0xf
	s_and_saveexec_b64 s[28:29], s[0:1]
	s_cbranch_execz .LBB122_16
; %bb.15:
	v_cmp_gt_f32_e64 s[4:5], v39, v40
	v_cndmask_b32_e64 v39, v40, v39, s[4:5]
	ds_write_b32 v34, v39
.LBB122_16:
	s_or_b64 exec, exec, s[28:29]
	s_waitcnt lgkmcnt(0)
	s_barrier
	ds_read_b32 v39, v35
	s_abs_i32 s7, s9
	v_cvt_f32_u32_e32 v41, s7
	s_waitcnt lgkmcnt(0)
	v_mov_b32_dpp v40, v39 quad_perm:[1,0,3,2] row_mask:0xf bank_mask:0xf
	v_cmp_gt_f32_e64 s[4:5], v39, v40
	v_cndmask_b32_e64 v39, v40, v39, s[4:5]
	v_rcp_iflag_f32_e32 v41, v41
	s_nop 0
	v_mov_b32_dpp v40, v39 quad_perm:[2,3,0,1] row_mask:0xf bank_mask:0xf
	v_cmp_gt_f32_e64 s[4:5], v39, v40
	v_cndmask_b32_e64 v39, v40, v39, s[4:5]
	s_nop 1
	v_mov_b32_dpp v40, v39 row_half_mirror row_mask:0xf bank_mask:0xf
	v_cmp_gt_f32_e64 s[4:5], v39, v40
	v_cndmask_b32_e64 v39, v40, v39, s[4:5]
	v_mul_f32_e32 v40, 0x4f7ffffe, v41
	v_cvt_u32_f32_e32 v40, v40
	s_sub_i32 s5, 0, s7
	s_ashr_i32 s4, s9, 31
	s_xor_b32 s4, s41, s4
	v_readfirstlane_b32 s28, v40
	s_mul_i32 s5, s5, s28
	s_mul_hi_u32 s5, s28, s5
	s_add_i32 s28, s28, s5
	s_mul_hi_u32 s5, s27, s28
	s_mul_i32 s28, s5, s7
	s_sub_i32 s27, s27, s28
	s_add_i32 s28, s5, 1
	s_sub_i32 s29, s27, s7
	s_cmp_ge_u32 s27, s7
	s_cselect_b32 s5, s28, s5
	s_cselect_b32 s27, s29, s27
	s_add_i32 s28, s5, 1
	s_cmp_ge_u32 s27, s7
	s_cselect_b32 s5, s28, s5
	s_xor_b32 s5, s5, s4
	s_sub_i32 s4, s5, s4
	s_mul_i32 s5, s4, s9
	s_sub_i32 s5, s40, s5
	s_mul_i32 s5, s5, s14
	s_mul_i32 s4, s4, s13
	v_mul_f32_e32 v39, 0x3c010204, v39
	s_add_i32 s28, s5, s4
	s_and_saveexec_b64 s[4:5], vcc
	s_cbranch_execz .LBB122_18
; %bb.17:
	s_ashr_i32 s29, s28, 31
	s_lshl_b64 s[36:37], s[28:29], 2
	s_add_u32 s36, s18, s36
	s_addc_u32 s37, s19, s37
	v_mov_b32_e32 v40, 0
	global_store_dword v40, v39, s[36:37]
.LBB122_18:
	s_or_b64 exec, exec, s[4:5]
	s_and_saveexec_b64 s[4:5], s[2:3]
	s_cbranch_execz .LBB122_20
; %bb.19:
	v_rcp_f32_e32 v40, v39
	s_mul_i32 s27, s28, s15
	s_mul_hi_i32 s7, s28, s15
	s_add_u32 s36, s16, s27
	v_mov_b32_e32 v41, v40
	;;#ASMSTART
	v_pk_mul_f32 v[16:17], v[16:17], v[40:41]
	;;#ASMEND
	v_cvt_i32_f32_e32 v39, v16
	v_cvt_i32_f32_sdwa v42, v17 dst_sel:BYTE_1 dst_unused:UNUSED_PAD src0_sel:DWORD
	;;#ASMSTART
	v_pk_mul_f32 v[16:17], v[18:19], v[40:41]
	;;#ASMEND
	v_cvt_i32_f32_e32 v18, v16
	v_cvt_i32_f32_sdwa v19, v17 dst_sel:BYTE_1 dst_unused:UNUSED_PAD src0_sel:DWORD
	;; [unrolled: 5-line block ×8, first 2 shown]
	v_or_b32_sdwa v16, v39, v42 dst_sel:DWORD dst_unused:UNUSED_PAD src0_sel:BYTE_0 src1_sel:DWORD
	v_or_b32_sdwa v17, v18, v19 dst_sel:WORD_1 dst_unused:UNUSED_PAD src0_sel:BYTE_0 src1_sel:DWORD
	v_or_b32_sdwa v16, v16, v17 dst_sel:DWORD dst_unused:UNUSED_PAD src0_sel:WORD_0 src1_sel:DWORD
	v_or_b32_sdwa v17, v20, v21 dst_sel:DWORD dst_unused:UNUSED_PAD src0_sel:BYTE_0 src1_sel:DWORD
	v_or_b32_sdwa v18, v22, v23 dst_sel:WORD_1 dst_unused:UNUSED_PAD src0_sel:BYTE_0 src1_sel:DWORD
	v_or_b32_sdwa v17, v17, v18 dst_sel:DWORD dst_unused:UNUSED_PAD src0_sel:WORD_0 src1_sel:DWORD
	v_or_b32_sdwa v18, v24, v25 dst_sel:DWORD dst_unused:UNUSED_PAD src0_sel:BYTE_0 src1_sel:DWORD
	v_or_b32_sdwa v19, v26, v27 dst_sel:WORD_1 dst_unused:UNUSED_PAD src0_sel:BYTE_0 src1_sel:DWORD
	s_addc_u32 s7, s17, s7
	v_or_b32_sdwa v18, v18, v19 dst_sel:DWORD dst_unused:UNUSED_PAD src0_sel:WORD_0 src1_sel:DWORD
	v_or_b32_sdwa v19, v28, v29 dst_sel:DWORD dst_unused:UNUSED_PAD src0_sel:BYTE_0 src1_sel:DWORD
	v_or_b32_sdwa v20, v30, v31 dst_sel:WORD_1 dst_unused:UNUSED_PAD src0_sel:BYTE_0 src1_sel:DWORD
	s_and_b32 s37, s7, 0xffff
	s_mov_b32 s39, 0x20000
	v_or_b32_sdwa v19, v19, v20 dst_sel:DWORD dst_unused:UNUSED_PAD src0_sel:WORD_0 src1_sel:DWORD
	buffer_store_dwordx4 v[16:19], v36, s[36:39], 0 offen
	;;#ASMSTART
	s_nop 0
	;;#ASMEND
.LBB122_20:
	s_or_b64 exec, exec, s[4:5]
	s_cmp_eq_u32 s8, 1
	s_mov_b32 s41, 1
	s_cbranch_scc1 .LBB122_35
.LBB122_21:
	s_abs_i32 s44, s9
	v_cvt_f32_u32_e32 v16, s44
	s_sub_i32 s4, 0, s44
	s_ashr_i32 s45, s9, 31
	v_add_u32_e32 v38, 4, v38
	v_rcp_iflag_f32_e32 v16, v16
	s_mov_b32 s31, 0x20000
	s_mov_b32 s46, 0x2edbe6ff
	v_mov_b32_e32 v39, 0
	v_mul_f32_e32 v16, 0x4f7ffffe, v16
	v_cvt_u32_f32_e32 v16, v16
	v_readfirstlane_b32 s5, v16
	s_mul_i32 s4, s4, s5
	s_mul_hi_u32 s4, s5, s4
	s_add_i32 s47, s5, s4
	s_branch .LBB122_24
.LBB122_22:                             ;   in Loop: Header=BB122_24 Depth=1
	s_or_b64 exec, exec, s[4:5]
.LBB122_23:                             ;   in Loop: Header=BB122_24 Depth=1
	s_add_i32 s41, s41, 1
	s_cmp_eq_u32 s8, s41
	v_add_u32_e32 v38, 4, v38
	s_cbranch_scc1 .LBB122_35
.LBB122_24:                             ; =>This Inner Loop Header: Depth=1
	s_and_b32 s4, s41, 63
	s_cmp_lg_u32 s4, 0
	s_cbranch_scc1 .LBB122_26
; %bb.25:                               ;   in Loop: Header=BB122_24 Depth=1
	s_mov_b32 s27, s31
	buffer_load_dword v16, v38, s[24:27], 0 offen
	s_waitcnt vmcnt(0)
	v_lshlrev_b32_e32 v16, 2, v16
	ds_read_b32 v37, v16
.LBB122_26:                             ;   in Loop: Header=BB122_24 Depth=1
	s_waitcnt lgkmcnt(0)
	v_readlane_b32 s28, v37, s4
	s_cmp_lt_i32 s28, 0
	s_cbranch_scc1 .LBB122_23
; %bb.27:                               ;   in Loop: Header=BB122_24 Depth=1
	s_add_i32 s27, s40, s41
	s_abs_i32 s36, s27
	s_mul_hi_u32 s5, s36, s42
	s_mul_i32 s7, s5, s34
	s_ashr_i32 s37, s27, 31
	s_sub_i32 s7, s36, s7
	s_xor_b32 s4, s37, s33
	s_add_i32 s29, s5, 1
	s_sub_i32 s39, s7, s34
	s_cmp_ge_u32 s7, s34
	s_cselect_b32 s5, s29, s5
	s_cselect_b32 s7, s39, s7
	s_add_i32 s29, s5, 1
	s_cmp_ge_u32 s7, s34
	s_cselect_b32 s5, s29, s5
	s_xor_b32 s5, s5, s4
	s_sub_i32 s4, s5, s4
	s_mul_i32 s5, s4, s10
	s_sub_i32 s5, s27, s5
	s_mul_i32 s29, s5, s12
	s_mul_i32 s4, s4, s11
	s_add_i32 s29, s29, s4
	s_cmp_eq_u32 s29, s43
	s_cbranch_scc1 .LBB122_29
; %bb.28:                               ;   in Loop: Header=BB122_24 Depth=1
	s_mul_hi_i32 s5, s29, s15
	s_mul_i32 s4, s29, s15
	s_lshl_b64 s[4:5], s[4:5], 1
	s_add_u32 s4, s20, s4
	s_addc_u32 s5, s21, s5
	s_and_b32 s5, s5, 0xffff
	s_mov_b32 s7, s31
	buffer_load_dwordx4 v[4:7], v32, s[4:7], 0 offen
	buffer_load_dwordx4 v[12:15], v32, s[4:7], 16 offen
	s_mov_b32 s43, s29
	s_waitcnt vmcnt(1)
	v_cvt_f32_f16_e32 v0, v4
	v_cvt_f32_f16_sdwa v1, v4 dst_sel:DWORD dst_unused:UNUSED_PAD src0_sel:WORD_1
	v_cvt_f32_f16_e32 v2, v5
	v_cvt_f32_f16_sdwa v3, v5 dst_sel:DWORD dst_unused:UNUSED_PAD src0_sel:WORD_1
	;; [unrolled: 2-line block ×4, first 2 shown]
	s_waitcnt vmcnt(0)
	v_cvt_f32_f16_e32 v8, v12
	v_cvt_f32_f16_sdwa v9, v12 dst_sel:DWORD dst_unused:UNUSED_PAD src0_sel:WORD_1
	v_cvt_f32_f16_e32 v10, v13
	v_cvt_f32_f16_sdwa v11, v13 dst_sel:DWORD dst_unused:UNUSED_PAD src0_sel:WORD_1
	;; [unrolled: 2-line block ×4, first 2 shown]
.LBB122_29:                             ;   in Loop: Header=BB122_24 Depth=1
	s_mul_i32 s4, s28, s35
	s_ashr_i32 s5, s4, 31
	s_lshl_b64 s[4:5], s[4:5], 2
	s_add_u32 s28, s22, s4
	s_addc_u32 s4, s23, s5
	s_and_b32 s29, s4, 0xffff
	buffer_load_dwordx4 v[16:19], v33, s[28:31], 0 offen
	buffer_load_dwordx4 v[20:23], v33, s[28:31], 16 offen
	;; [unrolled: 1-line block ×4, first 2 shown]
	s_waitcnt vmcnt(3)
	v_pk_mul_f32 v[16:17], v[0:1], v[16:17]
	v_pk_mul_f32 v[18:19], v[2:3], v[18:19]
	v_max3_f32 v40, |v16|, s46, |v17|
	s_waitcnt vmcnt(2)
	v_pk_mul_f32 v[20:21], v[4:5], v[20:21]
	v_max3_f32 v40, v40, |v18|, |v19|
	v_pk_mul_f32 v[22:23], v[6:7], v[22:23]
	v_max3_f32 v40, v40, |v20|, |v21|
	s_waitcnt vmcnt(1)
	v_pk_mul_f32 v[24:25], v[8:9], v[24:25]
	v_max3_f32 v40, v40, |v22|, |v23|
	v_pk_mul_f32 v[26:27], v[10:11], v[26:27]
	v_max3_f32 v40, v40, |v24|, |v25|
	;; [unrolled: 5-line block ×3, first 2 shown]
	v_max3_f32 v40, v40, |v30|, |v31|
	s_nop 1
	v_mov_b32_dpp v41, v40 quad_perm:[1,0,3,2] row_mask:0xf bank_mask:0xf
	v_cmp_gt_f32_e64 s[4:5], v40, v41
	v_cndmask_b32_e64 v40, v41, v40, s[4:5]
	s_nop 1
	v_mov_b32_dpp v41, v40 quad_perm:[2,3,0,1] row_mask:0xf bank_mask:0xf
	v_cmp_gt_f32_e64 s[4:5], v40, v41
	v_cndmask_b32_e64 v40, v41, v40, s[4:5]
	s_nop 1
	v_mov_b32_dpp v41, v40 row_half_mirror row_mask:0xf bank_mask:0xf
	v_cmp_gt_f32_e64 s[4:5], v40, v41
	v_cndmask_b32_e64 v40, v41, v40, s[4:5]
	s_nop 1
	v_mov_b32_dpp v41, v40 row_mirror row_mask:0xf bank_mask:0xf
	v_cmp_gt_f32_e64 s[4:5], v40, v41
	v_cndmask_b32_e64 v40, v41, v40, s[4:5]
	s_nop 1
	v_mov_b32_dpp v41, v40 row_bcast:15 row_mask:0xf bank_mask:0xf
	v_cmp_gt_f32_e64 s[4:5], v40, v41
	v_cndmask_b32_e64 v40, v41, v40, s[4:5]
	s_nop 1
	v_mov_b32_dpp v41, v40 row_bcast:31 row_mask:0xf bank_mask:0xf
	s_and_saveexec_b64 s[28:29], s[0:1]
	s_cbranch_execz .LBB122_31
; %bb.30:                               ;   in Loop: Header=BB122_24 Depth=1
	v_cmp_gt_f32_e64 s[4:5], v40, v41
	v_cndmask_b32_e64 v40, v41, v40, s[4:5]
	ds_write_b32 v34, v40
.LBB122_31:                             ;   in Loop: Header=BB122_24 Depth=1
	s_or_b64 exec, exec, s[28:29]
	s_waitcnt lgkmcnt(0)
	s_barrier
	ds_read_b32 v40, v35
	s_waitcnt lgkmcnt(0)
	s_nop 0
	v_mov_b32_dpp v41, v40 quad_perm:[1,0,3,2] row_mask:0xf bank_mask:0xf
	v_cmp_gt_f32_e64 s[4:5], v40, v41
	v_cndmask_b32_e64 v40, v41, v40, s[4:5]
	s_nop 1
	v_mov_b32_dpp v41, v40 quad_perm:[2,3,0,1] row_mask:0xf bank_mask:0xf
	v_cmp_gt_f32_e64 s[4:5], v40, v41
	v_cndmask_b32_e64 v40, v41, v40, s[4:5]
	s_nop 1
	v_mov_b32_dpp v41, v40 row_half_mirror row_mask:0xf bank_mask:0xf
	v_cmp_gt_f32_e64 s[4:5], v40, v41
	v_cndmask_b32_e64 v40, v41, v40, s[4:5]
	s_mul_hi_u32 s5, s36, s47
	s_mul_i32 s7, s5, s44
	s_sub_i32 s7, s36, s7
	s_xor_b32 s4, s37, s45
	s_add_i32 s28, s5, 1
	s_sub_i32 s29, s7, s44
	s_cmp_ge_u32 s7, s44
	s_cselect_b32 s5, s28, s5
	s_cselect_b32 s7, s29, s7
	s_add_i32 s28, s5, 1
	s_cmp_ge_u32 s7, s44
	s_cselect_b32 s5, s28, s5
	s_xor_b32 s5, s5, s4
	s_sub_i32 s4, s5, s4
	s_mul_i32 s5, s4, s9
	s_sub_i32 s5, s27, s5
	s_mul_i32 s5, s5, s14
	s_mul_i32 s4, s4, s13
	v_mul_f32_e32 v40, 0x3c010204, v40
	s_add_i32 s28, s5, s4
	s_and_saveexec_b64 s[4:5], vcc
	s_cbranch_execz .LBB122_33
; %bb.32:                               ;   in Loop: Header=BB122_24 Depth=1
	s_ashr_i32 s29, s28, 31
	s_lshl_b64 s[36:37], s[28:29], 2
	s_add_u32 s36, s18, s36
	s_addc_u32 s37, s19, s37
	global_store_dword v39, v40, s[36:37]
.LBB122_33:                             ;   in Loop: Header=BB122_24 Depth=1
	s_or_b64 exec, exec, s[4:5]
	s_and_saveexec_b64 s[4:5], s[2:3]
	s_cbranch_execz .LBB122_22
; %bb.34:                               ;   in Loop: Header=BB122_24 Depth=1
	v_rcp_f32_e32 v40, v40
	s_mul_i32 s27, s28, s15
	s_mul_hi_i32 s7, s28, s15
	s_add_u32 s36, s16, s27
	v_mov_b32_e32 v41, v40
	;;#ASMSTART
	v_pk_mul_f32 v[16:17], v[16:17], v[40:41]
	;;#ASMEND
	v_cvt_i32_f32_e32 v42, v16
	v_cvt_i32_f32_sdwa v43, v17 dst_sel:BYTE_1 dst_unused:UNUSED_PAD src0_sel:DWORD
	;;#ASMSTART
	v_pk_mul_f32 v[16:17], v[18:19], v[40:41]
	;;#ASMEND
	v_cvt_i32_f32_e32 v18, v16
	v_cvt_i32_f32_sdwa v19, v17 dst_sel:BYTE_1 dst_unused:UNUSED_PAD src0_sel:DWORD
	;; [unrolled: 5-line block ×8, first 2 shown]
	v_or_b32_sdwa v16, v42, v43 dst_sel:DWORD dst_unused:UNUSED_PAD src0_sel:BYTE_0 src1_sel:DWORD
	v_or_b32_sdwa v17, v18, v19 dst_sel:WORD_1 dst_unused:UNUSED_PAD src0_sel:BYTE_0 src1_sel:DWORD
	v_or_b32_sdwa v16, v16, v17 dst_sel:DWORD dst_unused:UNUSED_PAD src0_sel:WORD_0 src1_sel:DWORD
	v_or_b32_sdwa v17, v20, v21 dst_sel:DWORD dst_unused:UNUSED_PAD src0_sel:BYTE_0 src1_sel:DWORD
	v_or_b32_sdwa v18, v22, v23 dst_sel:WORD_1 dst_unused:UNUSED_PAD src0_sel:BYTE_0 src1_sel:DWORD
	v_or_b32_sdwa v17, v17, v18 dst_sel:DWORD dst_unused:UNUSED_PAD src0_sel:WORD_0 src1_sel:DWORD
	v_or_b32_sdwa v18, v24, v25 dst_sel:DWORD dst_unused:UNUSED_PAD src0_sel:BYTE_0 src1_sel:DWORD
	v_or_b32_sdwa v19, v26, v27 dst_sel:WORD_1 dst_unused:UNUSED_PAD src0_sel:BYTE_0 src1_sel:DWORD
	s_addc_u32 s7, s17, s7
	v_or_b32_sdwa v18, v18, v19 dst_sel:DWORD dst_unused:UNUSED_PAD src0_sel:WORD_0 src1_sel:DWORD
	v_or_b32_sdwa v19, v28, v29 dst_sel:DWORD dst_unused:UNUSED_PAD src0_sel:BYTE_0 src1_sel:DWORD
	v_or_b32_sdwa v20, v30, v31 dst_sel:WORD_1 dst_unused:UNUSED_PAD src0_sel:BYTE_0 src1_sel:DWORD
	s_and_b32 s37, s7, 0xffff
	s_mov_b32 s39, s31
	v_or_b32_sdwa v19, v19, v20 dst_sel:DWORD dst_unused:UNUSED_PAD src0_sel:WORD_0 src1_sel:DWORD
	buffer_store_dwordx4 v[16:19], v36, s[36:39], 0 offen
	;;#ASMSTART
	s_nop 0
	;;#ASMEND
	s_branch .LBB122_22
.LBB122_35:
	s_endpgm
	.section	.rodata,"a",@progbits
	.p2align	6, 0x0
	.amdhsa_kernel _ZN5aiter36smooth_per_token_scaled_quant_kernelIDF16_aLi512ELi16ELb1ELb1ELb1ELi1024EEEvPT0_PfPT_S3_PiS6_iiPKiiiiiiiii
		.amdhsa_group_segment_fixed_size 4128
		.amdhsa_private_segment_fixed_size 0
		.amdhsa_kernarg_size 96
		.amdhsa_user_sgpr_count 6
		.amdhsa_user_sgpr_private_segment_buffer 1
		.amdhsa_user_sgpr_dispatch_ptr 0
		.amdhsa_user_sgpr_queue_ptr 0
		.amdhsa_user_sgpr_kernarg_segment_ptr 1
		.amdhsa_user_sgpr_dispatch_id 0
		.amdhsa_user_sgpr_flat_scratch_init 0
		.amdhsa_user_sgpr_kernarg_preload_length 0
		.amdhsa_user_sgpr_kernarg_preload_offset 0
		.amdhsa_user_sgpr_private_segment_size 0
		.amdhsa_uses_dynamic_stack 0
		.amdhsa_system_sgpr_private_segment_wavefront_offset 0
		.amdhsa_system_sgpr_workgroup_id_x 1
		.amdhsa_system_sgpr_workgroup_id_y 0
		.amdhsa_system_sgpr_workgroup_id_z 0
		.amdhsa_system_sgpr_workgroup_info 0
		.amdhsa_system_vgpr_workitem_id 0
		.amdhsa_next_free_vgpr 44
		.amdhsa_next_free_sgpr 48
		.amdhsa_accum_offset 44
		.amdhsa_reserve_vcc 1
		.amdhsa_reserve_flat_scratch 0
		.amdhsa_float_round_mode_32 0
		.amdhsa_float_round_mode_16_64 0
		.amdhsa_float_denorm_mode_32 3
		.amdhsa_float_denorm_mode_16_64 3
		.amdhsa_dx10_clamp 1
		.amdhsa_ieee_mode 1
		.amdhsa_fp16_overflow 0
		.amdhsa_tg_split 0
		.amdhsa_exception_fp_ieee_invalid_op 0
		.amdhsa_exception_fp_denorm_src 0
		.amdhsa_exception_fp_ieee_div_zero 0
		.amdhsa_exception_fp_ieee_overflow 0
		.amdhsa_exception_fp_ieee_underflow 0
		.amdhsa_exception_fp_ieee_inexact 0
		.amdhsa_exception_int_div_zero 0
	.end_amdhsa_kernel
	.section	.text._ZN5aiter36smooth_per_token_scaled_quant_kernelIDF16_aLi512ELi16ELb1ELb1ELb1ELi1024EEEvPT0_PfPT_S3_PiS6_iiPKiiiiiiiii,"axG",@progbits,_ZN5aiter36smooth_per_token_scaled_quant_kernelIDF16_aLi512ELi16ELb1ELb1ELb1ELi1024EEEvPT0_PfPT_S3_PiS6_iiPKiiiiiiiii,comdat
.Lfunc_end122:
	.size	_ZN5aiter36smooth_per_token_scaled_quant_kernelIDF16_aLi512ELi16ELb1ELb1ELb1ELi1024EEEvPT0_PfPT_S3_PiS6_iiPKiiiiiiiii, .Lfunc_end122-_ZN5aiter36smooth_per_token_scaled_quant_kernelIDF16_aLi512ELi16ELb1ELb1ELb1ELi1024EEEvPT0_PfPT_S3_PiS6_iiPKiiiiiiiii
                                        ; -- End function
	.section	.AMDGPU.csdata,"",@progbits
; Kernel info:
; codeLenInByte = 3272
; NumSgprs: 52
; NumVgprs: 44
; NumAgprs: 0
; TotalNumVgprs: 44
; ScratchSize: 0
; MemoryBound: 0
; FloatMode: 240
; IeeeMode: 1
; LDSByteSize: 4128 bytes/workgroup (compile time only)
; SGPRBlocks: 6
; VGPRBlocks: 5
; NumSGPRsForWavesPerEU: 52
; NumVGPRsForWavesPerEU: 44
; AccumOffset: 44
; Occupancy: 8
; WaveLimiterHint : 0
; COMPUTE_PGM_RSRC2:SCRATCH_EN: 0
; COMPUTE_PGM_RSRC2:USER_SGPR: 6
; COMPUTE_PGM_RSRC2:TRAP_HANDLER: 0
; COMPUTE_PGM_RSRC2:TGID_X_EN: 1
; COMPUTE_PGM_RSRC2:TGID_Y_EN: 0
; COMPUTE_PGM_RSRC2:TGID_Z_EN: 0
; COMPUTE_PGM_RSRC2:TIDIG_COMP_CNT: 0
; COMPUTE_PGM_RSRC3_GFX90A:ACCUM_OFFSET: 10
; COMPUTE_PGM_RSRC3_GFX90A:TG_SPLIT: 0
	.section	.text._ZN5aiter36smooth_per_token_scaled_quant_kernelItaLi512ELi16ELb1ELb1ELb1ELi1024EEEvPT0_PfPT_S3_PiS6_iiPKiiiiiiiii,"axG",@progbits,_ZN5aiter36smooth_per_token_scaled_quant_kernelItaLi512ELi16ELb1ELb1ELb1ELi1024EEEvPT0_PfPT_S3_PiS6_iiPKiiiiiiiii,comdat
	.protected	_ZN5aiter36smooth_per_token_scaled_quant_kernelItaLi512ELi16ELb1ELb1ELb1ELi1024EEEvPT0_PfPT_S3_PiS6_iiPKiiiiiiiii ; -- Begin function _ZN5aiter36smooth_per_token_scaled_quant_kernelItaLi512ELi16ELb1ELb1ELb1ELi1024EEEvPT0_PfPT_S3_PiS6_iiPKiiiiiiiii
	.globl	_ZN5aiter36smooth_per_token_scaled_quant_kernelItaLi512ELi16ELb1ELb1ELb1ELi1024EEEvPT0_PfPT_S3_PiS6_iiPKiiiiiiiii
	.p2align	8
	.type	_ZN5aiter36smooth_per_token_scaled_quant_kernelItaLi512ELi16ELb1ELb1ELb1ELi1024EEEvPT0_PfPT_S3_PiS6_iiPKiiiiiiiii,@function
_ZN5aiter36smooth_per_token_scaled_quant_kernelItaLi512ELi16ELb1ELb1ELb1ELi1024EEEvPT0_PfPT_S3_PiS6_iiPKiiiiiiiii: ; @_ZN5aiter36smooth_per_token_scaled_quant_kernelItaLi512ELi16ELb1ELb1ELb1ELi1024EEEvPT0_PfPT_S3_PiS6_iiPKiiiiiiiii
; %bb.0:
	s_load_dwordx2 s[16:17], s[4:5], 0x38
	s_load_dwordx2 s[0:1], s[4:5], 0x28
	s_load_dwordx8 s[8:15], s[4:5], 0x40
	s_mov_b64 s[2:3], 0
	s_waitcnt lgkmcnt(0)
	s_cmp_lg_u64 s[16:17], 0
	s_cbranch_scc0 .LBB123_11
; %bb.1:
	s_load_dword s7, s[16:17], 0x0
	s_waitcnt lgkmcnt(0)
	s_mul_i32 s7, s7, s8
	s_andn2_b64 vcc, exec, s[2:3]
	s_cbranch_vccnz .LBB123_3
.LBB123_2:
	s_mul_i32 s7, s10, s9
.LBB123_3:
	s_load_dwordx2 s[34:35], s[4:5], 0x30
	v_and_b32_e32 v1, 0x3c0, v0
	v_lshlrev_b32_e32 v1, 2, v1
	s_lshl_b32 s2, s15, 2
	v_lshlrev_b32_e32 v2, 2, v0
	s_waitcnt lgkmcnt(0)
	s_abs_i32 s8, s34
	v_cvt_f32_u32_e32 v3, s8
	v_readfirstlane_b32 s15, v1
	v_add_u32_e32 v1, 0x800, v1
	s_and_b32 s1, s1, 0xffff
	v_rcp_iflag_f32_e32 v3, v3
	s_mov_b32 s3, 0x20000
	;;#ASMSTART
	s_mov_b32 m0 s15
	buffer_load_dword v2, s[0:3], 0 offen offset:0 lds
	
	;;#ASMEND
	v_readfirstlane_b32 s18, v1
	v_add_u32_e32 v1, 0x800, v2
	v_mul_f32_e32 v2, 0x4f7ffffe, v3
	v_cvt_u32_f32_e32 v2, v2
	s_sub_i32 s17, 0, s8
	s_abs_i32 s16, s7
	s_xor_b32 s15, s7, s34
	v_readfirstlane_b32 s19, v2
	s_mul_i32 s17, s17, s19
	s_mul_hi_u32 s17, s19, s17
	s_add_i32 s19, s19, s17
	s_mul_hi_u32 s17, s16, s19
	s_mul_i32 s19, s17, s8
	s_sub_i32 s16, s16, s19
	s_ashr_i32 s15, s15, 31
	s_add_i32 s19, s17, 1
	s_sub_i32 s20, s16, s8
	s_cmp_ge_u32 s16, s8
	s_cselect_b32 s17, s19, s17
	s_cselect_b32 s16, s20, s16
	s_add_i32 s19, s17, 1
	s_cmp_ge_u32 s16, s8
	s_cselect_b32 s8, s19, s17
	s_xor_b32 s8, s8, s15
	s_sub_i32 s8, s8, s15
	s_mul_i32 s15, s8, s34
	s_sub_i32 s15, s7, s15
	s_cmp_lt_u32 s6, s15
	;;#ASMSTART
	s_mov_b32 m0 s18
	buffer_load_dword v1, s[0:3], 0 offen offset:0 lds
	
	;;#ASMEND
	s_cselect_b64 s[16:17], -1, 0
	s_add_i32 s7, s8, 1
	s_cmp_ge_u32 s6, s15
	s_cbranch_scc0 .LBB123_5
; %bb.4:
	s_sub_i32 s1, s6, s15
	s_mul_i32 s0, s15, s7
	s_mul_i32 s1, s1, s8
	s_add_i32 s40, s1, s0
	s_cbranch_execz .LBB123_6
	s_branch .LBB123_7
.LBB123_5:
                                        ; implicit-def: $sgpr40
.LBB123_6:
	s_mul_i32 s40, s7, s6
.LBB123_7:
	v_cndmask_b32_e64 v1, 0, 1, s[16:17]
	v_readfirstlane_b32 s0, v1
	s_add_i32 s8, s8, s0
	s_cmp_lt_i32 s8, 1
	s_cbranch_scc1 .LBB123_35
; %bb.8:
	s_load_dwordx2 s[0:1], s[4:5], 0x20
	s_ashr_i32 s41, s40, 31
	s_lshl_b64 s[2:3], s[40:41], 2
	v_and_b32_e32 v1, 63, v0
	s_mov_b32 s27, 0x20000
	s_waitcnt lgkmcnt(0)
	s_add_u32 s24, s0, s2
	s_addc_u32 s0, s1, s3
	s_lshl_b32 s26, s8, 2
	s_and_b32 s25, s0, 0xffff
	v_lshlrev_b32_e32 v38, 2, v1
	buffer_load_dword v2, v38, s[24:27], 0 offen
	s_abs_i32 s34, s10
	v_cmp_eq_u32_e64 s[0:1], 63, v1
	v_cvt_f32_u32_e32 v1, s34
	s_add_i32 s2, s35, 15
	s_load_dwordx8 s[16:23], s[4:5], 0x0
	s_ashr_i32 s4, s2, 31
	v_rcp_iflag_f32_e32 v1, v1
	s_waitcnt vmcnt(0) lgkmcnt(0)
	s_barrier
	v_mul_f32_e32 v1, 0x4f7ffffe, v1
	v_cvt_u32_f32_e32 v1, v1
	s_add_i32 s3, s35, 3
	s_lshr_b32 s4, s4, 28
	s_ashr_i32 s5, s3, 31
	s_add_i32 s2, s2, s4
	s_sub_i32 s4, 0, s34
	v_readfirstlane_b32 s42, v1
	s_lshr_b32 s5, s5, 30
	s_mul_i32 s4, s4, s42
	s_add_i32 s3, s3, s5
	s_mul_hi_u32 s4, s42, s4
	v_lshrrev_b32_e32 v3, 4, v0
	v_mov_b32_e32 v4, 0x1000
	v_and_b32_e32 v5, 7, v0
	s_lshl_b32 s6, s35, 1
	s_lshl_b32 s30, s35, 2
	s_ashr_i32 s33, s10, 31
	s_ashr_i32 s2, s2, 4
	s_and_b32 s38, s3, -4
	s_add_i32 s42, s42, s4
	s_mov_b32 s15, s35
	v_lshlrev_b32_e32 v32, 5, v0
	v_lshlrev_b32_e32 v33, 6, v0
	v_cmp_eq_u32_e32 vcc, 0, v0
	v_and_or_b32 v34, v3, 60, v4
	v_lshl_or_b32 v35, v5, 2, v4
	v_cmp_gt_u32_e64 s[2:3], s2, v0
	v_lshlrev_b32_e32 v36, 4, v0
	v_lshlrev_b32_e32 v2, 2, v2
	ds_read_b32 v37, v2
	s_waitcnt lgkmcnt(0)
	v_readlane_b32 s28, v37, 0
	s_cmp_lt_i32 s28, 0
	s_cbranch_scc1 .LBB123_12
; %bb.9:
	s_abs_i32 s27, s40
	s_mul_hi_u32 s4, s27, s42
	s_mul_i32 s7, s4, s34
	s_sub_i32 s7, s27, s7
	s_xor_b32 s5, s41, s33
	s_add_i32 s29, s4, 1
	s_sub_i32 s31, s7, s34
	s_cmp_ge_u32 s7, s34
	s_cselect_b32 s4, s29, s4
	s_cselect_b32 s7, s31, s7
	s_add_i32 s29, s4, 1
	s_cmp_ge_u32 s7, s34
	s_cselect_b32 s4, s29, s4
	s_xor_b32 s4, s4, s5
	s_sub_i32 s4, s4, s5
	s_mul_i32 s5, s4, s10
	s_sub_i32 s5, s40, s5
	s_mul_i32 s5, s5, s12
	s_mul_i32 s4, s4, s11
	s_add_i32 s43, s5, s4
	s_cmp_eq_u32 s43, -1
	s_cbranch_scc1 .LBB123_13
; %bb.10:
	s_mul_hi_i32 s5, s43, s15
	s_mul_i32 s4, s43, s15
	s_lshl_b64 s[4:5], s[4:5], 1
	s_add_u32 s4, s20, s4
	s_addc_u32 s5, s21, s5
	s_and_b32 s5, s5, 0xffff
	s_mov_b32 s7, 0x20000
	buffer_load_dwordx4 v[6:9], v32, s[4:7], 0 offen
	buffer_load_dwordx4 v[14:17], v32, s[4:7], 16 offen
	s_waitcnt vmcnt(1)
	v_cvt_f32_u32_sdwa v1, v6 dst_sel:DWORD dst_unused:UNUSED_PAD src0_sel:WORD_1
	v_cvt_f32_u32_sdwa v0, v6 dst_sel:DWORD dst_unused:UNUSED_PAD src0_sel:WORD_0
	v_cvt_f32_u32_sdwa v3, v7 dst_sel:DWORD dst_unused:UNUSED_PAD src0_sel:WORD_1
	v_cvt_f32_u32_sdwa v2, v7 dst_sel:DWORD dst_unused:UNUSED_PAD src0_sel:WORD_0
	;; [unrolled: 2-line block ×4, first 2 shown]
	s_waitcnt vmcnt(0)
	v_cvt_f32_u32_sdwa v9, v14 dst_sel:DWORD dst_unused:UNUSED_PAD src0_sel:WORD_1
	v_cvt_f32_u32_sdwa v8, v14 dst_sel:DWORD dst_unused:UNUSED_PAD src0_sel:WORD_0
	v_cvt_f32_u32_sdwa v11, v15 dst_sel:DWORD dst_unused:UNUSED_PAD src0_sel:WORD_1
	v_cvt_f32_u32_sdwa v10, v15 dst_sel:DWORD dst_unused:UNUSED_PAD src0_sel:WORD_0
	;; [unrolled: 2-line block ×4, first 2 shown]
	s_branch .LBB123_14
.LBB123_11:
                                        ; implicit-def: $sgpr7
	s_branch .LBB123_2
.LBB123_12:
	s_mov_b32 s43, -1
                                        ; implicit-def: $vgpr0_vgpr1_vgpr2_vgpr3_vgpr4_vgpr5_vgpr6_vgpr7_vgpr8_vgpr9_vgpr10_vgpr11_vgpr12_vgpr13_vgpr14_vgpr15
	s_cmp_eq_u32 s8, 1
	s_mov_b32 s41, 1
	s_cbranch_scc0 .LBB123_21
	s_branch .LBB123_35
.LBB123_13:
                                        ; implicit-def: $vgpr0_vgpr1_vgpr2_vgpr3_vgpr4_vgpr5_vgpr6_vgpr7_vgpr8_vgpr9_vgpr10_vgpr11_vgpr12_vgpr13_vgpr14_vgpr15
.LBB123_14:
	s_mul_i32 s4, s28, s35
	s_ashr_i32 s5, s4, 31
	s_lshl_b64 s[4:5], s[4:5], 2
	s_add_u32 s28, s22, s4
	s_addc_u32 s4, s23, s5
	s_and_b32 s29, s4, 0xffff
	s_mov_b32 s31, 0x20000
	buffer_load_dwordx4 v[16:19], v33, s[28:31], 0 offen
	buffer_load_dwordx4 v[20:23], v33, s[28:31], 16 offen
	;; [unrolled: 1-line block ×4, first 2 shown]
	s_mov_b32 s4, 0x2edbe6ff
	s_waitcnt vmcnt(3)
	v_pk_mul_f32 v[16:17], v[0:1], v[16:17]
	v_pk_mul_f32 v[18:19], v[2:3], v[18:19]
	v_max3_f32 v39, |v16|, s4, |v17|
	s_waitcnt vmcnt(2)
	v_pk_mul_f32 v[20:21], v[4:5], v[20:21]
	v_max3_f32 v39, v39, |v18|, |v19|
	v_pk_mul_f32 v[22:23], v[6:7], v[22:23]
	v_max3_f32 v39, v39, |v20|, |v21|
	s_waitcnt vmcnt(1)
	v_pk_mul_f32 v[24:25], v[8:9], v[24:25]
	v_max3_f32 v39, v39, |v22|, |v23|
	v_pk_mul_f32 v[26:27], v[10:11], v[26:27]
	v_max3_f32 v39, v39, |v24|, |v25|
	;; [unrolled: 5-line block ×3, first 2 shown]
	v_max3_f32 v39, v39, |v30|, |v31|
	s_nop 1
	v_mov_b32_dpp v40, v39 quad_perm:[1,0,3,2] row_mask:0xf bank_mask:0xf
	v_cmp_gt_f32_e64 s[4:5], v39, v40
	v_cndmask_b32_e64 v39, v40, v39, s[4:5]
	s_nop 1
	v_mov_b32_dpp v40, v39 quad_perm:[2,3,0,1] row_mask:0xf bank_mask:0xf
	v_cmp_gt_f32_e64 s[4:5], v39, v40
	v_cndmask_b32_e64 v39, v40, v39, s[4:5]
	s_nop 1
	v_mov_b32_dpp v40, v39 row_half_mirror row_mask:0xf bank_mask:0xf
	v_cmp_gt_f32_e64 s[4:5], v39, v40
	v_cndmask_b32_e64 v39, v40, v39, s[4:5]
	s_nop 1
	v_mov_b32_dpp v40, v39 row_mirror row_mask:0xf bank_mask:0xf
	v_cmp_gt_f32_e64 s[4:5], v39, v40
	v_cndmask_b32_e64 v39, v40, v39, s[4:5]
	s_nop 1
	v_mov_b32_dpp v40, v39 row_bcast:15 row_mask:0xf bank_mask:0xf
	v_cmp_gt_f32_e64 s[4:5], v39, v40
	v_cndmask_b32_e64 v39, v40, v39, s[4:5]
	s_nop 1
	v_mov_b32_dpp v40, v39 row_bcast:31 row_mask:0xf bank_mask:0xf
	s_and_saveexec_b64 s[28:29], s[0:1]
	s_cbranch_execz .LBB123_16
; %bb.15:
	v_cmp_gt_f32_e64 s[4:5], v39, v40
	v_cndmask_b32_e64 v39, v40, v39, s[4:5]
	ds_write_b32 v34, v39
.LBB123_16:
	s_or_b64 exec, exec, s[28:29]
	s_waitcnt lgkmcnt(0)
	s_barrier
	ds_read_b32 v39, v35
	s_abs_i32 s7, s9
	v_cvt_f32_u32_e32 v41, s7
	s_waitcnt lgkmcnt(0)
	v_mov_b32_dpp v40, v39 quad_perm:[1,0,3,2] row_mask:0xf bank_mask:0xf
	v_cmp_gt_f32_e64 s[4:5], v39, v40
	v_cndmask_b32_e64 v39, v40, v39, s[4:5]
	v_rcp_iflag_f32_e32 v41, v41
	s_nop 0
	v_mov_b32_dpp v40, v39 quad_perm:[2,3,0,1] row_mask:0xf bank_mask:0xf
	v_cmp_gt_f32_e64 s[4:5], v39, v40
	v_cndmask_b32_e64 v39, v40, v39, s[4:5]
	s_nop 1
	v_mov_b32_dpp v40, v39 row_half_mirror row_mask:0xf bank_mask:0xf
	v_cmp_gt_f32_e64 s[4:5], v39, v40
	v_cndmask_b32_e64 v39, v40, v39, s[4:5]
	v_mul_f32_e32 v40, 0x4f7ffffe, v41
	v_cvt_u32_f32_e32 v40, v40
	s_sub_i32 s5, 0, s7
	s_ashr_i32 s4, s9, 31
	s_xor_b32 s4, s41, s4
	v_readfirstlane_b32 s28, v40
	s_mul_i32 s5, s5, s28
	s_mul_hi_u32 s5, s28, s5
	s_add_i32 s28, s28, s5
	s_mul_hi_u32 s5, s27, s28
	s_mul_i32 s28, s5, s7
	s_sub_i32 s27, s27, s28
	s_add_i32 s28, s5, 1
	s_sub_i32 s29, s27, s7
	s_cmp_ge_u32 s27, s7
	s_cselect_b32 s5, s28, s5
	s_cselect_b32 s27, s29, s27
	s_add_i32 s28, s5, 1
	s_cmp_ge_u32 s27, s7
	s_cselect_b32 s5, s28, s5
	s_xor_b32 s5, s5, s4
	s_sub_i32 s4, s5, s4
	s_mul_i32 s5, s4, s9
	s_sub_i32 s5, s40, s5
	s_mul_i32 s5, s5, s14
	s_mul_i32 s4, s4, s13
	v_mul_f32_e32 v39, 0x3c010204, v39
	s_add_i32 s28, s5, s4
	s_and_saveexec_b64 s[4:5], vcc
	s_cbranch_execz .LBB123_18
; %bb.17:
	s_ashr_i32 s29, s28, 31
	s_lshl_b64 s[36:37], s[28:29], 2
	s_add_u32 s36, s18, s36
	s_addc_u32 s37, s19, s37
	v_mov_b32_e32 v40, 0
	global_store_dword v40, v39, s[36:37]
.LBB123_18:
	s_or_b64 exec, exec, s[4:5]
	s_and_saveexec_b64 s[4:5], s[2:3]
	s_cbranch_execz .LBB123_20
; %bb.19:
	v_rcp_f32_e32 v40, v39
	s_mul_i32 s27, s28, s15
	s_mul_hi_i32 s7, s28, s15
	s_add_u32 s36, s16, s27
	v_mov_b32_e32 v41, v40
	;;#ASMSTART
	v_pk_mul_f32 v[16:17], v[16:17], v[40:41]
	;;#ASMEND
	v_cvt_i32_f32_e32 v39, v16
	v_cvt_i32_f32_sdwa v42, v17 dst_sel:BYTE_1 dst_unused:UNUSED_PAD src0_sel:DWORD
	;;#ASMSTART
	v_pk_mul_f32 v[16:17], v[18:19], v[40:41]
	;;#ASMEND
	v_cvt_i32_f32_e32 v18, v16
	v_cvt_i32_f32_sdwa v19, v17 dst_sel:BYTE_1 dst_unused:UNUSED_PAD src0_sel:DWORD
	;; [unrolled: 5-line block ×8, first 2 shown]
	v_or_b32_sdwa v16, v39, v42 dst_sel:DWORD dst_unused:UNUSED_PAD src0_sel:BYTE_0 src1_sel:DWORD
	v_or_b32_sdwa v17, v18, v19 dst_sel:WORD_1 dst_unused:UNUSED_PAD src0_sel:BYTE_0 src1_sel:DWORD
	v_or_b32_sdwa v16, v16, v17 dst_sel:DWORD dst_unused:UNUSED_PAD src0_sel:WORD_0 src1_sel:DWORD
	v_or_b32_sdwa v17, v20, v21 dst_sel:DWORD dst_unused:UNUSED_PAD src0_sel:BYTE_0 src1_sel:DWORD
	v_or_b32_sdwa v18, v22, v23 dst_sel:WORD_1 dst_unused:UNUSED_PAD src0_sel:BYTE_0 src1_sel:DWORD
	v_or_b32_sdwa v17, v17, v18 dst_sel:DWORD dst_unused:UNUSED_PAD src0_sel:WORD_0 src1_sel:DWORD
	v_or_b32_sdwa v18, v24, v25 dst_sel:DWORD dst_unused:UNUSED_PAD src0_sel:BYTE_0 src1_sel:DWORD
	v_or_b32_sdwa v19, v26, v27 dst_sel:WORD_1 dst_unused:UNUSED_PAD src0_sel:BYTE_0 src1_sel:DWORD
	s_addc_u32 s7, s17, s7
	v_or_b32_sdwa v18, v18, v19 dst_sel:DWORD dst_unused:UNUSED_PAD src0_sel:WORD_0 src1_sel:DWORD
	v_or_b32_sdwa v19, v28, v29 dst_sel:DWORD dst_unused:UNUSED_PAD src0_sel:BYTE_0 src1_sel:DWORD
	v_or_b32_sdwa v20, v30, v31 dst_sel:WORD_1 dst_unused:UNUSED_PAD src0_sel:BYTE_0 src1_sel:DWORD
	s_and_b32 s37, s7, 0xffff
	s_mov_b32 s39, 0x20000
	v_or_b32_sdwa v19, v19, v20 dst_sel:DWORD dst_unused:UNUSED_PAD src0_sel:WORD_0 src1_sel:DWORD
	buffer_store_dwordx4 v[16:19], v36, s[36:39], 0 offen
	;;#ASMSTART
	s_nop 0
	;;#ASMEND
.LBB123_20:
	s_or_b64 exec, exec, s[4:5]
	s_cmp_eq_u32 s8, 1
	s_mov_b32 s41, 1
	s_cbranch_scc1 .LBB123_35
.LBB123_21:
	s_abs_i32 s44, s9
	v_cvt_f32_u32_e32 v16, s44
	s_sub_i32 s4, 0, s44
	s_ashr_i32 s45, s9, 31
	v_add_u32_e32 v38, 4, v38
	v_rcp_iflag_f32_e32 v16, v16
	s_mov_b32 s31, 0x20000
	s_mov_b32 s46, 0x2edbe6ff
	v_mov_b32_e32 v39, 0
	v_mul_f32_e32 v16, 0x4f7ffffe, v16
	v_cvt_u32_f32_e32 v16, v16
	v_readfirstlane_b32 s5, v16
	s_mul_i32 s4, s4, s5
	s_mul_hi_u32 s4, s5, s4
	s_add_i32 s47, s5, s4
	s_branch .LBB123_24
.LBB123_22:                             ;   in Loop: Header=BB123_24 Depth=1
	s_or_b64 exec, exec, s[4:5]
.LBB123_23:                             ;   in Loop: Header=BB123_24 Depth=1
	s_add_i32 s41, s41, 1
	s_cmp_eq_u32 s8, s41
	v_add_u32_e32 v38, 4, v38
	s_cbranch_scc1 .LBB123_35
.LBB123_24:                             ; =>This Inner Loop Header: Depth=1
	s_and_b32 s4, s41, 63
	s_cmp_lg_u32 s4, 0
	s_cbranch_scc1 .LBB123_26
; %bb.25:                               ;   in Loop: Header=BB123_24 Depth=1
	s_mov_b32 s27, s31
	buffer_load_dword v16, v38, s[24:27], 0 offen
	s_waitcnt vmcnt(0)
	v_lshlrev_b32_e32 v16, 2, v16
	ds_read_b32 v37, v16
.LBB123_26:                             ;   in Loop: Header=BB123_24 Depth=1
	s_waitcnt lgkmcnt(0)
	v_readlane_b32 s28, v37, s4
	s_cmp_lt_i32 s28, 0
	s_cbranch_scc1 .LBB123_23
; %bb.27:                               ;   in Loop: Header=BB123_24 Depth=1
	s_add_i32 s27, s40, s41
	s_abs_i32 s36, s27
	s_mul_hi_u32 s5, s36, s42
	s_mul_i32 s7, s5, s34
	s_ashr_i32 s37, s27, 31
	s_sub_i32 s7, s36, s7
	s_xor_b32 s4, s37, s33
	s_add_i32 s29, s5, 1
	s_sub_i32 s39, s7, s34
	s_cmp_ge_u32 s7, s34
	s_cselect_b32 s5, s29, s5
	s_cselect_b32 s7, s39, s7
	s_add_i32 s29, s5, 1
	s_cmp_ge_u32 s7, s34
	s_cselect_b32 s5, s29, s5
	s_xor_b32 s5, s5, s4
	s_sub_i32 s4, s5, s4
	s_mul_i32 s5, s4, s10
	s_sub_i32 s5, s27, s5
	s_mul_i32 s29, s5, s12
	s_mul_i32 s4, s4, s11
	s_add_i32 s29, s29, s4
	s_cmp_eq_u32 s29, s43
	s_cbranch_scc1 .LBB123_29
; %bb.28:                               ;   in Loop: Header=BB123_24 Depth=1
	s_mul_hi_i32 s5, s29, s15
	s_mul_i32 s4, s29, s15
	s_lshl_b64 s[4:5], s[4:5], 1
	s_add_u32 s4, s20, s4
	s_addc_u32 s5, s21, s5
	s_and_b32 s5, s5, 0xffff
	s_mov_b32 s7, s31
	buffer_load_dwordx4 v[6:9], v32, s[4:7], 0 offen
	buffer_load_dwordx4 v[14:17], v32, s[4:7], 16 offen
	s_mov_b32 s43, s29
	s_waitcnt vmcnt(1)
	v_cvt_f32_u32_sdwa v1, v6 dst_sel:DWORD dst_unused:UNUSED_PAD src0_sel:WORD_1
	v_cvt_f32_u32_sdwa v0, v6 dst_sel:DWORD dst_unused:UNUSED_PAD src0_sel:WORD_0
	v_cvt_f32_u32_sdwa v3, v7 dst_sel:DWORD dst_unused:UNUSED_PAD src0_sel:WORD_1
	v_cvt_f32_u32_sdwa v2, v7 dst_sel:DWORD dst_unused:UNUSED_PAD src0_sel:WORD_0
	;; [unrolled: 2-line block ×4, first 2 shown]
	s_waitcnt vmcnt(0)
	v_cvt_f32_u32_sdwa v9, v14 dst_sel:DWORD dst_unused:UNUSED_PAD src0_sel:WORD_1
	v_cvt_f32_u32_sdwa v8, v14 dst_sel:DWORD dst_unused:UNUSED_PAD src0_sel:WORD_0
	v_cvt_f32_u32_sdwa v11, v15 dst_sel:DWORD dst_unused:UNUSED_PAD src0_sel:WORD_1
	v_cvt_f32_u32_sdwa v10, v15 dst_sel:DWORD dst_unused:UNUSED_PAD src0_sel:WORD_0
	;; [unrolled: 2-line block ×4, first 2 shown]
.LBB123_29:                             ;   in Loop: Header=BB123_24 Depth=1
	s_mul_i32 s4, s28, s35
	s_ashr_i32 s5, s4, 31
	s_lshl_b64 s[4:5], s[4:5], 2
	s_add_u32 s28, s22, s4
	s_addc_u32 s4, s23, s5
	s_and_b32 s29, s4, 0xffff
	buffer_load_dwordx4 v[16:19], v33, s[28:31], 0 offen
	buffer_load_dwordx4 v[20:23], v33, s[28:31], 16 offen
	;; [unrolled: 1-line block ×4, first 2 shown]
	s_waitcnt vmcnt(3)
	v_pk_mul_f32 v[16:17], v[0:1], v[16:17]
	v_pk_mul_f32 v[18:19], v[2:3], v[18:19]
	v_max3_f32 v40, |v16|, s46, |v17|
	s_waitcnt vmcnt(2)
	v_pk_mul_f32 v[20:21], v[4:5], v[20:21]
	v_max3_f32 v40, v40, |v18|, |v19|
	v_pk_mul_f32 v[22:23], v[6:7], v[22:23]
	v_max3_f32 v40, v40, |v20|, |v21|
	s_waitcnt vmcnt(1)
	v_pk_mul_f32 v[24:25], v[8:9], v[24:25]
	v_max3_f32 v40, v40, |v22|, |v23|
	v_pk_mul_f32 v[26:27], v[10:11], v[26:27]
	v_max3_f32 v40, v40, |v24|, |v25|
	;; [unrolled: 5-line block ×3, first 2 shown]
	v_max3_f32 v40, v40, |v30|, |v31|
	s_nop 1
	v_mov_b32_dpp v41, v40 quad_perm:[1,0,3,2] row_mask:0xf bank_mask:0xf
	v_cmp_gt_f32_e64 s[4:5], v40, v41
	v_cndmask_b32_e64 v40, v41, v40, s[4:5]
	s_nop 1
	v_mov_b32_dpp v41, v40 quad_perm:[2,3,0,1] row_mask:0xf bank_mask:0xf
	v_cmp_gt_f32_e64 s[4:5], v40, v41
	v_cndmask_b32_e64 v40, v41, v40, s[4:5]
	s_nop 1
	v_mov_b32_dpp v41, v40 row_half_mirror row_mask:0xf bank_mask:0xf
	v_cmp_gt_f32_e64 s[4:5], v40, v41
	v_cndmask_b32_e64 v40, v41, v40, s[4:5]
	s_nop 1
	v_mov_b32_dpp v41, v40 row_mirror row_mask:0xf bank_mask:0xf
	v_cmp_gt_f32_e64 s[4:5], v40, v41
	v_cndmask_b32_e64 v40, v41, v40, s[4:5]
	s_nop 1
	v_mov_b32_dpp v41, v40 row_bcast:15 row_mask:0xf bank_mask:0xf
	v_cmp_gt_f32_e64 s[4:5], v40, v41
	v_cndmask_b32_e64 v40, v41, v40, s[4:5]
	s_nop 1
	v_mov_b32_dpp v41, v40 row_bcast:31 row_mask:0xf bank_mask:0xf
	s_and_saveexec_b64 s[28:29], s[0:1]
	s_cbranch_execz .LBB123_31
; %bb.30:                               ;   in Loop: Header=BB123_24 Depth=1
	v_cmp_gt_f32_e64 s[4:5], v40, v41
	v_cndmask_b32_e64 v40, v41, v40, s[4:5]
	ds_write_b32 v34, v40
.LBB123_31:                             ;   in Loop: Header=BB123_24 Depth=1
	s_or_b64 exec, exec, s[28:29]
	s_waitcnt lgkmcnt(0)
	s_barrier
	ds_read_b32 v40, v35
	s_waitcnt lgkmcnt(0)
	s_nop 0
	v_mov_b32_dpp v41, v40 quad_perm:[1,0,3,2] row_mask:0xf bank_mask:0xf
	v_cmp_gt_f32_e64 s[4:5], v40, v41
	v_cndmask_b32_e64 v40, v41, v40, s[4:5]
	s_nop 1
	v_mov_b32_dpp v41, v40 quad_perm:[2,3,0,1] row_mask:0xf bank_mask:0xf
	v_cmp_gt_f32_e64 s[4:5], v40, v41
	v_cndmask_b32_e64 v40, v41, v40, s[4:5]
	s_nop 1
	v_mov_b32_dpp v41, v40 row_half_mirror row_mask:0xf bank_mask:0xf
	v_cmp_gt_f32_e64 s[4:5], v40, v41
	v_cndmask_b32_e64 v40, v41, v40, s[4:5]
	s_mul_hi_u32 s5, s36, s47
	s_mul_i32 s7, s5, s44
	s_sub_i32 s7, s36, s7
	s_xor_b32 s4, s37, s45
	s_add_i32 s28, s5, 1
	s_sub_i32 s29, s7, s44
	s_cmp_ge_u32 s7, s44
	s_cselect_b32 s5, s28, s5
	s_cselect_b32 s7, s29, s7
	s_add_i32 s28, s5, 1
	s_cmp_ge_u32 s7, s44
	s_cselect_b32 s5, s28, s5
	s_xor_b32 s5, s5, s4
	s_sub_i32 s4, s5, s4
	s_mul_i32 s5, s4, s9
	s_sub_i32 s5, s27, s5
	s_mul_i32 s5, s5, s14
	s_mul_i32 s4, s4, s13
	v_mul_f32_e32 v40, 0x3c010204, v40
	s_add_i32 s28, s5, s4
	s_and_saveexec_b64 s[4:5], vcc
	s_cbranch_execz .LBB123_33
; %bb.32:                               ;   in Loop: Header=BB123_24 Depth=1
	s_ashr_i32 s29, s28, 31
	s_lshl_b64 s[36:37], s[28:29], 2
	s_add_u32 s36, s18, s36
	s_addc_u32 s37, s19, s37
	global_store_dword v39, v40, s[36:37]
.LBB123_33:                             ;   in Loop: Header=BB123_24 Depth=1
	s_or_b64 exec, exec, s[4:5]
	s_and_saveexec_b64 s[4:5], s[2:3]
	s_cbranch_execz .LBB123_22
; %bb.34:                               ;   in Loop: Header=BB123_24 Depth=1
	v_rcp_f32_e32 v40, v40
	s_mul_i32 s27, s28, s15
	s_mul_hi_i32 s7, s28, s15
	s_add_u32 s36, s16, s27
	v_mov_b32_e32 v41, v40
	;;#ASMSTART
	v_pk_mul_f32 v[16:17], v[16:17], v[40:41]
	;;#ASMEND
	v_cvt_i32_f32_e32 v42, v16
	v_cvt_i32_f32_sdwa v43, v17 dst_sel:BYTE_1 dst_unused:UNUSED_PAD src0_sel:DWORD
	;;#ASMSTART
	v_pk_mul_f32 v[16:17], v[18:19], v[40:41]
	;;#ASMEND
	v_cvt_i32_f32_e32 v18, v16
	v_cvt_i32_f32_sdwa v19, v17 dst_sel:BYTE_1 dst_unused:UNUSED_PAD src0_sel:DWORD
	;;#ASMSTART
	v_pk_mul_f32 v[16:17], v[20:21], v[40:41]
	;;#ASMEND
	v_cvt_i32_f32_e32 v20, v16
	v_cvt_i32_f32_sdwa v21, v17 dst_sel:BYTE_1 dst_unused:UNUSED_PAD src0_sel:DWORD
	;;#ASMSTART
	v_pk_mul_f32 v[16:17], v[22:23], v[40:41]
	;;#ASMEND
	v_cvt_i32_f32_e32 v22, v16
	v_cvt_i32_f32_sdwa v23, v17 dst_sel:BYTE_1 dst_unused:UNUSED_PAD src0_sel:DWORD
	;;#ASMSTART
	v_pk_mul_f32 v[16:17], v[24:25], v[40:41]
	;;#ASMEND
	v_cvt_i32_f32_e32 v24, v16
	v_cvt_i32_f32_sdwa v25, v17 dst_sel:BYTE_1 dst_unused:UNUSED_PAD src0_sel:DWORD
	;;#ASMSTART
	v_pk_mul_f32 v[16:17], v[26:27], v[40:41]
	;;#ASMEND
	v_cvt_i32_f32_e32 v26, v16
	v_cvt_i32_f32_sdwa v27, v17 dst_sel:BYTE_1 dst_unused:UNUSED_PAD src0_sel:DWORD
	;;#ASMSTART
	v_pk_mul_f32 v[16:17], v[28:29], v[40:41]
	;;#ASMEND
	v_cvt_i32_f32_e32 v28, v16
	v_cvt_i32_f32_sdwa v29, v17 dst_sel:BYTE_1 dst_unused:UNUSED_PAD src0_sel:DWORD
	;;#ASMSTART
	v_pk_mul_f32 v[16:17], v[30:31], v[40:41]
	;;#ASMEND
	v_cvt_i32_f32_e32 v30, v16
	v_cvt_i32_f32_sdwa v31, v17 dst_sel:BYTE_1 dst_unused:UNUSED_PAD src0_sel:DWORD
	v_or_b32_sdwa v16, v42, v43 dst_sel:DWORD dst_unused:UNUSED_PAD src0_sel:BYTE_0 src1_sel:DWORD
	v_or_b32_sdwa v17, v18, v19 dst_sel:WORD_1 dst_unused:UNUSED_PAD src0_sel:BYTE_0 src1_sel:DWORD
	v_or_b32_sdwa v16, v16, v17 dst_sel:DWORD dst_unused:UNUSED_PAD src0_sel:WORD_0 src1_sel:DWORD
	v_or_b32_sdwa v17, v20, v21 dst_sel:DWORD dst_unused:UNUSED_PAD src0_sel:BYTE_0 src1_sel:DWORD
	v_or_b32_sdwa v18, v22, v23 dst_sel:WORD_1 dst_unused:UNUSED_PAD src0_sel:BYTE_0 src1_sel:DWORD
	v_or_b32_sdwa v17, v17, v18 dst_sel:DWORD dst_unused:UNUSED_PAD src0_sel:WORD_0 src1_sel:DWORD
	v_or_b32_sdwa v18, v24, v25 dst_sel:DWORD dst_unused:UNUSED_PAD src0_sel:BYTE_0 src1_sel:DWORD
	v_or_b32_sdwa v19, v26, v27 dst_sel:WORD_1 dst_unused:UNUSED_PAD src0_sel:BYTE_0 src1_sel:DWORD
	s_addc_u32 s7, s17, s7
	v_or_b32_sdwa v18, v18, v19 dst_sel:DWORD dst_unused:UNUSED_PAD src0_sel:WORD_0 src1_sel:DWORD
	v_or_b32_sdwa v19, v28, v29 dst_sel:DWORD dst_unused:UNUSED_PAD src0_sel:BYTE_0 src1_sel:DWORD
	v_or_b32_sdwa v20, v30, v31 dst_sel:WORD_1 dst_unused:UNUSED_PAD src0_sel:BYTE_0 src1_sel:DWORD
	s_and_b32 s37, s7, 0xffff
	s_mov_b32 s39, s31
	v_or_b32_sdwa v19, v19, v20 dst_sel:DWORD dst_unused:UNUSED_PAD src0_sel:WORD_0 src1_sel:DWORD
	buffer_store_dwordx4 v[16:19], v36, s[36:39], 0 offen
	;;#ASMSTART
	s_nop 0
	;;#ASMEND
	s_branch .LBB123_22
.LBB123_35:
	s_endpgm
	.section	.rodata,"a",@progbits
	.p2align	6, 0x0
	.amdhsa_kernel _ZN5aiter36smooth_per_token_scaled_quant_kernelItaLi512ELi16ELb1ELb1ELb1ELi1024EEEvPT0_PfPT_S3_PiS6_iiPKiiiiiiiii
		.amdhsa_group_segment_fixed_size 4128
		.amdhsa_private_segment_fixed_size 0
		.amdhsa_kernarg_size 96
		.amdhsa_user_sgpr_count 6
		.amdhsa_user_sgpr_private_segment_buffer 1
		.amdhsa_user_sgpr_dispatch_ptr 0
		.amdhsa_user_sgpr_queue_ptr 0
		.amdhsa_user_sgpr_kernarg_segment_ptr 1
		.amdhsa_user_sgpr_dispatch_id 0
		.amdhsa_user_sgpr_flat_scratch_init 0
		.amdhsa_user_sgpr_kernarg_preload_length 0
		.amdhsa_user_sgpr_kernarg_preload_offset 0
		.amdhsa_user_sgpr_private_segment_size 0
		.amdhsa_uses_dynamic_stack 0
		.amdhsa_system_sgpr_private_segment_wavefront_offset 0
		.amdhsa_system_sgpr_workgroup_id_x 1
		.amdhsa_system_sgpr_workgroup_id_y 0
		.amdhsa_system_sgpr_workgroup_id_z 0
		.amdhsa_system_sgpr_workgroup_info 0
		.amdhsa_system_vgpr_workitem_id 0
		.amdhsa_next_free_vgpr 44
		.amdhsa_next_free_sgpr 48
		.amdhsa_accum_offset 44
		.amdhsa_reserve_vcc 1
		.amdhsa_reserve_flat_scratch 0
		.amdhsa_float_round_mode_32 0
		.amdhsa_float_round_mode_16_64 0
		.amdhsa_float_denorm_mode_32 3
		.amdhsa_float_denorm_mode_16_64 3
		.amdhsa_dx10_clamp 1
		.amdhsa_ieee_mode 1
		.amdhsa_fp16_overflow 0
		.amdhsa_tg_split 0
		.amdhsa_exception_fp_ieee_invalid_op 0
		.amdhsa_exception_fp_denorm_src 0
		.amdhsa_exception_fp_ieee_div_zero 0
		.amdhsa_exception_fp_ieee_overflow 0
		.amdhsa_exception_fp_ieee_underflow 0
		.amdhsa_exception_fp_ieee_inexact 0
		.amdhsa_exception_int_div_zero 0
	.end_amdhsa_kernel
	.section	.text._ZN5aiter36smooth_per_token_scaled_quant_kernelItaLi512ELi16ELb1ELb1ELb1ELi1024EEEvPT0_PfPT_S3_PiS6_iiPKiiiiiiiii,"axG",@progbits,_ZN5aiter36smooth_per_token_scaled_quant_kernelItaLi512ELi16ELb1ELb1ELb1ELi1024EEEvPT0_PfPT_S3_PiS6_iiPKiiiiiiiii,comdat
.Lfunc_end123:
	.size	_ZN5aiter36smooth_per_token_scaled_quant_kernelItaLi512ELi16ELb1ELb1ELb1ELi1024EEEvPT0_PfPT_S3_PiS6_iiPKiiiiiiiii, .Lfunc_end123-_ZN5aiter36smooth_per_token_scaled_quant_kernelItaLi512ELi16ELb1ELb1ELb1ELi1024EEEvPT0_PfPT_S3_PiS6_iiPKiiiiiiiii
                                        ; -- End function
	.section	.AMDGPU.csdata,"",@progbits
; Kernel info:
; codeLenInByte = 3336
; NumSgprs: 52
; NumVgprs: 44
; NumAgprs: 0
; TotalNumVgprs: 44
; ScratchSize: 0
; MemoryBound: 0
; FloatMode: 240
; IeeeMode: 1
; LDSByteSize: 4128 bytes/workgroup (compile time only)
; SGPRBlocks: 6
; VGPRBlocks: 5
; NumSGPRsForWavesPerEU: 52
; NumVGPRsForWavesPerEU: 44
; AccumOffset: 44
; Occupancy: 8
; WaveLimiterHint : 0
; COMPUTE_PGM_RSRC2:SCRATCH_EN: 0
; COMPUTE_PGM_RSRC2:USER_SGPR: 6
; COMPUTE_PGM_RSRC2:TRAP_HANDLER: 0
; COMPUTE_PGM_RSRC2:TGID_X_EN: 1
; COMPUTE_PGM_RSRC2:TGID_Y_EN: 0
; COMPUTE_PGM_RSRC2:TGID_Z_EN: 0
; COMPUTE_PGM_RSRC2:TIDIG_COMP_CNT: 0
; COMPUTE_PGM_RSRC3_GFX90A:ACCUM_OFFSET: 10
; COMPUTE_PGM_RSRC3_GFX90A:TG_SPLIT: 0
	.section	.text._ZN5aiter36smooth_per_token_scaled_quant_kernelIDF16_aLi512ELi16ELb1ELb1ELb0ELi1024EEEvPT0_PfPT_S3_PiS6_iiPKiiiiiiiii,"axG",@progbits,_ZN5aiter36smooth_per_token_scaled_quant_kernelIDF16_aLi512ELi16ELb1ELb1ELb0ELi1024EEEvPT0_PfPT_S3_PiS6_iiPKiiiiiiiii,comdat
	.protected	_ZN5aiter36smooth_per_token_scaled_quant_kernelIDF16_aLi512ELi16ELb1ELb1ELb0ELi1024EEEvPT0_PfPT_S3_PiS6_iiPKiiiiiiiii ; -- Begin function _ZN5aiter36smooth_per_token_scaled_quant_kernelIDF16_aLi512ELi16ELb1ELb1ELb0ELi1024EEEvPT0_PfPT_S3_PiS6_iiPKiiiiiiiii
	.globl	_ZN5aiter36smooth_per_token_scaled_quant_kernelIDF16_aLi512ELi16ELb1ELb1ELb0ELi1024EEEvPT0_PfPT_S3_PiS6_iiPKiiiiiiiii
	.p2align	8
	.type	_ZN5aiter36smooth_per_token_scaled_quant_kernelIDF16_aLi512ELi16ELb1ELb1ELb0ELi1024EEEvPT0_PfPT_S3_PiS6_iiPKiiiiiiiii,@function
_ZN5aiter36smooth_per_token_scaled_quant_kernelIDF16_aLi512ELi16ELb1ELb1ELb0ELi1024EEEvPT0_PfPT_S3_PiS6_iiPKiiiiiiiii: ; @_ZN5aiter36smooth_per_token_scaled_quant_kernelIDF16_aLi512ELi16ELb1ELb1ELb0ELi1024EEEvPT0_PfPT_S3_PiS6_iiPKiiiiiiiii
; %bb.0:
	s_load_dwordx2 s[2:3], s[4:5], 0x38
	s_load_dwordx8 s[8:15], s[4:5], 0x40
	s_mov_b64 s[0:1], 0
	s_waitcnt lgkmcnt(0)
	s_cmp_lg_u64 s[2:3], 0
	s_cbranch_scc0 .LBB124_11
; %bb.1:
	s_load_dword s2, s[2:3], 0x0
	s_waitcnt lgkmcnt(0)
	s_mul_i32 s2, s2, s8
	s_andn2_b64 vcc, exec, s[0:1]
	s_cbranch_vccnz .LBB124_3
.LBB124_2:
	s_mul_i32 s2, s10, s9
.LBB124_3:
	s_load_dwordx2 s[34:35], s[4:5], 0x30
	s_abs_i32 s1, s2
	s_waitcnt lgkmcnt(0)
	s_abs_i32 s0, s34
	v_cvt_f32_u32_e32 v1, s0
	s_sub_i32 s7, 0, s0
	s_xor_b32 s3, s2, s34
	s_ashr_i32 s3, s3, 31
	v_rcp_iflag_f32_e32 v1, v1
	v_mul_f32_e32 v1, 0x4f7ffffe, v1
	v_cvt_u32_f32_e32 v1, v1
	v_readfirstlane_b32 s8, v1
	s_mul_i32 s7, s7, s8
	s_mul_hi_u32 s7, s8, s7
	s_add_i32 s8, s8, s7
	s_mul_hi_u32 s7, s1, s8
	s_mul_i32 s8, s7, s0
	s_sub_i32 s1, s1, s8
	s_add_i32 s15, s7, 1
	s_sub_i32 s8, s1, s0
	s_cmp_ge_u32 s1, s0
	s_cselect_b32 s7, s15, s7
	s_cselect_b32 s1, s8, s1
	s_add_i32 s8, s7, 1
	s_cmp_ge_u32 s1, s0
	s_cselect_b32 s0, s8, s7
	s_xor_b32 s0, s0, s3
	s_sub_i32 s8, s0, s3
	s_mul_i32 s0, s8, s34
	s_sub_i32 s2, s2, s0
	s_cmp_lt_u32 s6, s2
	s_cselect_b64 s[0:1], -1, 0
	s_add_i32 s7, s8, 1
	s_cmp_ge_u32 s6, s2
	s_cbranch_scc0 .LBB124_5
; %bb.4:
	s_mul_i32 s3, s2, s7
	s_sub_i32 s2, s6, s2
	s_mul_i32 s2, s2, s8
	s_add_i32 s40, s2, s3
	s_cbranch_execz .LBB124_6
	s_branch .LBB124_7
.LBB124_5:
                                        ; implicit-def: $sgpr40
.LBB124_6:
	s_mul_i32 s40, s7, s6
.LBB124_7:
	v_cndmask_b32_e64 v1, 0, 1, s[0:1]
	v_readfirstlane_b32 s0, v1
	s_add_i32 s8, s8, s0
	s_cmp_lt_i32 s8, 1
	s_cbranch_scc1 .LBB124_35
; %bb.8:
	s_load_dwordx2 s[0:1], s[4:5], 0x20
	s_ashr_i32 s41, s40, 31
	s_lshl_b64 s[2:3], s[40:41], 2
	v_and_b32_e32 v1, 63, v0
	s_mov_b32 s27, 0x20000
	s_waitcnt lgkmcnt(0)
	s_add_u32 s24, s0, s2
	s_addc_u32 s0, s1, s3
	s_lshl_b32 s26, s8, 2
	s_and_b32 s25, s0, 0xffff
	v_lshlrev_b32_e32 v38, 2, v1
	buffer_load_dword v33, v38, s[24:27], 0 offen
	v_cmp_eq_u32_e32 vcc, 63, v1
	v_lshrrev_b32_e32 v1, 4, v0
	v_and_b32_e32 v35, 60, v1
	v_and_b32_e32 v1, 7, v0
	s_abs_i32 s33, s10
	v_lshlrev_b32_e32 v36, 2, v1
	v_cvt_f32_u32_e32 v1, s33
	s_add_i32 s2, s35, 15
	s_ashr_i32 s3, s2, 31
	s_lshr_b32 s3, s3, 28
	v_rcp_iflag_f32_e32 v1, v1
	s_add_i32 s2, s2, s3
	s_ashr_i32 s2, s2, 4
	v_lshlrev_b32_e32 v32, 5, v0
	v_lshlrev_b32_e32 v34, 6, v0
	v_cmp_eq_u32_e64 s[0:1], 0, v0
	v_cmp_gt_u32_e64 s[2:3], s2, v0
	v_lshlrev_b32_e32 v37, 4, v0
	v_mul_f32_e32 v0, 0x4f7ffffe, v1
	s_load_dwordx8 s[16:23], s[4:5], 0x0
	s_add_i32 s4, s35, 3
	v_cvt_u32_f32_e32 v0, v0
	s_ashr_i32 s5, s4, 31
	s_lshr_b32 s5, s5, 30
	s_add_i32 s4, s4, s5
	s_and_b32 s38, s4, -4
	s_sub_i32 s4, 0, s33
	v_readfirstlane_b32 s42, v0
	s_mul_i32 s4, s4, s42
	s_mul_hi_u32 s4, s42, s4
	s_lshl_b32 s6, s35, 1
	s_lshl_b32 s30, s35, 2
	s_ashr_i32 s34, s10, 31
	s_add_i32 s42, s42, s4
	s_mov_b32 s15, s35
	s_waitcnt vmcnt(0) lgkmcnt(0)
	s_barrier
	v_readlane_b32 s28, v33, 0
	s_cmp_lt_i32 s28, 0
	s_cbranch_scc1 .LBB124_12
; %bb.9:
	s_abs_i32 s27, s40
	s_mul_hi_u32 s4, s27, s42
	s_mul_i32 s7, s4, s33
	s_sub_i32 s7, s27, s7
	s_xor_b32 s5, s41, s34
	s_add_i32 s29, s4, 1
	s_sub_i32 s31, s7, s33
	s_cmp_ge_u32 s7, s33
	s_cselect_b32 s4, s29, s4
	s_cselect_b32 s7, s31, s7
	s_add_i32 s29, s4, 1
	s_cmp_ge_u32 s7, s33
	s_cselect_b32 s4, s29, s4
	s_xor_b32 s4, s4, s5
	s_sub_i32 s4, s4, s5
	s_mul_i32 s5, s4, s10
	s_sub_i32 s5, s40, s5
	s_mul_i32 s5, s5, s12
	s_mul_i32 s4, s4, s11
	s_add_i32 s43, s5, s4
	s_cmp_eq_u32 s43, -1
	s_cbranch_scc1 .LBB124_13
; %bb.10:
	s_mul_hi_i32 s5, s43, s15
	s_mul_i32 s4, s43, s15
	s_lshl_b64 s[4:5], s[4:5], 1
	s_add_u32 s4, s20, s4
	s_addc_u32 s5, s21, s5
	s_and_b32 s5, s5, 0xffff
	s_mov_b32 s7, 0x20000
	buffer_load_dwordx4 v[4:7], v32, s[4:7], 0 offen
	buffer_load_dwordx4 v[12:15], v32, s[4:7], 16 offen
	s_waitcnt vmcnt(1)
	v_cvt_f32_f16_e32 v0, v4
	v_cvt_f32_f16_sdwa v1, v4 dst_sel:DWORD dst_unused:UNUSED_PAD src0_sel:WORD_1
	v_cvt_f32_f16_e32 v2, v5
	v_cvt_f32_f16_sdwa v3, v5 dst_sel:DWORD dst_unused:UNUSED_PAD src0_sel:WORD_1
	;; [unrolled: 2-line block ×4, first 2 shown]
	s_waitcnt vmcnt(0)
	v_cvt_f32_f16_e32 v8, v12
	v_cvt_f32_f16_sdwa v9, v12 dst_sel:DWORD dst_unused:UNUSED_PAD src0_sel:WORD_1
	v_cvt_f32_f16_e32 v10, v13
	v_cvt_f32_f16_sdwa v11, v13 dst_sel:DWORD dst_unused:UNUSED_PAD src0_sel:WORD_1
	;; [unrolled: 2-line block ×4, first 2 shown]
	s_branch .LBB124_14
.LBB124_11:
                                        ; implicit-def: $sgpr2
	s_branch .LBB124_2
.LBB124_12:
	s_mov_b32 s43, -1
                                        ; implicit-def: $vgpr0_vgpr1_vgpr2_vgpr3_vgpr4_vgpr5_vgpr6_vgpr7_vgpr8_vgpr9_vgpr10_vgpr11_vgpr12_vgpr13_vgpr14_vgpr15
	s_cmp_eq_u32 s8, 1
	s_mov_b32 s41, 1
	s_cbranch_scc0 .LBB124_21
	s_branch .LBB124_35
.LBB124_13:
                                        ; implicit-def: $vgpr0_vgpr1_vgpr2_vgpr3_vgpr4_vgpr5_vgpr6_vgpr7_vgpr8_vgpr9_vgpr10_vgpr11_vgpr12_vgpr13_vgpr14_vgpr15
.LBB124_14:
	s_mul_i32 s4, s28, s35
	s_ashr_i32 s5, s4, 31
	s_lshl_b64 s[4:5], s[4:5], 2
	s_add_u32 s28, s22, s4
	s_addc_u32 s4, s23, s5
	s_and_b32 s29, s4, 0xffff
	s_mov_b32 s31, 0x20000
	buffer_load_dwordx4 v[16:19], v34, s[28:31], 0 offen
	buffer_load_dwordx4 v[20:23], v34, s[28:31], 16 offen
	;; [unrolled: 1-line block ×4, first 2 shown]
	s_mov_b32 s4, 0x2edbe6ff
	s_waitcnt vmcnt(3)
	v_pk_mul_f32 v[16:17], v[0:1], v[16:17]
	v_pk_mul_f32 v[18:19], v[2:3], v[18:19]
	v_max3_f32 v39, |v16|, s4, |v17|
	s_waitcnt vmcnt(2)
	v_pk_mul_f32 v[20:21], v[4:5], v[20:21]
	v_max3_f32 v39, v39, |v18|, |v19|
	v_pk_mul_f32 v[22:23], v[6:7], v[22:23]
	v_max3_f32 v39, v39, |v20|, |v21|
	s_waitcnt vmcnt(1)
	v_pk_mul_f32 v[24:25], v[8:9], v[24:25]
	v_max3_f32 v39, v39, |v22|, |v23|
	v_pk_mul_f32 v[26:27], v[10:11], v[26:27]
	v_max3_f32 v39, v39, |v24|, |v25|
	s_waitcnt vmcnt(0)
	v_pk_mul_f32 v[28:29], v[12:13], v[28:29]
	v_max3_f32 v39, v39, |v26|, |v27|
	v_pk_mul_f32 v[30:31], v[14:15], v[30:31]
	v_max3_f32 v39, v39, |v28|, |v29|
	v_max3_f32 v39, v39, |v30|, |v31|
	s_nop 1
	v_mov_b32_dpp v40, v39 quad_perm:[1,0,3,2] row_mask:0xf bank_mask:0xf
	v_cmp_gt_f32_e64 s[4:5], v39, v40
	v_cndmask_b32_e64 v39, v40, v39, s[4:5]
	s_nop 1
	v_mov_b32_dpp v40, v39 quad_perm:[2,3,0,1] row_mask:0xf bank_mask:0xf
	v_cmp_gt_f32_e64 s[4:5], v39, v40
	v_cndmask_b32_e64 v39, v40, v39, s[4:5]
	s_nop 1
	v_mov_b32_dpp v40, v39 row_half_mirror row_mask:0xf bank_mask:0xf
	v_cmp_gt_f32_e64 s[4:5], v39, v40
	v_cndmask_b32_e64 v39, v40, v39, s[4:5]
	s_nop 1
	v_mov_b32_dpp v40, v39 row_mirror row_mask:0xf bank_mask:0xf
	v_cmp_gt_f32_e64 s[4:5], v39, v40
	v_cndmask_b32_e64 v39, v40, v39, s[4:5]
	s_nop 1
	v_mov_b32_dpp v40, v39 row_bcast:15 row_mask:0xf bank_mask:0xf
	v_cmp_gt_f32_e64 s[4:5], v39, v40
	v_cndmask_b32_e64 v39, v40, v39, s[4:5]
	s_nop 1
	v_mov_b32_dpp v40, v39 row_bcast:31 row_mask:0xf bank_mask:0xf
	s_and_saveexec_b64 s[28:29], vcc
	s_cbranch_execz .LBB124_16
; %bb.15:
	v_cmp_gt_f32_e64 s[4:5], v39, v40
	v_cndmask_b32_e64 v39, v40, v39, s[4:5]
	ds_write_b32 v35, v39
.LBB124_16:
	s_or_b64 exec, exec, s[28:29]
	s_waitcnt lgkmcnt(0)
	s_barrier
	ds_read_b32 v39, v36
	s_abs_i32 s7, s9
	v_cvt_f32_u32_e32 v41, s7
	s_waitcnt lgkmcnt(0)
	v_mov_b32_dpp v40, v39 quad_perm:[1,0,3,2] row_mask:0xf bank_mask:0xf
	v_cmp_gt_f32_e64 s[4:5], v39, v40
	v_cndmask_b32_e64 v39, v40, v39, s[4:5]
	v_rcp_iflag_f32_e32 v41, v41
	s_nop 0
	v_mov_b32_dpp v40, v39 quad_perm:[2,3,0,1] row_mask:0xf bank_mask:0xf
	v_cmp_gt_f32_e64 s[4:5], v39, v40
	v_cndmask_b32_e64 v39, v40, v39, s[4:5]
	s_nop 1
	v_mov_b32_dpp v40, v39 row_half_mirror row_mask:0xf bank_mask:0xf
	v_cmp_gt_f32_e64 s[4:5], v39, v40
	v_cndmask_b32_e64 v39, v40, v39, s[4:5]
	v_mul_f32_e32 v40, 0x4f7ffffe, v41
	v_cvt_u32_f32_e32 v40, v40
	s_sub_i32 s5, 0, s7
	s_ashr_i32 s4, s9, 31
	s_xor_b32 s4, s41, s4
	v_readfirstlane_b32 s28, v40
	s_mul_i32 s5, s5, s28
	s_mul_hi_u32 s5, s28, s5
	s_add_i32 s28, s28, s5
	s_mul_hi_u32 s5, s27, s28
	s_mul_i32 s28, s5, s7
	s_sub_i32 s27, s27, s28
	s_add_i32 s28, s5, 1
	s_sub_i32 s29, s27, s7
	s_cmp_ge_u32 s27, s7
	s_cselect_b32 s5, s28, s5
	s_cselect_b32 s27, s29, s27
	s_add_i32 s28, s5, 1
	s_cmp_ge_u32 s27, s7
	s_cselect_b32 s5, s28, s5
	s_xor_b32 s5, s5, s4
	s_sub_i32 s4, s5, s4
	s_mul_i32 s5, s4, s9
	s_sub_i32 s5, s40, s5
	s_mul_i32 s5, s5, s14
	s_mul_i32 s4, s4, s13
	v_mul_f32_e32 v39, 0x3c010204, v39
	s_add_i32 s28, s5, s4
	s_and_saveexec_b64 s[4:5], s[0:1]
	s_cbranch_execz .LBB124_18
; %bb.17:
	s_ashr_i32 s29, s28, 31
	s_lshl_b64 s[36:37], s[28:29], 2
	s_add_u32 s36, s18, s36
	s_addc_u32 s37, s19, s37
	v_mov_b32_e32 v40, 0
	global_store_dword v40, v39, s[36:37]
.LBB124_18:
	s_or_b64 exec, exec, s[4:5]
	s_and_saveexec_b64 s[4:5], s[2:3]
	s_cbranch_execz .LBB124_20
; %bb.19:
	v_rcp_f32_e32 v40, v39
	s_mul_i32 s27, s28, s15
	s_mul_hi_i32 s7, s28, s15
	s_add_u32 s36, s16, s27
	v_mov_b32_e32 v41, v40
	;;#ASMSTART
	v_pk_mul_f32 v[16:17], v[16:17], v[40:41]
	;;#ASMEND
	v_cvt_i32_f32_e32 v39, v16
	v_cvt_i32_f32_sdwa v42, v17 dst_sel:BYTE_1 dst_unused:UNUSED_PAD src0_sel:DWORD
	;;#ASMSTART
	v_pk_mul_f32 v[16:17], v[18:19], v[40:41]
	;;#ASMEND
	v_cvt_i32_f32_e32 v18, v16
	v_cvt_i32_f32_sdwa v19, v17 dst_sel:BYTE_1 dst_unused:UNUSED_PAD src0_sel:DWORD
	;; [unrolled: 5-line block ×8, first 2 shown]
	v_or_b32_sdwa v16, v39, v42 dst_sel:DWORD dst_unused:UNUSED_PAD src0_sel:BYTE_0 src1_sel:DWORD
	v_or_b32_sdwa v17, v18, v19 dst_sel:WORD_1 dst_unused:UNUSED_PAD src0_sel:BYTE_0 src1_sel:DWORD
	v_or_b32_sdwa v16, v16, v17 dst_sel:DWORD dst_unused:UNUSED_PAD src0_sel:WORD_0 src1_sel:DWORD
	v_or_b32_sdwa v17, v20, v21 dst_sel:DWORD dst_unused:UNUSED_PAD src0_sel:BYTE_0 src1_sel:DWORD
	v_or_b32_sdwa v18, v22, v23 dst_sel:WORD_1 dst_unused:UNUSED_PAD src0_sel:BYTE_0 src1_sel:DWORD
	v_or_b32_sdwa v17, v17, v18 dst_sel:DWORD dst_unused:UNUSED_PAD src0_sel:WORD_0 src1_sel:DWORD
	v_or_b32_sdwa v18, v24, v25 dst_sel:DWORD dst_unused:UNUSED_PAD src0_sel:BYTE_0 src1_sel:DWORD
	v_or_b32_sdwa v19, v26, v27 dst_sel:WORD_1 dst_unused:UNUSED_PAD src0_sel:BYTE_0 src1_sel:DWORD
	s_addc_u32 s7, s17, s7
	v_or_b32_sdwa v18, v18, v19 dst_sel:DWORD dst_unused:UNUSED_PAD src0_sel:WORD_0 src1_sel:DWORD
	v_or_b32_sdwa v19, v28, v29 dst_sel:DWORD dst_unused:UNUSED_PAD src0_sel:BYTE_0 src1_sel:DWORD
	v_or_b32_sdwa v20, v30, v31 dst_sel:WORD_1 dst_unused:UNUSED_PAD src0_sel:BYTE_0 src1_sel:DWORD
	s_and_b32 s37, s7, 0xffff
	s_mov_b32 s39, 0x20000
	v_or_b32_sdwa v19, v19, v20 dst_sel:DWORD dst_unused:UNUSED_PAD src0_sel:WORD_0 src1_sel:DWORD
	buffer_store_dwordx4 v[16:19], v37, s[36:39], 0 offen
	;;#ASMSTART
	s_nop 0
	;;#ASMEND
.LBB124_20:
	s_or_b64 exec, exec, s[4:5]
	s_cmp_eq_u32 s8, 1
	s_mov_b32 s41, 1
	s_cbranch_scc1 .LBB124_35
.LBB124_21:
	s_abs_i32 s44, s9
	v_cvt_f32_u32_e32 v16, s44
	s_sub_i32 s4, 0, s44
	s_ashr_i32 s45, s9, 31
	v_add_u32_e32 v38, 4, v38
	v_rcp_iflag_f32_e32 v16, v16
	s_mov_b32 s31, 0x20000
	s_mov_b32 s46, 0x2edbe6ff
	v_mov_b32_e32 v39, 0
	v_mul_f32_e32 v16, 0x4f7ffffe, v16
	v_cvt_u32_f32_e32 v16, v16
	v_readfirstlane_b32 s5, v16
	s_mul_i32 s4, s4, s5
	s_mul_hi_u32 s4, s5, s4
	s_add_i32 s47, s5, s4
	s_branch .LBB124_24
.LBB124_22:                             ;   in Loop: Header=BB124_24 Depth=1
	s_or_b64 exec, exec, s[4:5]
.LBB124_23:                             ;   in Loop: Header=BB124_24 Depth=1
	s_add_i32 s41, s41, 1
	s_cmp_eq_u32 s8, s41
	v_add_u32_e32 v38, 4, v38
	s_cbranch_scc1 .LBB124_35
.LBB124_24:                             ; =>This Inner Loop Header: Depth=1
	s_and_b32 s4, s41, 63
	s_cmp_lg_u32 s4, 0
	s_cbranch_scc1 .LBB124_26
; %bb.25:                               ;   in Loop: Header=BB124_24 Depth=1
	s_mov_b32 s27, s31
	buffer_load_dword v33, v38, s[24:27], 0 offen
	s_waitcnt vmcnt(0)
.LBB124_26:                             ;   in Loop: Header=BB124_24 Depth=1
	v_readlane_b32 s28, v33, s4
	s_cmp_lt_i32 s28, 0
	s_cbranch_scc1 .LBB124_23
; %bb.27:                               ;   in Loop: Header=BB124_24 Depth=1
	s_add_i32 s27, s40, s41
	s_abs_i32 s36, s27
	s_mul_hi_u32 s5, s36, s42
	s_mul_i32 s7, s5, s33
	s_ashr_i32 s37, s27, 31
	s_sub_i32 s7, s36, s7
	s_xor_b32 s4, s37, s34
	s_add_i32 s29, s5, 1
	s_sub_i32 s39, s7, s33
	s_cmp_ge_u32 s7, s33
	s_cselect_b32 s5, s29, s5
	s_cselect_b32 s7, s39, s7
	s_add_i32 s29, s5, 1
	s_cmp_ge_u32 s7, s33
	s_cselect_b32 s5, s29, s5
	s_xor_b32 s5, s5, s4
	s_sub_i32 s4, s5, s4
	s_mul_i32 s5, s4, s10
	s_sub_i32 s5, s27, s5
	s_mul_i32 s29, s5, s12
	s_mul_i32 s4, s4, s11
	s_add_i32 s29, s29, s4
	s_cmp_eq_u32 s29, s43
	s_cbranch_scc1 .LBB124_29
; %bb.28:                               ;   in Loop: Header=BB124_24 Depth=1
	s_mul_hi_i32 s5, s29, s15
	s_mul_i32 s4, s29, s15
	s_lshl_b64 s[4:5], s[4:5], 1
	s_add_u32 s4, s20, s4
	s_addc_u32 s5, s21, s5
	s_and_b32 s5, s5, 0xffff
	s_mov_b32 s7, s31
	buffer_load_dwordx4 v[4:7], v32, s[4:7], 0 offen
	buffer_load_dwordx4 v[12:15], v32, s[4:7], 16 offen
	s_mov_b32 s43, s29
	s_waitcnt vmcnt(1)
	v_cvt_f32_f16_e32 v0, v4
	v_cvt_f32_f16_sdwa v1, v4 dst_sel:DWORD dst_unused:UNUSED_PAD src0_sel:WORD_1
	v_cvt_f32_f16_e32 v2, v5
	v_cvt_f32_f16_sdwa v3, v5 dst_sel:DWORD dst_unused:UNUSED_PAD src0_sel:WORD_1
	;; [unrolled: 2-line block ×4, first 2 shown]
	s_waitcnt vmcnt(0)
	v_cvt_f32_f16_e32 v8, v12
	v_cvt_f32_f16_sdwa v9, v12 dst_sel:DWORD dst_unused:UNUSED_PAD src0_sel:WORD_1
	v_cvt_f32_f16_e32 v10, v13
	v_cvt_f32_f16_sdwa v11, v13 dst_sel:DWORD dst_unused:UNUSED_PAD src0_sel:WORD_1
	;; [unrolled: 2-line block ×4, first 2 shown]
.LBB124_29:                             ;   in Loop: Header=BB124_24 Depth=1
	s_mul_i32 s4, s28, s35
	s_ashr_i32 s5, s4, 31
	s_lshl_b64 s[4:5], s[4:5], 2
	s_add_u32 s28, s22, s4
	s_addc_u32 s4, s23, s5
	s_and_b32 s29, s4, 0xffff
	buffer_load_dwordx4 v[16:19], v34, s[28:31], 0 offen
	buffer_load_dwordx4 v[20:23], v34, s[28:31], 16 offen
	;; [unrolled: 1-line block ×4, first 2 shown]
	s_waitcnt vmcnt(3)
	v_pk_mul_f32 v[16:17], v[0:1], v[16:17]
	v_pk_mul_f32 v[18:19], v[2:3], v[18:19]
	v_max3_f32 v40, |v16|, s46, |v17|
	s_waitcnt vmcnt(2)
	v_pk_mul_f32 v[20:21], v[4:5], v[20:21]
	v_max3_f32 v40, v40, |v18|, |v19|
	v_pk_mul_f32 v[22:23], v[6:7], v[22:23]
	v_max3_f32 v40, v40, |v20|, |v21|
	s_waitcnt vmcnt(1)
	v_pk_mul_f32 v[24:25], v[8:9], v[24:25]
	v_max3_f32 v40, v40, |v22|, |v23|
	v_pk_mul_f32 v[26:27], v[10:11], v[26:27]
	v_max3_f32 v40, v40, |v24|, |v25|
	;; [unrolled: 5-line block ×3, first 2 shown]
	v_max3_f32 v40, v40, |v30|, |v31|
	s_nop 1
	v_mov_b32_dpp v41, v40 quad_perm:[1,0,3,2] row_mask:0xf bank_mask:0xf
	v_cmp_gt_f32_e64 s[4:5], v40, v41
	v_cndmask_b32_e64 v40, v41, v40, s[4:5]
	s_nop 1
	v_mov_b32_dpp v41, v40 quad_perm:[2,3,0,1] row_mask:0xf bank_mask:0xf
	v_cmp_gt_f32_e64 s[4:5], v40, v41
	v_cndmask_b32_e64 v40, v41, v40, s[4:5]
	s_nop 1
	v_mov_b32_dpp v41, v40 row_half_mirror row_mask:0xf bank_mask:0xf
	v_cmp_gt_f32_e64 s[4:5], v40, v41
	v_cndmask_b32_e64 v40, v41, v40, s[4:5]
	s_nop 1
	v_mov_b32_dpp v41, v40 row_mirror row_mask:0xf bank_mask:0xf
	v_cmp_gt_f32_e64 s[4:5], v40, v41
	v_cndmask_b32_e64 v40, v41, v40, s[4:5]
	s_nop 1
	v_mov_b32_dpp v41, v40 row_bcast:15 row_mask:0xf bank_mask:0xf
	v_cmp_gt_f32_e64 s[4:5], v40, v41
	v_cndmask_b32_e64 v40, v41, v40, s[4:5]
	s_nop 1
	v_mov_b32_dpp v41, v40 row_bcast:31 row_mask:0xf bank_mask:0xf
	s_and_saveexec_b64 s[28:29], vcc
	s_cbranch_execz .LBB124_31
; %bb.30:                               ;   in Loop: Header=BB124_24 Depth=1
	v_cmp_gt_f32_e64 s[4:5], v40, v41
	v_cndmask_b32_e64 v40, v41, v40, s[4:5]
	ds_write_b32 v35, v40
.LBB124_31:                             ;   in Loop: Header=BB124_24 Depth=1
	s_or_b64 exec, exec, s[28:29]
	s_waitcnt lgkmcnt(0)
	s_barrier
	ds_read_b32 v40, v36
	s_waitcnt lgkmcnt(0)
	s_nop 0
	v_mov_b32_dpp v41, v40 quad_perm:[1,0,3,2] row_mask:0xf bank_mask:0xf
	v_cmp_gt_f32_e64 s[4:5], v40, v41
	v_cndmask_b32_e64 v40, v41, v40, s[4:5]
	s_nop 1
	v_mov_b32_dpp v41, v40 quad_perm:[2,3,0,1] row_mask:0xf bank_mask:0xf
	v_cmp_gt_f32_e64 s[4:5], v40, v41
	v_cndmask_b32_e64 v40, v41, v40, s[4:5]
	s_nop 1
	v_mov_b32_dpp v41, v40 row_half_mirror row_mask:0xf bank_mask:0xf
	v_cmp_gt_f32_e64 s[4:5], v40, v41
	v_cndmask_b32_e64 v40, v41, v40, s[4:5]
	s_mul_hi_u32 s5, s36, s47
	s_mul_i32 s7, s5, s44
	s_sub_i32 s7, s36, s7
	s_xor_b32 s4, s37, s45
	s_add_i32 s28, s5, 1
	s_sub_i32 s29, s7, s44
	s_cmp_ge_u32 s7, s44
	s_cselect_b32 s5, s28, s5
	s_cselect_b32 s7, s29, s7
	s_add_i32 s28, s5, 1
	s_cmp_ge_u32 s7, s44
	s_cselect_b32 s5, s28, s5
	s_xor_b32 s5, s5, s4
	s_sub_i32 s4, s5, s4
	s_mul_i32 s5, s4, s9
	s_sub_i32 s5, s27, s5
	s_mul_i32 s5, s5, s14
	s_mul_i32 s4, s4, s13
	v_mul_f32_e32 v40, 0x3c010204, v40
	s_add_i32 s28, s5, s4
	s_and_saveexec_b64 s[4:5], s[0:1]
	s_cbranch_execz .LBB124_33
; %bb.32:                               ;   in Loop: Header=BB124_24 Depth=1
	s_ashr_i32 s29, s28, 31
	s_lshl_b64 s[36:37], s[28:29], 2
	s_add_u32 s36, s18, s36
	s_addc_u32 s37, s19, s37
	global_store_dword v39, v40, s[36:37]
.LBB124_33:                             ;   in Loop: Header=BB124_24 Depth=1
	s_or_b64 exec, exec, s[4:5]
	s_and_saveexec_b64 s[4:5], s[2:3]
	s_cbranch_execz .LBB124_22
; %bb.34:                               ;   in Loop: Header=BB124_24 Depth=1
	v_rcp_f32_e32 v40, v40
	s_mul_i32 s27, s28, s15
	s_mul_hi_i32 s7, s28, s15
	s_add_u32 s36, s16, s27
	v_mov_b32_e32 v41, v40
	;;#ASMSTART
	v_pk_mul_f32 v[16:17], v[16:17], v[40:41]
	;;#ASMEND
	v_cvt_i32_f32_e32 v42, v16
	v_cvt_i32_f32_sdwa v43, v17 dst_sel:BYTE_1 dst_unused:UNUSED_PAD src0_sel:DWORD
	;;#ASMSTART
	v_pk_mul_f32 v[16:17], v[18:19], v[40:41]
	;;#ASMEND
	v_cvt_i32_f32_e32 v18, v16
	v_cvt_i32_f32_sdwa v19, v17 dst_sel:BYTE_1 dst_unused:UNUSED_PAD src0_sel:DWORD
	;; [unrolled: 5-line block ×8, first 2 shown]
	v_or_b32_sdwa v16, v42, v43 dst_sel:DWORD dst_unused:UNUSED_PAD src0_sel:BYTE_0 src1_sel:DWORD
	v_or_b32_sdwa v17, v18, v19 dst_sel:WORD_1 dst_unused:UNUSED_PAD src0_sel:BYTE_0 src1_sel:DWORD
	v_or_b32_sdwa v16, v16, v17 dst_sel:DWORD dst_unused:UNUSED_PAD src0_sel:WORD_0 src1_sel:DWORD
	v_or_b32_sdwa v17, v20, v21 dst_sel:DWORD dst_unused:UNUSED_PAD src0_sel:BYTE_0 src1_sel:DWORD
	v_or_b32_sdwa v18, v22, v23 dst_sel:WORD_1 dst_unused:UNUSED_PAD src0_sel:BYTE_0 src1_sel:DWORD
	v_or_b32_sdwa v17, v17, v18 dst_sel:DWORD dst_unused:UNUSED_PAD src0_sel:WORD_0 src1_sel:DWORD
	v_or_b32_sdwa v18, v24, v25 dst_sel:DWORD dst_unused:UNUSED_PAD src0_sel:BYTE_0 src1_sel:DWORD
	v_or_b32_sdwa v19, v26, v27 dst_sel:WORD_1 dst_unused:UNUSED_PAD src0_sel:BYTE_0 src1_sel:DWORD
	s_addc_u32 s7, s17, s7
	v_or_b32_sdwa v18, v18, v19 dst_sel:DWORD dst_unused:UNUSED_PAD src0_sel:WORD_0 src1_sel:DWORD
	v_or_b32_sdwa v19, v28, v29 dst_sel:DWORD dst_unused:UNUSED_PAD src0_sel:BYTE_0 src1_sel:DWORD
	v_or_b32_sdwa v20, v30, v31 dst_sel:WORD_1 dst_unused:UNUSED_PAD src0_sel:BYTE_0 src1_sel:DWORD
	s_and_b32 s37, s7, 0xffff
	s_mov_b32 s39, s31
	v_or_b32_sdwa v19, v19, v20 dst_sel:DWORD dst_unused:UNUSED_PAD src0_sel:WORD_0 src1_sel:DWORD
	buffer_store_dwordx4 v[16:19], v37, s[36:39], 0 offen
	;;#ASMSTART
	s_nop 0
	;;#ASMEND
	s_branch .LBB124_22
.LBB124_35:
	s_endpgm
	.section	.rodata,"a",@progbits
	.p2align	6, 0x0
	.amdhsa_kernel _ZN5aiter36smooth_per_token_scaled_quant_kernelIDF16_aLi512ELi16ELb1ELb1ELb0ELi1024EEEvPT0_PfPT_S3_PiS6_iiPKiiiiiiiii
		.amdhsa_group_segment_fixed_size 32
		.amdhsa_private_segment_fixed_size 0
		.amdhsa_kernarg_size 96
		.amdhsa_user_sgpr_count 6
		.amdhsa_user_sgpr_private_segment_buffer 1
		.amdhsa_user_sgpr_dispatch_ptr 0
		.amdhsa_user_sgpr_queue_ptr 0
		.amdhsa_user_sgpr_kernarg_segment_ptr 1
		.amdhsa_user_sgpr_dispatch_id 0
		.amdhsa_user_sgpr_flat_scratch_init 0
		.amdhsa_user_sgpr_kernarg_preload_length 0
		.amdhsa_user_sgpr_kernarg_preload_offset 0
		.amdhsa_user_sgpr_private_segment_size 0
		.amdhsa_uses_dynamic_stack 0
		.amdhsa_system_sgpr_private_segment_wavefront_offset 0
		.amdhsa_system_sgpr_workgroup_id_x 1
		.amdhsa_system_sgpr_workgroup_id_y 0
		.amdhsa_system_sgpr_workgroup_id_z 0
		.amdhsa_system_sgpr_workgroup_info 0
		.amdhsa_system_vgpr_workitem_id 0
		.amdhsa_next_free_vgpr 44
		.amdhsa_next_free_sgpr 48
		.amdhsa_accum_offset 44
		.amdhsa_reserve_vcc 1
		.amdhsa_reserve_flat_scratch 0
		.amdhsa_float_round_mode_32 0
		.amdhsa_float_round_mode_16_64 0
		.amdhsa_float_denorm_mode_32 3
		.amdhsa_float_denorm_mode_16_64 3
		.amdhsa_dx10_clamp 1
		.amdhsa_ieee_mode 1
		.amdhsa_fp16_overflow 0
		.amdhsa_tg_split 0
		.amdhsa_exception_fp_ieee_invalid_op 0
		.amdhsa_exception_fp_denorm_src 0
		.amdhsa_exception_fp_ieee_div_zero 0
		.amdhsa_exception_fp_ieee_overflow 0
		.amdhsa_exception_fp_ieee_underflow 0
		.amdhsa_exception_fp_ieee_inexact 0
		.amdhsa_exception_int_div_zero 0
	.end_amdhsa_kernel
	.section	.text._ZN5aiter36smooth_per_token_scaled_quant_kernelIDF16_aLi512ELi16ELb1ELb1ELb0ELi1024EEEvPT0_PfPT_S3_PiS6_iiPKiiiiiiiii,"axG",@progbits,_ZN5aiter36smooth_per_token_scaled_quant_kernelIDF16_aLi512ELi16ELb1ELb1ELb0ELi1024EEEvPT0_PfPT_S3_PiS6_iiPKiiiiiiiii,comdat
.Lfunc_end124:
	.size	_ZN5aiter36smooth_per_token_scaled_quant_kernelIDF16_aLi512ELi16ELb1ELb1ELb0ELi1024EEEvPT0_PfPT_S3_PiS6_iiPKiiiiiiiii, .Lfunc_end124-_ZN5aiter36smooth_per_token_scaled_quant_kernelIDF16_aLi512ELi16ELb1ELb1ELb0ELi1024EEEvPT0_PfPT_S3_PiS6_iiPKiiiiiiiii
                                        ; -- End function
	.section	.AMDGPU.csdata,"",@progbits
; Kernel info:
; codeLenInByte = 3124
; NumSgprs: 52
; NumVgprs: 44
; NumAgprs: 0
; TotalNumVgprs: 44
; ScratchSize: 0
; MemoryBound: 0
; FloatMode: 240
; IeeeMode: 1
; LDSByteSize: 32 bytes/workgroup (compile time only)
; SGPRBlocks: 6
; VGPRBlocks: 5
; NumSGPRsForWavesPerEU: 52
; NumVGPRsForWavesPerEU: 44
; AccumOffset: 44
; Occupancy: 8
; WaveLimiterHint : 0
; COMPUTE_PGM_RSRC2:SCRATCH_EN: 0
; COMPUTE_PGM_RSRC2:USER_SGPR: 6
; COMPUTE_PGM_RSRC2:TRAP_HANDLER: 0
; COMPUTE_PGM_RSRC2:TGID_X_EN: 1
; COMPUTE_PGM_RSRC2:TGID_Y_EN: 0
; COMPUTE_PGM_RSRC2:TGID_Z_EN: 0
; COMPUTE_PGM_RSRC2:TIDIG_COMP_CNT: 0
; COMPUTE_PGM_RSRC3_GFX90A:ACCUM_OFFSET: 10
; COMPUTE_PGM_RSRC3_GFX90A:TG_SPLIT: 0
	.section	.text._ZN5aiter36smooth_per_token_scaled_quant_kernelItaLi512ELi16ELb1ELb1ELb0ELi1024EEEvPT0_PfPT_S3_PiS6_iiPKiiiiiiiii,"axG",@progbits,_ZN5aiter36smooth_per_token_scaled_quant_kernelItaLi512ELi16ELb1ELb1ELb0ELi1024EEEvPT0_PfPT_S3_PiS6_iiPKiiiiiiiii,comdat
	.protected	_ZN5aiter36smooth_per_token_scaled_quant_kernelItaLi512ELi16ELb1ELb1ELb0ELi1024EEEvPT0_PfPT_S3_PiS6_iiPKiiiiiiiii ; -- Begin function _ZN5aiter36smooth_per_token_scaled_quant_kernelItaLi512ELi16ELb1ELb1ELb0ELi1024EEEvPT0_PfPT_S3_PiS6_iiPKiiiiiiiii
	.globl	_ZN5aiter36smooth_per_token_scaled_quant_kernelItaLi512ELi16ELb1ELb1ELb0ELi1024EEEvPT0_PfPT_S3_PiS6_iiPKiiiiiiiii
	.p2align	8
	.type	_ZN5aiter36smooth_per_token_scaled_quant_kernelItaLi512ELi16ELb1ELb1ELb0ELi1024EEEvPT0_PfPT_S3_PiS6_iiPKiiiiiiiii,@function
_ZN5aiter36smooth_per_token_scaled_quant_kernelItaLi512ELi16ELb1ELb1ELb0ELi1024EEEvPT0_PfPT_S3_PiS6_iiPKiiiiiiiii: ; @_ZN5aiter36smooth_per_token_scaled_quant_kernelItaLi512ELi16ELb1ELb1ELb0ELi1024EEEvPT0_PfPT_S3_PiS6_iiPKiiiiiiiii
; %bb.0:
	s_load_dwordx2 s[2:3], s[4:5], 0x38
	s_load_dwordx8 s[8:15], s[4:5], 0x40
	s_mov_b64 s[0:1], 0
	s_waitcnt lgkmcnt(0)
	s_cmp_lg_u64 s[2:3], 0
	s_cbranch_scc0 .LBB125_11
; %bb.1:
	s_load_dword s2, s[2:3], 0x0
	s_waitcnt lgkmcnt(0)
	s_mul_i32 s2, s2, s8
	s_andn2_b64 vcc, exec, s[0:1]
	s_cbranch_vccnz .LBB125_3
.LBB125_2:
	s_mul_i32 s2, s10, s9
.LBB125_3:
	s_load_dwordx2 s[34:35], s[4:5], 0x30
	s_abs_i32 s1, s2
	s_waitcnt lgkmcnt(0)
	s_abs_i32 s0, s34
	v_cvt_f32_u32_e32 v1, s0
	s_sub_i32 s7, 0, s0
	s_xor_b32 s3, s2, s34
	s_ashr_i32 s3, s3, 31
	v_rcp_iflag_f32_e32 v1, v1
	v_mul_f32_e32 v1, 0x4f7ffffe, v1
	v_cvt_u32_f32_e32 v1, v1
	v_readfirstlane_b32 s8, v1
	s_mul_i32 s7, s7, s8
	s_mul_hi_u32 s7, s8, s7
	s_add_i32 s8, s8, s7
	s_mul_hi_u32 s7, s1, s8
	s_mul_i32 s8, s7, s0
	s_sub_i32 s1, s1, s8
	s_add_i32 s15, s7, 1
	s_sub_i32 s8, s1, s0
	s_cmp_ge_u32 s1, s0
	s_cselect_b32 s7, s15, s7
	s_cselect_b32 s1, s8, s1
	s_add_i32 s8, s7, 1
	s_cmp_ge_u32 s1, s0
	s_cselect_b32 s0, s8, s7
	s_xor_b32 s0, s0, s3
	s_sub_i32 s8, s0, s3
	s_mul_i32 s0, s8, s34
	s_sub_i32 s2, s2, s0
	s_cmp_lt_u32 s6, s2
	s_cselect_b64 s[0:1], -1, 0
	s_add_i32 s7, s8, 1
	s_cmp_ge_u32 s6, s2
	s_cbranch_scc0 .LBB125_5
; %bb.4:
	s_mul_i32 s3, s2, s7
	s_sub_i32 s2, s6, s2
	s_mul_i32 s2, s2, s8
	s_add_i32 s40, s2, s3
	s_cbranch_execz .LBB125_6
	s_branch .LBB125_7
.LBB125_5:
                                        ; implicit-def: $sgpr40
.LBB125_6:
	s_mul_i32 s40, s7, s6
.LBB125_7:
	v_cndmask_b32_e64 v1, 0, 1, s[0:1]
	v_readfirstlane_b32 s0, v1
	s_add_i32 s8, s8, s0
	s_cmp_lt_i32 s8, 1
	s_cbranch_scc1 .LBB125_35
; %bb.8:
	s_load_dwordx2 s[0:1], s[4:5], 0x20
	s_ashr_i32 s41, s40, 31
	s_lshl_b64 s[2:3], s[40:41], 2
	v_and_b32_e32 v1, 63, v0
	s_mov_b32 s27, 0x20000
	s_waitcnt lgkmcnt(0)
	s_add_u32 s24, s0, s2
	s_addc_u32 s0, s1, s3
	s_lshl_b32 s26, s8, 2
	s_and_b32 s25, s0, 0xffff
	v_lshlrev_b32_e32 v38, 2, v1
	buffer_load_dword v33, v38, s[24:27], 0 offen
	v_cmp_eq_u32_e32 vcc, 63, v1
	v_lshrrev_b32_e32 v1, 4, v0
	v_and_b32_e32 v35, 60, v1
	v_and_b32_e32 v1, 7, v0
	s_abs_i32 s33, s10
	v_lshlrev_b32_e32 v36, 2, v1
	v_cvt_f32_u32_e32 v1, s33
	s_add_i32 s2, s35, 15
	s_ashr_i32 s3, s2, 31
	s_lshr_b32 s3, s3, 28
	v_rcp_iflag_f32_e32 v1, v1
	s_add_i32 s2, s2, s3
	s_ashr_i32 s2, s2, 4
	v_lshlrev_b32_e32 v32, 5, v0
	v_lshlrev_b32_e32 v34, 6, v0
	v_cmp_eq_u32_e64 s[0:1], 0, v0
	v_cmp_gt_u32_e64 s[2:3], s2, v0
	v_lshlrev_b32_e32 v37, 4, v0
	v_mul_f32_e32 v0, 0x4f7ffffe, v1
	s_load_dwordx8 s[16:23], s[4:5], 0x0
	s_add_i32 s4, s35, 3
	v_cvt_u32_f32_e32 v0, v0
	s_ashr_i32 s5, s4, 31
	s_lshr_b32 s5, s5, 30
	s_add_i32 s4, s4, s5
	s_and_b32 s38, s4, -4
	s_sub_i32 s4, 0, s33
	v_readfirstlane_b32 s42, v0
	s_mul_i32 s4, s4, s42
	s_mul_hi_u32 s4, s42, s4
	s_lshl_b32 s6, s35, 1
	s_lshl_b32 s30, s35, 2
	s_ashr_i32 s34, s10, 31
	s_add_i32 s42, s42, s4
	s_mov_b32 s15, s35
	s_waitcnt vmcnt(0) lgkmcnt(0)
	s_barrier
	v_readlane_b32 s28, v33, 0
	s_cmp_lt_i32 s28, 0
	s_cbranch_scc1 .LBB125_12
; %bb.9:
	s_abs_i32 s27, s40
	s_mul_hi_u32 s4, s27, s42
	s_mul_i32 s7, s4, s33
	s_sub_i32 s7, s27, s7
	s_xor_b32 s5, s41, s34
	s_add_i32 s29, s4, 1
	s_sub_i32 s31, s7, s33
	s_cmp_ge_u32 s7, s33
	s_cselect_b32 s4, s29, s4
	s_cselect_b32 s7, s31, s7
	s_add_i32 s29, s4, 1
	s_cmp_ge_u32 s7, s33
	s_cselect_b32 s4, s29, s4
	s_xor_b32 s4, s4, s5
	s_sub_i32 s4, s4, s5
	s_mul_i32 s5, s4, s10
	s_sub_i32 s5, s40, s5
	s_mul_i32 s5, s5, s12
	s_mul_i32 s4, s4, s11
	s_add_i32 s43, s5, s4
	s_cmp_eq_u32 s43, -1
	s_cbranch_scc1 .LBB125_13
; %bb.10:
	s_mul_hi_i32 s5, s43, s15
	s_mul_i32 s4, s43, s15
	s_lshl_b64 s[4:5], s[4:5], 1
	s_add_u32 s4, s20, s4
	s_addc_u32 s5, s21, s5
	s_and_b32 s5, s5, 0xffff
	s_mov_b32 s7, 0x20000
	buffer_load_dwordx4 v[6:9], v32, s[4:7], 0 offen
	buffer_load_dwordx4 v[14:17], v32, s[4:7], 16 offen
	s_waitcnt vmcnt(1)
	v_cvt_f32_u32_sdwa v1, v6 dst_sel:DWORD dst_unused:UNUSED_PAD src0_sel:WORD_1
	v_cvt_f32_u32_sdwa v0, v6 dst_sel:DWORD dst_unused:UNUSED_PAD src0_sel:WORD_0
	v_cvt_f32_u32_sdwa v3, v7 dst_sel:DWORD dst_unused:UNUSED_PAD src0_sel:WORD_1
	v_cvt_f32_u32_sdwa v2, v7 dst_sel:DWORD dst_unused:UNUSED_PAD src0_sel:WORD_0
	v_cvt_f32_u32_sdwa v5, v8 dst_sel:DWORD dst_unused:UNUSED_PAD src0_sel:WORD_1
	v_cvt_f32_u32_sdwa v4, v8 dst_sel:DWORD dst_unused:UNUSED_PAD src0_sel:WORD_0
	v_cvt_f32_u32_sdwa v7, v9 dst_sel:DWORD dst_unused:UNUSED_PAD src0_sel:WORD_1
	v_cvt_f32_u32_sdwa v6, v9 dst_sel:DWORD dst_unused:UNUSED_PAD src0_sel:WORD_0
	s_waitcnt vmcnt(0)
	v_cvt_f32_u32_sdwa v9, v14 dst_sel:DWORD dst_unused:UNUSED_PAD src0_sel:WORD_1
	v_cvt_f32_u32_sdwa v8, v14 dst_sel:DWORD dst_unused:UNUSED_PAD src0_sel:WORD_0
	v_cvt_f32_u32_sdwa v11, v15 dst_sel:DWORD dst_unused:UNUSED_PAD src0_sel:WORD_1
	v_cvt_f32_u32_sdwa v10, v15 dst_sel:DWORD dst_unused:UNUSED_PAD src0_sel:WORD_0
	v_cvt_f32_u32_sdwa v13, v16 dst_sel:DWORD dst_unused:UNUSED_PAD src0_sel:WORD_1
	v_cvt_f32_u32_sdwa v12, v16 dst_sel:DWORD dst_unused:UNUSED_PAD src0_sel:WORD_0
	v_cvt_f32_u32_sdwa v15, v17 dst_sel:DWORD dst_unused:UNUSED_PAD src0_sel:WORD_1
	v_cvt_f32_u32_sdwa v14, v17 dst_sel:DWORD dst_unused:UNUSED_PAD src0_sel:WORD_0
	s_branch .LBB125_14
.LBB125_11:
                                        ; implicit-def: $sgpr2
	s_branch .LBB125_2
.LBB125_12:
	s_mov_b32 s43, -1
                                        ; implicit-def: $vgpr0_vgpr1_vgpr2_vgpr3_vgpr4_vgpr5_vgpr6_vgpr7_vgpr8_vgpr9_vgpr10_vgpr11_vgpr12_vgpr13_vgpr14_vgpr15
	s_cmp_eq_u32 s8, 1
	s_mov_b32 s41, 1
	s_cbranch_scc0 .LBB125_21
	s_branch .LBB125_35
.LBB125_13:
                                        ; implicit-def: $vgpr0_vgpr1_vgpr2_vgpr3_vgpr4_vgpr5_vgpr6_vgpr7_vgpr8_vgpr9_vgpr10_vgpr11_vgpr12_vgpr13_vgpr14_vgpr15
.LBB125_14:
	s_mul_i32 s4, s28, s35
	s_ashr_i32 s5, s4, 31
	s_lshl_b64 s[4:5], s[4:5], 2
	s_add_u32 s28, s22, s4
	s_addc_u32 s4, s23, s5
	s_and_b32 s29, s4, 0xffff
	s_mov_b32 s31, 0x20000
	buffer_load_dwordx4 v[16:19], v34, s[28:31], 0 offen
	buffer_load_dwordx4 v[20:23], v34, s[28:31], 16 offen
	;; [unrolled: 1-line block ×4, first 2 shown]
	s_mov_b32 s4, 0x2edbe6ff
	s_waitcnt vmcnt(3)
	v_pk_mul_f32 v[16:17], v[0:1], v[16:17]
	v_pk_mul_f32 v[18:19], v[2:3], v[18:19]
	v_max3_f32 v39, |v16|, s4, |v17|
	s_waitcnt vmcnt(2)
	v_pk_mul_f32 v[20:21], v[4:5], v[20:21]
	v_max3_f32 v39, v39, |v18|, |v19|
	v_pk_mul_f32 v[22:23], v[6:7], v[22:23]
	v_max3_f32 v39, v39, |v20|, |v21|
	s_waitcnt vmcnt(1)
	v_pk_mul_f32 v[24:25], v[8:9], v[24:25]
	v_max3_f32 v39, v39, |v22|, |v23|
	v_pk_mul_f32 v[26:27], v[10:11], v[26:27]
	v_max3_f32 v39, v39, |v24|, |v25|
	s_waitcnt vmcnt(0)
	v_pk_mul_f32 v[28:29], v[12:13], v[28:29]
	v_max3_f32 v39, v39, |v26|, |v27|
	v_pk_mul_f32 v[30:31], v[14:15], v[30:31]
	v_max3_f32 v39, v39, |v28|, |v29|
	v_max3_f32 v39, v39, |v30|, |v31|
	s_nop 1
	v_mov_b32_dpp v40, v39 quad_perm:[1,0,3,2] row_mask:0xf bank_mask:0xf
	v_cmp_gt_f32_e64 s[4:5], v39, v40
	v_cndmask_b32_e64 v39, v40, v39, s[4:5]
	s_nop 1
	v_mov_b32_dpp v40, v39 quad_perm:[2,3,0,1] row_mask:0xf bank_mask:0xf
	v_cmp_gt_f32_e64 s[4:5], v39, v40
	v_cndmask_b32_e64 v39, v40, v39, s[4:5]
	s_nop 1
	v_mov_b32_dpp v40, v39 row_half_mirror row_mask:0xf bank_mask:0xf
	v_cmp_gt_f32_e64 s[4:5], v39, v40
	v_cndmask_b32_e64 v39, v40, v39, s[4:5]
	s_nop 1
	v_mov_b32_dpp v40, v39 row_mirror row_mask:0xf bank_mask:0xf
	v_cmp_gt_f32_e64 s[4:5], v39, v40
	v_cndmask_b32_e64 v39, v40, v39, s[4:5]
	s_nop 1
	v_mov_b32_dpp v40, v39 row_bcast:15 row_mask:0xf bank_mask:0xf
	v_cmp_gt_f32_e64 s[4:5], v39, v40
	v_cndmask_b32_e64 v39, v40, v39, s[4:5]
	s_nop 1
	v_mov_b32_dpp v40, v39 row_bcast:31 row_mask:0xf bank_mask:0xf
	s_and_saveexec_b64 s[28:29], vcc
	s_cbranch_execz .LBB125_16
; %bb.15:
	v_cmp_gt_f32_e64 s[4:5], v39, v40
	v_cndmask_b32_e64 v39, v40, v39, s[4:5]
	ds_write_b32 v35, v39
.LBB125_16:
	s_or_b64 exec, exec, s[28:29]
	s_waitcnt lgkmcnt(0)
	s_barrier
	ds_read_b32 v39, v36
	s_abs_i32 s7, s9
	v_cvt_f32_u32_e32 v41, s7
	s_waitcnt lgkmcnt(0)
	v_mov_b32_dpp v40, v39 quad_perm:[1,0,3,2] row_mask:0xf bank_mask:0xf
	v_cmp_gt_f32_e64 s[4:5], v39, v40
	v_cndmask_b32_e64 v39, v40, v39, s[4:5]
	v_rcp_iflag_f32_e32 v41, v41
	s_nop 0
	v_mov_b32_dpp v40, v39 quad_perm:[2,3,0,1] row_mask:0xf bank_mask:0xf
	v_cmp_gt_f32_e64 s[4:5], v39, v40
	v_cndmask_b32_e64 v39, v40, v39, s[4:5]
	s_nop 1
	v_mov_b32_dpp v40, v39 row_half_mirror row_mask:0xf bank_mask:0xf
	v_cmp_gt_f32_e64 s[4:5], v39, v40
	v_cndmask_b32_e64 v39, v40, v39, s[4:5]
	v_mul_f32_e32 v40, 0x4f7ffffe, v41
	v_cvt_u32_f32_e32 v40, v40
	s_sub_i32 s5, 0, s7
	s_ashr_i32 s4, s9, 31
	s_xor_b32 s4, s41, s4
	v_readfirstlane_b32 s28, v40
	s_mul_i32 s5, s5, s28
	s_mul_hi_u32 s5, s28, s5
	s_add_i32 s28, s28, s5
	s_mul_hi_u32 s5, s27, s28
	s_mul_i32 s28, s5, s7
	s_sub_i32 s27, s27, s28
	s_add_i32 s28, s5, 1
	s_sub_i32 s29, s27, s7
	s_cmp_ge_u32 s27, s7
	s_cselect_b32 s5, s28, s5
	s_cselect_b32 s27, s29, s27
	s_add_i32 s28, s5, 1
	s_cmp_ge_u32 s27, s7
	s_cselect_b32 s5, s28, s5
	s_xor_b32 s5, s5, s4
	s_sub_i32 s4, s5, s4
	s_mul_i32 s5, s4, s9
	s_sub_i32 s5, s40, s5
	s_mul_i32 s5, s5, s14
	s_mul_i32 s4, s4, s13
	v_mul_f32_e32 v39, 0x3c010204, v39
	s_add_i32 s28, s5, s4
	s_and_saveexec_b64 s[4:5], s[0:1]
	s_cbranch_execz .LBB125_18
; %bb.17:
	s_ashr_i32 s29, s28, 31
	s_lshl_b64 s[36:37], s[28:29], 2
	s_add_u32 s36, s18, s36
	s_addc_u32 s37, s19, s37
	v_mov_b32_e32 v40, 0
	global_store_dword v40, v39, s[36:37]
.LBB125_18:
	s_or_b64 exec, exec, s[4:5]
	s_and_saveexec_b64 s[4:5], s[2:3]
	s_cbranch_execz .LBB125_20
; %bb.19:
	v_rcp_f32_e32 v40, v39
	s_mul_i32 s27, s28, s15
	s_mul_hi_i32 s7, s28, s15
	s_add_u32 s36, s16, s27
	v_mov_b32_e32 v41, v40
	;;#ASMSTART
	v_pk_mul_f32 v[16:17], v[16:17], v[40:41]
	;;#ASMEND
	v_cvt_i32_f32_e32 v39, v16
	v_cvt_i32_f32_sdwa v42, v17 dst_sel:BYTE_1 dst_unused:UNUSED_PAD src0_sel:DWORD
	;;#ASMSTART
	v_pk_mul_f32 v[16:17], v[18:19], v[40:41]
	;;#ASMEND
	v_cvt_i32_f32_e32 v18, v16
	v_cvt_i32_f32_sdwa v19, v17 dst_sel:BYTE_1 dst_unused:UNUSED_PAD src0_sel:DWORD
	;; [unrolled: 5-line block ×8, first 2 shown]
	v_or_b32_sdwa v16, v39, v42 dst_sel:DWORD dst_unused:UNUSED_PAD src0_sel:BYTE_0 src1_sel:DWORD
	v_or_b32_sdwa v17, v18, v19 dst_sel:WORD_1 dst_unused:UNUSED_PAD src0_sel:BYTE_0 src1_sel:DWORD
	v_or_b32_sdwa v16, v16, v17 dst_sel:DWORD dst_unused:UNUSED_PAD src0_sel:WORD_0 src1_sel:DWORD
	v_or_b32_sdwa v17, v20, v21 dst_sel:DWORD dst_unused:UNUSED_PAD src0_sel:BYTE_0 src1_sel:DWORD
	v_or_b32_sdwa v18, v22, v23 dst_sel:WORD_1 dst_unused:UNUSED_PAD src0_sel:BYTE_0 src1_sel:DWORD
	v_or_b32_sdwa v17, v17, v18 dst_sel:DWORD dst_unused:UNUSED_PAD src0_sel:WORD_0 src1_sel:DWORD
	v_or_b32_sdwa v18, v24, v25 dst_sel:DWORD dst_unused:UNUSED_PAD src0_sel:BYTE_0 src1_sel:DWORD
	v_or_b32_sdwa v19, v26, v27 dst_sel:WORD_1 dst_unused:UNUSED_PAD src0_sel:BYTE_0 src1_sel:DWORD
	s_addc_u32 s7, s17, s7
	v_or_b32_sdwa v18, v18, v19 dst_sel:DWORD dst_unused:UNUSED_PAD src0_sel:WORD_0 src1_sel:DWORD
	v_or_b32_sdwa v19, v28, v29 dst_sel:DWORD dst_unused:UNUSED_PAD src0_sel:BYTE_0 src1_sel:DWORD
	v_or_b32_sdwa v20, v30, v31 dst_sel:WORD_1 dst_unused:UNUSED_PAD src0_sel:BYTE_0 src1_sel:DWORD
	s_and_b32 s37, s7, 0xffff
	s_mov_b32 s39, 0x20000
	v_or_b32_sdwa v19, v19, v20 dst_sel:DWORD dst_unused:UNUSED_PAD src0_sel:WORD_0 src1_sel:DWORD
	buffer_store_dwordx4 v[16:19], v37, s[36:39], 0 offen
	;;#ASMSTART
	s_nop 0
	;;#ASMEND
.LBB125_20:
	s_or_b64 exec, exec, s[4:5]
	s_cmp_eq_u32 s8, 1
	s_mov_b32 s41, 1
	s_cbranch_scc1 .LBB125_35
.LBB125_21:
	s_abs_i32 s44, s9
	v_cvt_f32_u32_e32 v16, s44
	s_sub_i32 s4, 0, s44
	s_ashr_i32 s45, s9, 31
	v_add_u32_e32 v38, 4, v38
	v_rcp_iflag_f32_e32 v16, v16
	s_mov_b32 s31, 0x20000
	s_mov_b32 s46, 0x2edbe6ff
	v_mov_b32_e32 v39, 0
	v_mul_f32_e32 v16, 0x4f7ffffe, v16
	v_cvt_u32_f32_e32 v16, v16
	v_readfirstlane_b32 s5, v16
	s_mul_i32 s4, s4, s5
	s_mul_hi_u32 s4, s5, s4
	s_add_i32 s47, s5, s4
	s_branch .LBB125_24
.LBB125_22:                             ;   in Loop: Header=BB125_24 Depth=1
	s_or_b64 exec, exec, s[4:5]
.LBB125_23:                             ;   in Loop: Header=BB125_24 Depth=1
	s_add_i32 s41, s41, 1
	s_cmp_eq_u32 s8, s41
	v_add_u32_e32 v38, 4, v38
	s_cbranch_scc1 .LBB125_35
.LBB125_24:                             ; =>This Inner Loop Header: Depth=1
	s_and_b32 s4, s41, 63
	s_cmp_lg_u32 s4, 0
	s_cbranch_scc1 .LBB125_26
; %bb.25:                               ;   in Loop: Header=BB125_24 Depth=1
	s_mov_b32 s27, s31
	buffer_load_dword v33, v38, s[24:27], 0 offen
	s_waitcnt vmcnt(0)
.LBB125_26:                             ;   in Loop: Header=BB125_24 Depth=1
	v_readlane_b32 s28, v33, s4
	s_cmp_lt_i32 s28, 0
	s_cbranch_scc1 .LBB125_23
; %bb.27:                               ;   in Loop: Header=BB125_24 Depth=1
	s_add_i32 s27, s40, s41
	s_abs_i32 s36, s27
	s_mul_hi_u32 s5, s36, s42
	s_mul_i32 s7, s5, s33
	s_ashr_i32 s37, s27, 31
	s_sub_i32 s7, s36, s7
	s_xor_b32 s4, s37, s34
	s_add_i32 s29, s5, 1
	s_sub_i32 s39, s7, s33
	s_cmp_ge_u32 s7, s33
	s_cselect_b32 s5, s29, s5
	s_cselect_b32 s7, s39, s7
	s_add_i32 s29, s5, 1
	s_cmp_ge_u32 s7, s33
	s_cselect_b32 s5, s29, s5
	s_xor_b32 s5, s5, s4
	s_sub_i32 s4, s5, s4
	s_mul_i32 s5, s4, s10
	s_sub_i32 s5, s27, s5
	s_mul_i32 s29, s5, s12
	s_mul_i32 s4, s4, s11
	s_add_i32 s29, s29, s4
	s_cmp_eq_u32 s29, s43
	s_cbranch_scc1 .LBB125_29
; %bb.28:                               ;   in Loop: Header=BB125_24 Depth=1
	s_mul_hi_i32 s5, s29, s15
	s_mul_i32 s4, s29, s15
	s_lshl_b64 s[4:5], s[4:5], 1
	s_add_u32 s4, s20, s4
	s_addc_u32 s5, s21, s5
	s_and_b32 s5, s5, 0xffff
	s_mov_b32 s7, s31
	buffer_load_dwordx4 v[6:9], v32, s[4:7], 0 offen
	buffer_load_dwordx4 v[14:17], v32, s[4:7], 16 offen
	s_mov_b32 s43, s29
	s_waitcnt vmcnt(1)
	v_cvt_f32_u32_sdwa v1, v6 dst_sel:DWORD dst_unused:UNUSED_PAD src0_sel:WORD_1
	v_cvt_f32_u32_sdwa v0, v6 dst_sel:DWORD dst_unused:UNUSED_PAD src0_sel:WORD_0
	v_cvt_f32_u32_sdwa v3, v7 dst_sel:DWORD dst_unused:UNUSED_PAD src0_sel:WORD_1
	v_cvt_f32_u32_sdwa v2, v7 dst_sel:DWORD dst_unused:UNUSED_PAD src0_sel:WORD_0
	;; [unrolled: 2-line block ×4, first 2 shown]
	s_waitcnt vmcnt(0)
	v_cvt_f32_u32_sdwa v9, v14 dst_sel:DWORD dst_unused:UNUSED_PAD src0_sel:WORD_1
	v_cvt_f32_u32_sdwa v8, v14 dst_sel:DWORD dst_unused:UNUSED_PAD src0_sel:WORD_0
	v_cvt_f32_u32_sdwa v11, v15 dst_sel:DWORD dst_unused:UNUSED_PAD src0_sel:WORD_1
	v_cvt_f32_u32_sdwa v10, v15 dst_sel:DWORD dst_unused:UNUSED_PAD src0_sel:WORD_0
	;; [unrolled: 2-line block ×4, first 2 shown]
.LBB125_29:                             ;   in Loop: Header=BB125_24 Depth=1
	s_mul_i32 s4, s28, s35
	s_ashr_i32 s5, s4, 31
	s_lshl_b64 s[4:5], s[4:5], 2
	s_add_u32 s28, s22, s4
	s_addc_u32 s4, s23, s5
	s_and_b32 s29, s4, 0xffff
	buffer_load_dwordx4 v[16:19], v34, s[28:31], 0 offen
	buffer_load_dwordx4 v[20:23], v34, s[28:31], 16 offen
	;; [unrolled: 1-line block ×4, first 2 shown]
	s_waitcnt vmcnt(3)
	v_pk_mul_f32 v[16:17], v[0:1], v[16:17]
	v_pk_mul_f32 v[18:19], v[2:3], v[18:19]
	v_max3_f32 v40, |v16|, s46, |v17|
	s_waitcnt vmcnt(2)
	v_pk_mul_f32 v[20:21], v[4:5], v[20:21]
	v_max3_f32 v40, v40, |v18|, |v19|
	v_pk_mul_f32 v[22:23], v[6:7], v[22:23]
	v_max3_f32 v40, v40, |v20|, |v21|
	s_waitcnt vmcnt(1)
	v_pk_mul_f32 v[24:25], v[8:9], v[24:25]
	v_max3_f32 v40, v40, |v22|, |v23|
	v_pk_mul_f32 v[26:27], v[10:11], v[26:27]
	v_max3_f32 v40, v40, |v24|, |v25|
	;; [unrolled: 5-line block ×3, first 2 shown]
	v_max3_f32 v40, v40, |v30|, |v31|
	s_nop 1
	v_mov_b32_dpp v41, v40 quad_perm:[1,0,3,2] row_mask:0xf bank_mask:0xf
	v_cmp_gt_f32_e64 s[4:5], v40, v41
	v_cndmask_b32_e64 v40, v41, v40, s[4:5]
	s_nop 1
	v_mov_b32_dpp v41, v40 quad_perm:[2,3,0,1] row_mask:0xf bank_mask:0xf
	v_cmp_gt_f32_e64 s[4:5], v40, v41
	v_cndmask_b32_e64 v40, v41, v40, s[4:5]
	s_nop 1
	v_mov_b32_dpp v41, v40 row_half_mirror row_mask:0xf bank_mask:0xf
	v_cmp_gt_f32_e64 s[4:5], v40, v41
	v_cndmask_b32_e64 v40, v41, v40, s[4:5]
	s_nop 1
	v_mov_b32_dpp v41, v40 row_mirror row_mask:0xf bank_mask:0xf
	v_cmp_gt_f32_e64 s[4:5], v40, v41
	v_cndmask_b32_e64 v40, v41, v40, s[4:5]
	s_nop 1
	v_mov_b32_dpp v41, v40 row_bcast:15 row_mask:0xf bank_mask:0xf
	v_cmp_gt_f32_e64 s[4:5], v40, v41
	v_cndmask_b32_e64 v40, v41, v40, s[4:5]
	s_nop 1
	v_mov_b32_dpp v41, v40 row_bcast:31 row_mask:0xf bank_mask:0xf
	s_and_saveexec_b64 s[28:29], vcc
	s_cbranch_execz .LBB125_31
; %bb.30:                               ;   in Loop: Header=BB125_24 Depth=1
	v_cmp_gt_f32_e64 s[4:5], v40, v41
	v_cndmask_b32_e64 v40, v41, v40, s[4:5]
	ds_write_b32 v35, v40
.LBB125_31:                             ;   in Loop: Header=BB125_24 Depth=1
	s_or_b64 exec, exec, s[28:29]
	s_waitcnt lgkmcnt(0)
	s_barrier
	ds_read_b32 v40, v36
	s_waitcnt lgkmcnt(0)
	s_nop 0
	v_mov_b32_dpp v41, v40 quad_perm:[1,0,3,2] row_mask:0xf bank_mask:0xf
	v_cmp_gt_f32_e64 s[4:5], v40, v41
	v_cndmask_b32_e64 v40, v41, v40, s[4:5]
	s_nop 1
	v_mov_b32_dpp v41, v40 quad_perm:[2,3,0,1] row_mask:0xf bank_mask:0xf
	v_cmp_gt_f32_e64 s[4:5], v40, v41
	v_cndmask_b32_e64 v40, v41, v40, s[4:5]
	s_nop 1
	v_mov_b32_dpp v41, v40 row_half_mirror row_mask:0xf bank_mask:0xf
	v_cmp_gt_f32_e64 s[4:5], v40, v41
	v_cndmask_b32_e64 v40, v41, v40, s[4:5]
	s_mul_hi_u32 s5, s36, s47
	s_mul_i32 s7, s5, s44
	s_sub_i32 s7, s36, s7
	s_xor_b32 s4, s37, s45
	s_add_i32 s28, s5, 1
	s_sub_i32 s29, s7, s44
	s_cmp_ge_u32 s7, s44
	s_cselect_b32 s5, s28, s5
	s_cselect_b32 s7, s29, s7
	s_add_i32 s28, s5, 1
	s_cmp_ge_u32 s7, s44
	s_cselect_b32 s5, s28, s5
	s_xor_b32 s5, s5, s4
	s_sub_i32 s4, s5, s4
	s_mul_i32 s5, s4, s9
	s_sub_i32 s5, s27, s5
	s_mul_i32 s5, s5, s14
	s_mul_i32 s4, s4, s13
	v_mul_f32_e32 v40, 0x3c010204, v40
	s_add_i32 s28, s5, s4
	s_and_saveexec_b64 s[4:5], s[0:1]
	s_cbranch_execz .LBB125_33
; %bb.32:                               ;   in Loop: Header=BB125_24 Depth=1
	s_ashr_i32 s29, s28, 31
	s_lshl_b64 s[36:37], s[28:29], 2
	s_add_u32 s36, s18, s36
	s_addc_u32 s37, s19, s37
	global_store_dword v39, v40, s[36:37]
.LBB125_33:                             ;   in Loop: Header=BB125_24 Depth=1
	s_or_b64 exec, exec, s[4:5]
	s_and_saveexec_b64 s[4:5], s[2:3]
	s_cbranch_execz .LBB125_22
; %bb.34:                               ;   in Loop: Header=BB125_24 Depth=1
	v_rcp_f32_e32 v40, v40
	s_mul_i32 s27, s28, s15
	s_mul_hi_i32 s7, s28, s15
	s_add_u32 s36, s16, s27
	v_mov_b32_e32 v41, v40
	;;#ASMSTART
	v_pk_mul_f32 v[16:17], v[16:17], v[40:41]
	;;#ASMEND
	v_cvt_i32_f32_e32 v42, v16
	v_cvt_i32_f32_sdwa v43, v17 dst_sel:BYTE_1 dst_unused:UNUSED_PAD src0_sel:DWORD
	;;#ASMSTART
	v_pk_mul_f32 v[16:17], v[18:19], v[40:41]
	;;#ASMEND
	v_cvt_i32_f32_e32 v18, v16
	v_cvt_i32_f32_sdwa v19, v17 dst_sel:BYTE_1 dst_unused:UNUSED_PAD src0_sel:DWORD
	;; [unrolled: 5-line block ×8, first 2 shown]
	v_or_b32_sdwa v16, v42, v43 dst_sel:DWORD dst_unused:UNUSED_PAD src0_sel:BYTE_0 src1_sel:DWORD
	v_or_b32_sdwa v17, v18, v19 dst_sel:WORD_1 dst_unused:UNUSED_PAD src0_sel:BYTE_0 src1_sel:DWORD
	v_or_b32_sdwa v16, v16, v17 dst_sel:DWORD dst_unused:UNUSED_PAD src0_sel:WORD_0 src1_sel:DWORD
	v_or_b32_sdwa v17, v20, v21 dst_sel:DWORD dst_unused:UNUSED_PAD src0_sel:BYTE_0 src1_sel:DWORD
	v_or_b32_sdwa v18, v22, v23 dst_sel:WORD_1 dst_unused:UNUSED_PAD src0_sel:BYTE_0 src1_sel:DWORD
	v_or_b32_sdwa v17, v17, v18 dst_sel:DWORD dst_unused:UNUSED_PAD src0_sel:WORD_0 src1_sel:DWORD
	v_or_b32_sdwa v18, v24, v25 dst_sel:DWORD dst_unused:UNUSED_PAD src0_sel:BYTE_0 src1_sel:DWORD
	v_or_b32_sdwa v19, v26, v27 dst_sel:WORD_1 dst_unused:UNUSED_PAD src0_sel:BYTE_0 src1_sel:DWORD
	s_addc_u32 s7, s17, s7
	v_or_b32_sdwa v18, v18, v19 dst_sel:DWORD dst_unused:UNUSED_PAD src0_sel:WORD_0 src1_sel:DWORD
	v_or_b32_sdwa v19, v28, v29 dst_sel:DWORD dst_unused:UNUSED_PAD src0_sel:BYTE_0 src1_sel:DWORD
	v_or_b32_sdwa v20, v30, v31 dst_sel:WORD_1 dst_unused:UNUSED_PAD src0_sel:BYTE_0 src1_sel:DWORD
	s_and_b32 s37, s7, 0xffff
	s_mov_b32 s39, s31
	v_or_b32_sdwa v19, v19, v20 dst_sel:DWORD dst_unused:UNUSED_PAD src0_sel:WORD_0 src1_sel:DWORD
	buffer_store_dwordx4 v[16:19], v37, s[36:39], 0 offen
	;;#ASMSTART
	s_nop 0
	;;#ASMEND
	s_branch .LBB125_22
.LBB125_35:
	s_endpgm
	.section	.rodata,"a",@progbits
	.p2align	6, 0x0
	.amdhsa_kernel _ZN5aiter36smooth_per_token_scaled_quant_kernelItaLi512ELi16ELb1ELb1ELb0ELi1024EEEvPT0_PfPT_S3_PiS6_iiPKiiiiiiiii
		.amdhsa_group_segment_fixed_size 32
		.amdhsa_private_segment_fixed_size 0
		.amdhsa_kernarg_size 96
		.amdhsa_user_sgpr_count 6
		.amdhsa_user_sgpr_private_segment_buffer 1
		.amdhsa_user_sgpr_dispatch_ptr 0
		.amdhsa_user_sgpr_queue_ptr 0
		.amdhsa_user_sgpr_kernarg_segment_ptr 1
		.amdhsa_user_sgpr_dispatch_id 0
		.amdhsa_user_sgpr_flat_scratch_init 0
		.amdhsa_user_sgpr_kernarg_preload_length 0
		.amdhsa_user_sgpr_kernarg_preload_offset 0
		.amdhsa_user_sgpr_private_segment_size 0
		.amdhsa_uses_dynamic_stack 0
		.amdhsa_system_sgpr_private_segment_wavefront_offset 0
		.amdhsa_system_sgpr_workgroup_id_x 1
		.amdhsa_system_sgpr_workgroup_id_y 0
		.amdhsa_system_sgpr_workgroup_id_z 0
		.amdhsa_system_sgpr_workgroup_info 0
		.amdhsa_system_vgpr_workitem_id 0
		.amdhsa_next_free_vgpr 44
		.amdhsa_next_free_sgpr 48
		.amdhsa_accum_offset 44
		.amdhsa_reserve_vcc 1
		.amdhsa_reserve_flat_scratch 0
		.amdhsa_float_round_mode_32 0
		.amdhsa_float_round_mode_16_64 0
		.amdhsa_float_denorm_mode_32 3
		.amdhsa_float_denorm_mode_16_64 3
		.amdhsa_dx10_clamp 1
		.amdhsa_ieee_mode 1
		.amdhsa_fp16_overflow 0
		.amdhsa_tg_split 0
		.amdhsa_exception_fp_ieee_invalid_op 0
		.amdhsa_exception_fp_denorm_src 0
		.amdhsa_exception_fp_ieee_div_zero 0
		.amdhsa_exception_fp_ieee_overflow 0
		.amdhsa_exception_fp_ieee_underflow 0
		.amdhsa_exception_fp_ieee_inexact 0
		.amdhsa_exception_int_div_zero 0
	.end_amdhsa_kernel
	.section	.text._ZN5aiter36smooth_per_token_scaled_quant_kernelItaLi512ELi16ELb1ELb1ELb0ELi1024EEEvPT0_PfPT_S3_PiS6_iiPKiiiiiiiii,"axG",@progbits,_ZN5aiter36smooth_per_token_scaled_quant_kernelItaLi512ELi16ELb1ELb1ELb0ELi1024EEEvPT0_PfPT_S3_PiS6_iiPKiiiiiiiii,comdat
.Lfunc_end125:
	.size	_ZN5aiter36smooth_per_token_scaled_quant_kernelItaLi512ELi16ELb1ELb1ELb0ELi1024EEEvPT0_PfPT_S3_PiS6_iiPKiiiiiiiii, .Lfunc_end125-_ZN5aiter36smooth_per_token_scaled_quant_kernelItaLi512ELi16ELb1ELb1ELb0ELi1024EEEvPT0_PfPT_S3_PiS6_iiPKiiiiiiiii
                                        ; -- End function
	.section	.AMDGPU.csdata,"",@progbits
; Kernel info:
; codeLenInByte = 3188
; NumSgprs: 52
; NumVgprs: 44
; NumAgprs: 0
; TotalNumVgprs: 44
; ScratchSize: 0
; MemoryBound: 0
; FloatMode: 240
; IeeeMode: 1
; LDSByteSize: 32 bytes/workgroup (compile time only)
; SGPRBlocks: 6
; VGPRBlocks: 5
; NumSGPRsForWavesPerEU: 52
; NumVGPRsForWavesPerEU: 44
; AccumOffset: 44
; Occupancy: 8
; WaveLimiterHint : 0
; COMPUTE_PGM_RSRC2:SCRATCH_EN: 0
; COMPUTE_PGM_RSRC2:USER_SGPR: 6
; COMPUTE_PGM_RSRC2:TRAP_HANDLER: 0
; COMPUTE_PGM_RSRC2:TGID_X_EN: 1
; COMPUTE_PGM_RSRC2:TGID_Y_EN: 0
; COMPUTE_PGM_RSRC2:TGID_Z_EN: 0
; COMPUTE_PGM_RSRC2:TIDIG_COMP_CNT: 0
; COMPUTE_PGM_RSRC3_GFX90A:ACCUM_OFFSET: 10
; COMPUTE_PGM_RSRC3_GFX90A:TG_SPLIT: 0
	.section	.text._ZN5aiter36smooth_per_token_scaled_quant_kernelIDF16_aLi512ELi16ELb1ELb0ELb0ELi1024EEEvPT0_PfPT_S3_PiS6_iiPKiiiiiiiii,"axG",@progbits,_ZN5aiter36smooth_per_token_scaled_quant_kernelIDF16_aLi512ELi16ELb1ELb0ELb0ELi1024EEEvPT0_PfPT_S3_PiS6_iiPKiiiiiiiii,comdat
	.protected	_ZN5aiter36smooth_per_token_scaled_quant_kernelIDF16_aLi512ELi16ELb1ELb0ELb0ELi1024EEEvPT0_PfPT_S3_PiS6_iiPKiiiiiiiii ; -- Begin function _ZN5aiter36smooth_per_token_scaled_quant_kernelIDF16_aLi512ELi16ELb1ELb0ELb0ELi1024EEEvPT0_PfPT_S3_PiS6_iiPKiiiiiiiii
	.globl	_ZN5aiter36smooth_per_token_scaled_quant_kernelIDF16_aLi512ELi16ELb1ELb0ELb0ELi1024EEEvPT0_PfPT_S3_PiS6_iiPKiiiiiiiii
	.p2align	8
	.type	_ZN5aiter36smooth_per_token_scaled_quant_kernelIDF16_aLi512ELi16ELb1ELb0ELb0ELi1024EEEvPT0_PfPT_S3_PiS6_iiPKiiiiiiiii,@function
_ZN5aiter36smooth_per_token_scaled_quant_kernelIDF16_aLi512ELi16ELb1ELb0ELb0ELi1024EEEvPT0_PfPT_S3_PiS6_iiPKiiiiiiiii: ; @_ZN5aiter36smooth_per_token_scaled_quant_kernelIDF16_aLi512ELi16ELb1ELb0ELb0ELi1024EEEvPT0_PfPT_S3_PiS6_iiPKiiiiiiiii
; %bb.0:
	s_load_dwordx2 s[2:3], s[4:5], 0x38
	s_load_dwordx8 s[8:15], s[4:5], 0x40
	s_mov_b64 s[0:1], 0
	s_waitcnt lgkmcnt(0)
	s_cmp_lg_u64 s[2:3], 0
	s_cbranch_scc0 .LBB126_19
; %bb.1:
	s_load_dword s2, s[2:3], 0x0
	s_waitcnt lgkmcnt(0)
	s_mul_i32 s2, s2, s8
	s_andn2_b64 vcc, exec, s[0:1]
	s_cbranch_vccnz .LBB126_3
.LBB126_2:
	s_mul_i32 s2, s10, s9
.LBB126_3:
	s_load_dwordx2 s[24:25], s[4:5], 0x30
	s_abs_i32 s1, s2
	s_waitcnt lgkmcnt(0)
	s_abs_i32 s0, s24
	v_cvt_f32_u32_e32 v1, s0
	s_sub_i32 s7, 0, s0
	s_xor_b32 s3, s2, s24
	s_ashr_i32 s3, s3, 31
	v_rcp_iflag_f32_e32 v1, v1
	v_mul_f32_e32 v1, 0x4f7ffffe, v1
	v_cvt_u32_f32_e32 v1, v1
	v_readfirstlane_b32 s8, v1
	s_mul_i32 s7, s7, s8
	s_mul_hi_u32 s7, s8, s7
	s_add_i32 s8, s8, s7
	s_mul_hi_u32 s7, s1, s8
	s_mul_i32 s8, s7, s0
	s_sub_i32 s1, s1, s8
	s_add_i32 s15, s7, 1
	s_sub_i32 s8, s1, s0
	s_cmp_ge_u32 s1, s0
	s_cselect_b32 s7, s15, s7
	s_cselect_b32 s1, s8, s1
	s_add_i32 s8, s7, 1
	s_cmp_ge_u32 s1, s0
	s_cselect_b32 s0, s8, s7
	s_xor_b32 s0, s0, s3
	s_sub_i32 s7, s0, s3
	s_mul_i32 s0, s7, s24
	s_sub_i32 s2, s2, s0
	s_cmp_lt_u32 s6, s2
	s_cselect_b64 s[0:1], -1, 0
	s_add_i32 s15, s7, 1
	s_cmp_ge_u32 s6, s2
	s_cbranch_scc0 .LBB126_5
; %bb.4:
	s_mul_i32 s3, s2, s15
	s_sub_i32 s2, s6, s2
	s_mul_i32 s2, s2, s7
	s_add_i32 s8, s2, s3
	s_cbranch_execz .LBB126_6
	s_branch .LBB126_7
.LBB126_5:
                                        ; implicit-def: $sgpr8
.LBB126_6:
	s_mul_i32 s8, s15, s6
.LBB126_7:
	v_cndmask_b32_e64 v1, 0, 1, s[0:1]
	v_readfirstlane_b32 s0, v1
	s_add_i32 s15, s7, s0
	s_cmp_lt_i32 s15, 1
	s_cbranch_scc1 .LBB126_18
; %bb.8:
	v_and_b32_e32 v1, 63, v0
	v_cmp_eq_u32_e32 vcc, 63, v1
	v_lshrrev_b32_e32 v1, 4, v0
	v_and_b32_e32 v74, 60, v1
	v_and_b32_e32 v1, 7, v0
	s_abs_i32 s34, s10
	v_lshlrev_b32_e32 v75, 2, v1
	v_cvt_f32_u32_e32 v1, s34
	s_add_i32 s2, s25, 15
	s_ashr_i32 s3, s2, 31
	s_lshr_b32 s3, s3, 28
	v_rcp_iflag_f32_e32 v1, v1
	s_add_i32 s2, s2, s3
	s_ashr_i32 s2, s2, 4
	s_abs_i32 s35, s9
	v_lshlrev_b32_e32 v72, 5, v0
	v_lshlrev_b32_e32 v73, 6, v0
	v_cmp_eq_u32_e64 s[0:1], 0, v0
	v_cmp_gt_u32_e64 s[2:3], s2, v0
	v_lshlrev_b32_e32 v76, 4, v0
	v_mul_f32_e32 v0, 0x4f7ffffe, v1
	v_cvt_f32_u32_e32 v1, s35
	v_cvt_u32_f32_e32 v0, v0
	s_load_dwordx8 s[16:23], s[4:5], 0x0
	s_add_i32 s4, s25, 3
	v_rcp_iflag_f32_e32 v1, v1
	s_ashr_i32 s5, s4, 31
	s_lshr_b32 s5, s5, 30
	s_add_i32 s4, s4, s5
	v_readfirstlane_b32 s5, v0
	v_mul_f32_e32 v0, 0x4f7ffffe, v1
	v_cvt_u32_f32_e32 v0, v0
	s_and_b32 s30, s4, -4
	s_sub_i32 s4, 0, s34
	s_mul_i32 s4, s4, s5
	s_mul_hi_u32 s4, s5, s4
	s_add_i32 s37, s5, s4
	v_readfirstlane_b32 s5, v0
                                        ; implicit-def: $vgpr0_vgpr1_vgpr2_vgpr3_vgpr4_vgpr5_vgpr6_vgpr7_vgpr8_vgpr9_vgpr10_vgpr11_vgpr12_vgpr13_vgpr14_vgpr15
                                        ; implicit-def: $vgpr4_vgpr5_vgpr6_vgpr7_vgpr8_vgpr9_vgpr10_vgpr11_vgpr12_vgpr13_vgpr14_vgpr15_vgpr16_vgpr17_vgpr18_vgpr19
	s_sub_i32 s4, 0, s35
                                        ; implicit-def: $vgpr10_vgpr11_vgpr12_vgpr13_vgpr14_vgpr15_vgpr16_vgpr17_vgpr18_vgpr19_vgpr20_vgpr21_vgpr22_vgpr23_vgpr24_vgpr25
	s_mul_i32 s4, s4, s5
                                        ; implicit-def: $vgpr18_vgpr19_vgpr20_vgpr21_vgpr22_vgpr23_vgpr24_vgpr25_vgpr26_vgpr27_vgpr28_vgpr29_vgpr30_vgpr31_vgpr32_vgpr33
	s_mov_b32 s7, 0x20000
	s_waitcnt lgkmcnt(0)
	s_and_b32 s23, s23, 0xffff
	s_mul_hi_u32 s4, s5, s4
                                        ; implicit-def: $vgpr28_vgpr29_vgpr30_vgpr31_vgpr32_vgpr33_vgpr34_vgpr35_vgpr36_vgpr37_vgpr38_vgpr39_vgpr40_vgpr41_vgpr42_vgpr43
	s_mov_b32 s33, s25
	s_lshl_b32 s6, s25, 1
	s_lshl_b32 s26, s25, 2
	s_mov_b32 s27, s7
	s_ashr_i32 s36, s10, 31
	s_ashr_i32 s38, s9, 31
	s_add_i32 s39, s5, s4
	s_mov_b32 s41, -1
	s_mov_b32 s25, s23
	s_mov_b32 s24, s22
	;; [unrolled: 1-line block ×3, first 2 shown]
	v_mov_b32_e32 v77, 0
                                        ; implicit-def: $vgpr40_vgpr41_vgpr42_vgpr43_vgpr44_vgpr45_vgpr46_vgpr47_vgpr48_vgpr49_vgpr50_vgpr51_vgpr52_vgpr53_vgpr54_vgpr55
                                        ; implicit-def: $vgpr70
                                        ; implicit-def: $vgpr54_vgpr55_vgpr56_vgpr57_vgpr58_vgpr59_vgpr60_vgpr61_vgpr62_vgpr63_vgpr64_vgpr65_vgpr66_vgpr67_vgpr68_vgpr69
	s_branch .LBB126_10
.LBB126_9:                              ;   in Loop: Header=BB126_10 Depth=1
	s_or_b64 exec, exec, s[4:5]
	s_add_i32 s15, s15, -1
	s_add_i32 s8, s8, 1
	s_cmp_eq_u32 s15, 0
	s_cbranch_scc1 .LBB126_18
.LBB126_10:                             ; =>This Inner Loop Header: Depth=1
	s_abs_i32 s28, s8
	s_mul_hi_u32 s5, s28, s37
	s_mul_i32 s22, s5, s34
	s_ashr_i32 s29, s8, 31
	s_sub_i32 s22, s28, s22
	s_xor_b32 s4, s29, s36
	s_add_i32 s23, s5, 1
	s_sub_i32 s31, s22, s34
	s_cmp_ge_u32 s22, s34
	s_cselect_b32 s5, s23, s5
	s_cselect_b32 s22, s31, s22
	s_add_i32 s23, s5, 1
	s_cmp_ge_u32 s22, s34
	s_cselect_b32 s5, s23, s5
	s_xor_b32 s5, s5, s4
	s_sub_i32 s4, s5, s4
	s_mul_i32 s5, s4, s10
	s_sub_i32 s5, s8, s5
	s_mul_i32 s22, s5, s12
	s_mul_i32 s4, s4, s11
	s_add_i32 s22, s22, s4
	s_cmp_eq_u32 s22, s41
	s_cbranch_scc1 .LBB126_12
; %bb.11:                               ;   in Loop: Header=BB126_10 Depth=1
	s_mul_hi_i32 s5, s22, s33
	s_mul_i32 s4, s22, s33
	s_lshl_b64 s[4:5], s[4:5], 1
	s_add_u32 s4, s20, s4
	s_addc_u32 s5, s21, s5
	s_and_b32 s5, s5, 0xffff
	buffer_load_dwordx4 v[2:5], v72, s[4:7], 0 offen
	buffer_load_dwordx4 v[10:13], v72, s[4:7], 16 offen
	s_mov_b32 s41, s22
	s_waitcnt vmcnt(1)
	v_cvt_f32_f16_e32 v70, v2
	v_cvt_f32_f16_sdwa v71, v2 dst_sel:DWORD dst_unused:UNUSED_PAD src0_sel:WORD_1
	v_cvt_f32_f16_e32 v2, v3
	v_cvt_f32_f16_sdwa v3, v3 dst_sel:DWORD dst_unused:UNUSED_PAD src0_sel:WORD_1
	;; [unrolled: 2-line block ×4, first 2 shown]
	s_waitcnt vmcnt(0)
	v_cvt_f32_f16_e32 v26, v10
	v_cvt_f32_f16_sdwa v27, v10 dst_sel:DWORD dst_unused:UNUSED_PAD src0_sel:WORD_1
	v_cvt_f32_f16_e32 v38, v11
	v_cvt_f32_f16_sdwa v39, v11 dst_sel:DWORD dst_unused:UNUSED_PAD src0_sel:WORD_1
	;; [unrolled: 2-line block ×4, first 2 shown]
.LBB126_12:                             ;   in Loop: Header=BB126_10 Depth=1
	buffer_load_dwordx4 v[4:7], v73, s[24:27], 0 offen
	buffer_load_dwordx4 v[10:13], v73, s[24:27], 16 offen
	s_waitcnt vmcnt(1)
	v_pk_mul_f32 v[0:1], v[70:71], v[4:5]
	v_pk_mul_f32 v[4:5], v[2:3], v[6:7]
	s_waitcnt vmcnt(0)
	v_pk_mul_f32 v[6:7], v[8:9], v[10:11]
	v_pk_mul_f32 v[10:11], v[16:17], v[12:13]
	buffer_load_dwordx4 v[12:15], v73, s[24:27], 32 offen
	buffer_load_dwordx4 v[18:21], v73, s[24:27], 48 offen
	v_max3_f32 v22, |v0|, s40, |v1|
	v_max3_f32 v22, v22, |v4|, |v5|
	v_max3_f32 v22, v22, |v6|, |v7|
	v_max3_f32 v22, v22, |v10|, |v11|
	s_waitcnt vmcnt(1)
	v_pk_mul_f32 v[12:13], v[26:27], v[12:13]
	v_pk_mul_f32 v[14:15], v[38:39], v[14:15]
	v_max3_f32 v22, v22, |v12|, |v13|
	s_waitcnt vmcnt(0)
	v_pk_mul_f32 v[18:19], v[52:53], v[18:19]
	v_max3_f32 v22, v22, |v14|, |v15|
	v_pk_mul_f32 v[20:21], v[68:69], v[20:21]
	v_max3_f32 v22, v22, |v18|, |v19|
	v_max3_f32 v22, v22, |v20|, |v21|
	s_nop 1
	v_mov_b32_dpp v23, v22 quad_perm:[1,0,3,2] row_mask:0xf bank_mask:0xf
	v_cmp_gt_f32_e64 s[4:5], v22, v23
	v_cndmask_b32_e64 v22, v23, v22, s[4:5]
	s_nop 1
	v_mov_b32_dpp v23, v22 quad_perm:[2,3,0,1] row_mask:0xf bank_mask:0xf
	v_cmp_gt_f32_e64 s[4:5], v22, v23
	v_cndmask_b32_e64 v22, v23, v22, s[4:5]
	s_nop 1
	v_mov_b32_dpp v23, v22 row_half_mirror row_mask:0xf bank_mask:0xf
	v_cmp_gt_f32_e64 s[4:5], v22, v23
	v_cndmask_b32_e64 v22, v23, v22, s[4:5]
	s_nop 1
	v_mov_b32_dpp v23, v22 row_mirror row_mask:0xf bank_mask:0xf
	v_cmp_gt_f32_e64 s[4:5], v22, v23
	v_cndmask_b32_e64 v22, v23, v22, s[4:5]
	s_nop 1
	v_mov_b32_dpp v23, v22 row_bcast:15 row_mask:0xf bank_mask:0xf
	v_cmp_gt_f32_e64 s[4:5], v22, v23
	v_cndmask_b32_e64 v22, v23, v22, s[4:5]
	s_nop 1
	v_mov_b32_dpp v23, v22 row_bcast:31 row_mask:0xf bank_mask:0xf
	s_and_saveexec_b64 s[22:23], vcc
	s_cbranch_execz .LBB126_14
; %bb.13:                               ;   in Loop: Header=BB126_10 Depth=1
	v_cmp_gt_f32_e64 s[4:5], v22, v23
	v_cndmask_b32_e64 v22, v23, v22, s[4:5]
	ds_write_b32 v74, v22
.LBB126_14:                             ;   in Loop: Header=BB126_10 Depth=1
	s_or_b64 exec, exec, s[22:23]
	s_waitcnt lgkmcnt(0)
	s_barrier
	ds_read_b32 v22, v75
	s_waitcnt lgkmcnt(0)
	s_nop 0
	v_mov_b32_dpp v23, v22 quad_perm:[1,0,3,2] row_mask:0xf bank_mask:0xf
	v_cmp_gt_f32_e64 s[4:5], v22, v23
	v_cndmask_b32_e64 v22, v23, v22, s[4:5]
	s_nop 1
	v_mov_b32_dpp v23, v22 quad_perm:[2,3,0,1] row_mask:0xf bank_mask:0xf
	v_cmp_gt_f32_e64 s[4:5], v22, v23
	v_cndmask_b32_e64 v22, v23, v22, s[4:5]
	s_nop 1
	v_mov_b32_dpp v23, v22 row_half_mirror row_mask:0xf bank_mask:0xf
	v_cmp_gt_f32_e64 s[4:5], v22, v23
	v_cndmask_b32_e64 v22, v23, v22, s[4:5]
	s_mul_hi_u32 s5, s28, s39
	s_mul_i32 s22, s5, s35
	s_sub_i32 s22, s28, s22
	s_xor_b32 s4, s29, s38
	s_add_i32 s23, s5, 1
	s_sub_i32 s28, s22, s35
	s_cmp_ge_u32 s22, s35
	s_cselect_b32 s5, s23, s5
	s_cselect_b32 s22, s28, s22
	s_add_i32 s23, s5, 1
	s_cmp_ge_u32 s22, s35
	s_cselect_b32 s5, s23, s5
	s_xor_b32 s5, s5, s4
	s_sub_i32 s4, s5, s4
	s_mul_i32 s5, s4, s9
	s_sub_i32 s5, s8, s5
	s_mul_i32 s5, s5, s14
	s_mul_i32 s4, s4, s13
	v_mul_f32_e32 v22, 0x3c010204, v22
	s_add_i32 s22, s5, s4
	s_and_saveexec_b64 s[4:5], s[0:1]
	s_cbranch_execz .LBB126_16
; %bb.15:                               ;   in Loop: Header=BB126_10 Depth=1
	s_ashr_i32 s23, s22, 31
	s_lshl_b64 s[28:29], s[22:23], 2
	s_add_u32 s28, s18, s28
	s_addc_u32 s29, s19, s29
	global_store_dword v77, v22, s[28:29]
.LBB126_16:                             ;   in Loop: Header=BB126_10 Depth=1
	s_or_b64 exec, exec, s[4:5]
	s_and_saveexec_b64 s[4:5], s[2:3]
	s_cbranch_execz .LBB126_9
; %bb.17:                               ;   in Loop: Header=BB126_10 Depth=1
	v_rcp_f32_e32 v22, v22
	s_mul_hi_i32 s23, s22, s33
	s_mul_i32 s22, s22, s33
	s_add_u32 s28, s16, s22
	v_mov_b32_e32 v23, v22
	;;#ASMSTART
	v_pk_mul_f32 v[0:1], v[0:1], v[22:23]
	;;#ASMEND
	v_cvt_i32_f32_e32 v24, v0
	v_cvt_i32_f32_sdwa v25, v1 dst_sel:BYTE_1 dst_unused:UNUSED_PAD src0_sel:DWORD
	;;#ASMSTART
	v_pk_mul_f32 v[0:1], v[4:5], v[22:23]
	;;#ASMEND
	v_cvt_i32_f32_e32 v4, v0
	v_cvt_i32_f32_sdwa v5, v1 dst_sel:BYTE_1 dst_unused:UNUSED_PAD src0_sel:DWORD
	;; [unrolled: 5-line block ×8, first 2 shown]
	v_or_b32_sdwa v4, v4, v5 dst_sel:WORD_1 dst_unused:UNUSED_PAD src0_sel:BYTE_0 src1_sel:DWORD
	v_or_b32_sdwa v5, v6, v7 dst_sel:DWORD dst_unused:UNUSED_PAD src0_sel:BYTE_0 src1_sel:DWORD
	v_or_b32_sdwa v6, v10, v11 dst_sel:WORD_1 dst_unused:UNUSED_PAD src0_sel:BYTE_0 src1_sel:DWORD
	v_or_b32_sdwa v5, v5, v6 dst_sel:DWORD dst_unused:UNUSED_PAD src0_sel:WORD_0 src1_sel:DWORD
	v_or_b32_sdwa v6, v12, v13 dst_sel:DWORD dst_unused:UNUSED_PAD src0_sel:BYTE_0 src1_sel:DWORD
	v_or_b32_sdwa v7, v14, v15 dst_sel:WORD_1 dst_unused:UNUSED_PAD src0_sel:BYTE_0 src1_sel:DWORD
	s_addc_u32 s22, s17, s23
	v_or_b32_sdwa v20, v24, v25 dst_sel:DWORD dst_unused:UNUSED_PAD src0_sel:BYTE_0 src1_sel:DWORD
	v_or_b32_sdwa v6, v6, v7 dst_sel:DWORD dst_unused:UNUSED_PAD src0_sel:WORD_0 src1_sel:DWORD
	v_or_b32_sdwa v7, v18, v19 dst_sel:DWORD dst_unused:UNUSED_PAD src0_sel:BYTE_0 src1_sel:DWORD
	v_or_b32_sdwa v0, v0, v1 dst_sel:WORD_1 dst_unused:UNUSED_PAD src0_sel:BYTE_0 src1_sel:DWORD
	s_and_b32 s29, s22, 0xffff
	s_mov_b32 s31, s7
	v_or_b32_sdwa v4, v20, v4 dst_sel:DWORD dst_unused:UNUSED_PAD src0_sel:WORD_0 src1_sel:DWORD
	v_or_b32_sdwa v7, v7, v0 dst_sel:DWORD dst_unused:UNUSED_PAD src0_sel:WORD_0 src1_sel:DWORD
	buffer_store_dwordx4 v[4:7], v76, s[28:31], 0 offen
	;;#ASMSTART
	s_nop 0
	;;#ASMEND
	s_branch .LBB126_9
.LBB126_18:
	s_endpgm
.LBB126_19:
                                        ; implicit-def: $sgpr2
	s_branch .LBB126_2
	.section	.rodata,"a",@progbits
	.p2align	6, 0x0
	.amdhsa_kernel _ZN5aiter36smooth_per_token_scaled_quant_kernelIDF16_aLi512ELi16ELb1ELb0ELb0ELi1024EEEvPT0_PfPT_S3_PiS6_iiPKiiiiiiiii
		.amdhsa_group_segment_fixed_size 32
		.amdhsa_private_segment_fixed_size 0
		.amdhsa_kernarg_size 96
		.amdhsa_user_sgpr_count 6
		.amdhsa_user_sgpr_private_segment_buffer 1
		.amdhsa_user_sgpr_dispatch_ptr 0
		.amdhsa_user_sgpr_queue_ptr 0
		.amdhsa_user_sgpr_kernarg_segment_ptr 1
		.amdhsa_user_sgpr_dispatch_id 0
		.amdhsa_user_sgpr_flat_scratch_init 0
		.amdhsa_user_sgpr_kernarg_preload_length 0
		.amdhsa_user_sgpr_kernarg_preload_offset 0
		.amdhsa_user_sgpr_private_segment_size 0
		.amdhsa_uses_dynamic_stack 0
		.amdhsa_system_sgpr_private_segment_wavefront_offset 0
		.amdhsa_system_sgpr_workgroup_id_x 1
		.amdhsa_system_sgpr_workgroup_id_y 0
		.amdhsa_system_sgpr_workgroup_id_z 0
		.amdhsa_system_sgpr_workgroup_info 0
		.amdhsa_system_vgpr_workitem_id 0
		.amdhsa_next_free_vgpr 78
		.amdhsa_next_free_sgpr 42
		.amdhsa_accum_offset 80
		.amdhsa_reserve_vcc 1
		.amdhsa_reserve_flat_scratch 0
		.amdhsa_float_round_mode_32 0
		.amdhsa_float_round_mode_16_64 0
		.amdhsa_float_denorm_mode_32 3
		.amdhsa_float_denorm_mode_16_64 3
		.amdhsa_dx10_clamp 1
		.amdhsa_ieee_mode 1
		.amdhsa_fp16_overflow 0
		.amdhsa_tg_split 0
		.amdhsa_exception_fp_ieee_invalid_op 0
		.amdhsa_exception_fp_denorm_src 0
		.amdhsa_exception_fp_ieee_div_zero 0
		.amdhsa_exception_fp_ieee_overflow 0
		.amdhsa_exception_fp_ieee_underflow 0
		.amdhsa_exception_fp_ieee_inexact 0
		.amdhsa_exception_int_div_zero 0
	.end_amdhsa_kernel
	.section	.text._ZN5aiter36smooth_per_token_scaled_quant_kernelIDF16_aLi512ELi16ELb1ELb0ELb0ELi1024EEEvPT0_PfPT_S3_PiS6_iiPKiiiiiiiii,"axG",@progbits,_ZN5aiter36smooth_per_token_scaled_quant_kernelIDF16_aLi512ELi16ELb1ELb0ELb0ELi1024EEEvPT0_PfPT_S3_PiS6_iiPKiiiiiiiii,comdat
.Lfunc_end126:
	.size	_ZN5aiter36smooth_per_token_scaled_quant_kernelIDF16_aLi512ELi16ELb1ELb0ELb0ELi1024EEEvPT0_PfPT_S3_PiS6_iiPKiiiiiiiii, .Lfunc_end126-_ZN5aiter36smooth_per_token_scaled_quant_kernelIDF16_aLi512ELi16ELb1ELb0ELb0ELi1024EEEvPT0_PfPT_S3_PiS6_iiPKiiiiiiiii
                                        ; -- End function
	.section	.AMDGPU.csdata,"",@progbits
; Kernel info:
; codeLenInByte = 1700
; NumSgprs: 46
; NumVgprs: 78
; NumAgprs: 0
; TotalNumVgprs: 78
; ScratchSize: 0
; MemoryBound: 0
; FloatMode: 240
; IeeeMode: 1
; LDSByteSize: 32 bytes/workgroup (compile time only)
; SGPRBlocks: 5
; VGPRBlocks: 9
; NumSGPRsForWavesPerEU: 46
; NumVGPRsForWavesPerEU: 78
; AccumOffset: 80
; Occupancy: 6
; WaveLimiterHint : 0
; COMPUTE_PGM_RSRC2:SCRATCH_EN: 0
; COMPUTE_PGM_RSRC2:USER_SGPR: 6
; COMPUTE_PGM_RSRC2:TRAP_HANDLER: 0
; COMPUTE_PGM_RSRC2:TGID_X_EN: 1
; COMPUTE_PGM_RSRC2:TGID_Y_EN: 0
; COMPUTE_PGM_RSRC2:TGID_Z_EN: 0
; COMPUTE_PGM_RSRC2:TIDIG_COMP_CNT: 0
; COMPUTE_PGM_RSRC3_GFX90A:ACCUM_OFFSET: 19
; COMPUTE_PGM_RSRC3_GFX90A:TG_SPLIT: 0
	.section	.text._ZN5aiter36smooth_per_token_scaled_quant_kernelItaLi512ELi16ELb1ELb0ELb0ELi1024EEEvPT0_PfPT_S3_PiS6_iiPKiiiiiiiii,"axG",@progbits,_ZN5aiter36smooth_per_token_scaled_quant_kernelItaLi512ELi16ELb1ELb0ELb0ELi1024EEEvPT0_PfPT_S3_PiS6_iiPKiiiiiiiii,comdat
	.protected	_ZN5aiter36smooth_per_token_scaled_quant_kernelItaLi512ELi16ELb1ELb0ELb0ELi1024EEEvPT0_PfPT_S3_PiS6_iiPKiiiiiiiii ; -- Begin function _ZN5aiter36smooth_per_token_scaled_quant_kernelItaLi512ELi16ELb1ELb0ELb0ELi1024EEEvPT0_PfPT_S3_PiS6_iiPKiiiiiiiii
	.globl	_ZN5aiter36smooth_per_token_scaled_quant_kernelItaLi512ELi16ELb1ELb0ELb0ELi1024EEEvPT0_PfPT_S3_PiS6_iiPKiiiiiiiii
	.p2align	8
	.type	_ZN5aiter36smooth_per_token_scaled_quant_kernelItaLi512ELi16ELb1ELb0ELb0ELi1024EEEvPT0_PfPT_S3_PiS6_iiPKiiiiiiiii,@function
_ZN5aiter36smooth_per_token_scaled_quant_kernelItaLi512ELi16ELb1ELb0ELb0ELi1024EEEvPT0_PfPT_S3_PiS6_iiPKiiiiiiiii: ; @_ZN5aiter36smooth_per_token_scaled_quant_kernelItaLi512ELi16ELb1ELb0ELb0ELi1024EEEvPT0_PfPT_S3_PiS6_iiPKiiiiiiiii
; %bb.0:
	s_load_dwordx2 s[2:3], s[4:5], 0x38
	s_load_dwordx8 s[8:15], s[4:5], 0x40
	s_mov_b64 s[0:1], 0
	s_waitcnt lgkmcnt(0)
	s_cmp_lg_u64 s[2:3], 0
	s_cbranch_scc0 .LBB127_19
; %bb.1:
	s_load_dword s2, s[2:3], 0x0
	s_waitcnt lgkmcnt(0)
	s_mul_i32 s2, s2, s8
	s_andn2_b64 vcc, exec, s[0:1]
	s_cbranch_vccnz .LBB127_3
.LBB127_2:
	s_mul_i32 s2, s10, s9
.LBB127_3:
	s_load_dwordx2 s[24:25], s[4:5], 0x30
	s_abs_i32 s1, s2
	s_waitcnt lgkmcnt(0)
	s_abs_i32 s0, s24
	v_cvt_f32_u32_e32 v1, s0
	s_sub_i32 s7, 0, s0
	s_xor_b32 s3, s2, s24
	s_ashr_i32 s3, s3, 31
	v_rcp_iflag_f32_e32 v1, v1
	v_mul_f32_e32 v1, 0x4f7ffffe, v1
	v_cvt_u32_f32_e32 v1, v1
	v_readfirstlane_b32 s8, v1
	s_mul_i32 s7, s7, s8
	s_mul_hi_u32 s7, s8, s7
	s_add_i32 s8, s8, s7
	s_mul_hi_u32 s7, s1, s8
	s_mul_i32 s8, s7, s0
	s_sub_i32 s1, s1, s8
	s_add_i32 s15, s7, 1
	s_sub_i32 s8, s1, s0
	s_cmp_ge_u32 s1, s0
	s_cselect_b32 s7, s15, s7
	s_cselect_b32 s1, s8, s1
	s_add_i32 s8, s7, 1
	s_cmp_ge_u32 s1, s0
	s_cselect_b32 s0, s8, s7
	s_xor_b32 s0, s0, s3
	s_sub_i32 s7, s0, s3
	s_mul_i32 s0, s7, s24
	s_sub_i32 s2, s2, s0
	s_cmp_lt_u32 s6, s2
	s_cselect_b64 s[0:1], -1, 0
	s_add_i32 s15, s7, 1
	s_cmp_ge_u32 s6, s2
	s_cbranch_scc0 .LBB127_5
; %bb.4:
	s_mul_i32 s3, s2, s15
	s_sub_i32 s2, s6, s2
	s_mul_i32 s2, s2, s7
	s_add_i32 s8, s2, s3
	s_cbranch_execz .LBB127_6
	s_branch .LBB127_7
.LBB127_5:
                                        ; implicit-def: $sgpr8
.LBB127_6:
	s_mul_i32 s8, s15, s6
.LBB127_7:
	v_cndmask_b32_e64 v1, 0, 1, s[0:1]
	v_readfirstlane_b32 s0, v1
	s_add_i32 s15, s7, s0
	s_cmp_lt_i32 s15, 1
	s_cbranch_scc1 .LBB127_18
; %bb.8:
	v_and_b32_e32 v1, 63, v0
	v_cmp_eq_u32_e32 vcc, 63, v1
	v_lshrrev_b32_e32 v1, 4, v0
	v_and_b32_e32 v74, 60, v1
	v_and_b32_e32 v1, 7, v0
	s_abs_i32 s34, s10
	v_lshlrev_b32_e32 v75, 2, v1
	v_cvt_f32_u32_e32 v1, s34
	s_add_i32 s2, s25, 15
	s_ashr_i32 s3, s2, 31
	s_lshr_b32 s3, s3, 28
	v_rcp_iflag_f32_e32 v1, v1
	s_add_i32 s2, s2, s3
	s_ashr_i32 s2, s2, 4
	s_abs_i32 s35, s9
	v_lshlrev_b32_e32 v72, 5, v0
	v_lshlrev_b32_e32 v73, 6, v0
	v_cmp_eq_u32_e64 s[0:1], 0, v0
	v_cmp_gt_u32_e64 s[2:3], s2, v0
	v_lshlrev_b32_e32 v76, 4, v0
	v_mul_f32_e32 v0, 0x4f7ffffe, v1
	v_cvt_f32_u32_e32 v1, s35
	v_cvt_u32_f32_e32 v0, v0
	s_load_dwordx8 s[16:23], s[4:5], 0x0
	s_add_i32 s4, s25, 3
	v_rcp_iflag_f32_e32 v1, v1
	s_ashr_i32 s5, s4, 31
	s_lshr_b32 s5, s5, 30
	s_add_i32 s4, s4, s5
	v_readfirstlane_b32 s5, v0
	v_mul_f32_e32 v0, 0x4f7ffffe, v1
	v_cvt_u32_f32_e32 v0, v0
	s_and_b32 s30, s4, -4
	s_sub_i32 s4, 0, s34
	s_mul_i32 s4, s4, s5
	s_mul_hi_u32 s4, s5, s4
	s_add_i32 s37, s5, s4
	v_readfirstlane_b32 s5, v0
                                        ; implicit-def: $vgpr0_vgpr1_vgpr2_vgpr3_vgpr4_vgpr5_vgpr6_vgpr7_vgpr8_vgpr9_vgpr10_vgpr11_vgpr12_vgpr13_vgpr14_vgpr15
                                        ; implicit-def: $vgpr4_vgpr5_vgpr6_vgpr7_vgpr8_vgpr9_vgpr10_vgpr11_vgpr12_vgpr13_vgpr14_vgpr15_vgpr16_vgpr17_vgpr18_vgpr19
	s_sub_i32 s4, 0, s35
                                        ; implicit-def: $vgpr10_vgpr11_vgpr12_vgpr13_vgpr14_vgpr15_vgpr16_vgpr17_vgpr18_vgpr19_vgpr20_vgpr21_vgpr22_vgpr23_vgpr24_vgpr25
	s_mul_i32 s4, s4, s5
                                        ; implicit-def: $vgpr18_vgpr19_vgpr20_vgpr21_vgpr22_vgpr23_vgpr24_vgpr25_vgpr26_vgpr27_vgpr28_vgpr29_vgpr30_vgpr31_vgpr32_vgpr33
	s_mov_b32 s7, 0x20000
	s_waitcnt lgkmcnt(0)
	s_and_b32 s23, s23, 0xffff
	s_mul_hi_u32 s4, s5, s4
                                        ; implicit-def: $vgpr28_vgpr29_vgpr30_vgpr31_vgpr32_vgpr33_vgpr34_vgpr35_vgpr36_vgpr37_vgpr38_vgpr39_vgpr40_vgpr41_vgpr42_vgpr43
	s_mov_b32 s33, s25
	s_lshl_b32 s6, s25, 1
	s_lshl_b32 s26, s25, 2
	s_mov_b32 s27, s7
	s_ashr_i32 s36, s10, 31
	s_ashr_i32 s38, s9, 31
	s_add_i32 s39, s5, s4
	s_mov_b32 s41, -1
	s_mov_b32 s25, s23
	s_mov_b32 s24, s22
	;; [unrolled: 1-line block ×3, first 2 shown]
	v_mov_b32_e32 v77, 0
                                        ; implicit-def: $vgpr40_vgpr41_vgpr42_vgpr43_vgpr44_vgpr45_vgpr46_vgpr47_vgpr48_vgpr49_vgpr50_vgpr51_vgpr52_vgpr53_vgpr54_vgpr55
                                        ; implicit-def: $vgpr70
                                        ; implicit-def: $vgpr54_vgpr55_vgpr56_vgpr57_vgpr58_vgpr59_vgpr60_vgpr61_vgpr62_vgpr63_vgpr64_vgpr65_vgpr66_vgpr67_vgpr68_vgpr69
	s_branch .LBB127_10
.LBB127_9:                              ;   in Loop: Header=BB127_10 Depth=1
	s_or_b64 exec, exec, s[4:5]
	s_add_i32 s15, s15, -1
	s_add_i32 s8, s8, 1
	s_cmp_eq_u32 s15, 0
	s_cbranch_scc1 .LBB127_18
.LBB127_10:                             ; =>This Inner Loop Header: Depth=1
	s_abs_i32 s28, s8
	s_mul_hi_u32 s5, s28, s37
	s_mul_i32 s22, s5, s34
	s_ashr_i32 s29, s8, 31
	s_sub_i32 s22, s28, s22
	s_xor_b32 s4, s29, s36
	s_add_i32 s23, s5, 1
	s_sub_i32 s31, s22, s34
	s_cmp_ge_u32 s22, s34
	s_cselect_b32 s5, s23, s5
	s_cselect_b32 s22, s31, s22
	s_add_i32 s23, s5, 1
	s_cmp_ge_u32 s22, s34
	s_cselect_b32 s5, s23, s5
	s_xor_b32 s5, s5, s4
	s_sub_i32 s4, s5, s4
	s_mul_i32 s5, s4, s10
	s_sub_i32 s5, s8, s5
	s_mul_i32 s22, s5, s12
	s_mul_i32 s4, s4, s11
	s_add_i32 s22, s22, s4
	s_cmp_eq_u32 s22, s41
	s_cbranch_scc1 .LBB127_12
; %bb.11:                               ;   in Loop: Header=BB127_10 Depth=1
	s_mul_hi_i32 s5, s22, s33
	s_mul_i32 s4, s22, s33
	s_lshl_b64 s[4:5], s[4:5], 1
	s_add_u32 s4, s20, s4
	s_addc_u32 s5, s21, s5
	s_and_b32 s5, s5, 0xffff
	buffer_load_dwordx4 v[4:7], v72, s[4:7], 0 offen
	buffer_load_dwordx4 v[10:13], v72, s[4:7], 16 offen
	s_mov_b32 s41, s22
	s_waitcnt vmcnt(1)
	v_cvt_f32_u32_sdwa v71, v4 dst_sel:DWORD dst_unused:UNUSED_PAD src0_sel:WORD_1
	v_cvt_f32_u32_sdwa v70, v4 dst_sel:DWORD dst_unused:UNUSED_PAD src0_sel:WORD_0
	v_cvt_f32_u32_sdwa v3, v5 dst_sel:DWORD dst_unused:UNUSED_PAD src0_sel:WORD_1
	v_cvt_f32_u32_sdwa v2, v5 dst_sel:DWORD dst_unused:UNUSED_PAD src0_sel:WORD_0
	;; [unrolled: 2-line block ×4, first 2 shown]
	s_waitcnt vmcnt(0)
	v_cvt_f32_u32_sdwa v27, v10 dst_sel:DWORD dst_unused:UNUSED_PAD src0_sel:WORD_1
	v_cvt_f32_u32_sdwa v26, v10 dst_sel:DWORD dst_unused:UNUSED_PAD src0_sel:WORD_0
	v_cvt_f32_u32_sdwa v39, v11 dst_sel:DWORD dst_unused:UNUSED_PAD src0_sel:WORD_1
	v_cvt_f32_u32_sdwa v38, v11 dst_sel:DWORD dst_unused:UNUSED_PAD src0_sel:WORD_0
	;; [unrolled: 2-line block ×4, first 2 shown]
.LBB127_12:                             ;   in Loop: Header=BB127_10 Depth=1
	buffer_load_dwordx4 v[4:7], v73, s[24:27], 0 offen
	buffer_load_dwordx4 v[10:13], v73, s[24:27], 16 offen
	s_waitcnt vmcnt(1)
	v_pk_mul_f32 v[0:1], v[70:71], v[4:5]
	v_pk_mul_f32 v[4:5], v[2:3], v[6:7]
	s_waitcnt vmcnt(0)
	v_pk_mul_f32 v[6:7], v[8:9], v[10:11]
	v_pk_mul_f32 v[10:11], v[16:17], v[12:13]
	buffer_load_dwordx4 v[12:15], v73, s[24:27], 32 offen
	buffer_load_dwordx4 v[18:21], v73, s[24:27], 48 offen
	v_max3_f32 v22, |v0|, s40, |v1|
	v_max3_f32 v22, v22, |v4|, |v5|
	v_max3_f32 v22, v22, |v6|, |v7|
	;; [unrolled: 1-line block ×3, first 2 shown]
	s_waitcnt vmcnt(1)
	v_pk_mul_f32 v[12:13], v[26:27], v[12:13]
	v_pk_mul_f32 v[14:15], v[38:39], v[14:15]
	v_max3_f32 v22, v22, |v12|, |v13|
	s_waitcnt vmcnt(0)
	v_pk_mul_f32 v[18:19], v[52:53], v[18:19]
	v_max3_f32 v22, v22, |v14|, |v15|
	v_pk_mul_f32 v[20:21], v[68:69], v[20:21]
	v_max3_f32 v22, v22, |v18|, |v19|
	v_max3_f32 v22, v22, |v20|, |v21|
	s_nop 1
	v_mov_b32_dpp v23, v22 quad_perm:[1,0,3,2] row_mask:0xf bank_mask:0xf
	v_cmp_gt_f32_e64 s[4:5], v22, v23
	v_cndmask_b32_e64 v22, v23, v22, s[4:5]
	s_nop 1
	v_mov_b32_dpp v23, v22 quad_perm:[2,3,0,1] row_mask:0xf bank_mask:0xf
	v_cmp_gt_f32_e64 s[4:5], v22, v23
	v_cndmask_b32_e64 v22, v23, v22, s[4:5]
	s_nop 1
	v_mov_b32_dpp v23, v22 row_half_mirror row_mask:0xf bank_mask:0xf
	v_cmp_gt_f32_e64 s[4:5], v22, v23
	v_cndmask_b32_e64 v22, v23, v22, s[4:5]
	s_nop 1
	v_mov_b32_dpp v23, v22 row_mirror row_mask:0xf bank_mask:0xf
	v_cmp_gt_f32_e64 s[4:5], v22, v23
	v_cndmask_b32_e64 v22, v23, v22, s[4:5]
	s_nop 1
	v_mov_b32_dpp v23, v22 row_bcast:15 row_mask:0xf bank_mask:0xf
	v_cmp_gt_f32_e64 s[4:5], v22, v23
	v_cndmask_b32_e64 v22, v23, v22, s[4:5]
	s_nop 1
	v_mov_b32_dpp v23, v22 row_bcast:31 row_mask:0xf bank_mask:0xf
	s_and_saveexec_b64 s[22:23], vcc
	s_cbranch_execz .LBB127_14
; %bb.13:                               ;   in Loop: Header=BB127_10 Depth=1
	v_cmp_gt_f32_e64 s[4:5], v22, v23
	v_cndmask_b32_e64 v22, v23, v22, s[4:5]
	ds_write_b32 v74, v22
.LBB127_14:                             ;   in Loop: Header=BB127_10 Depth=1
	s_or_b64 exec, exec, s[22:23]
	s_waitcnt lgkmcnt(0)
	s_barrier
	ds_read_b32 v22, v75
	s_waitcnt lgkmcnt(0)
	s_nop 0
	v_mov_b32_dpp v23, v22 quad_perm:[1,0,3,2] row_mask:0xf bank_mask:0xf
	v_cmp_gt_f32_e64 s[4:5], v22, v23
	v_cndmask_b32_e64 v22, v23, v22, s[4:5]
	s_nop 1
	v_mov_b32_dpp v23, v22 quad_perm:[2,3,0,1] row_mask:0xf bank_mask:0xf
	v_cmp_gt_f32_e64 s[4:5], v22, v23
	v_cndmask_b32_e64 v22, v23, v22, s[4:5]
	s_nop 1
	v_mov_b32_dpp v23, v22 row_half_mirror row_mask:0xf bank_mask:0xf
	v_cmp_gt_f32_e64 s[4:5], v22, v23
	v_cndmask_b32_e64 v22, v23, v22, s[4:5]
	s_mul_hi_u32 s5, s28, s39
	s_mul_i32 s22, s5, s35
	s_sub_i32 s22, s28, s22
	s_xor_b32 s4, s29, s38
	s_add_i32 s23, s5, 1
	s_sub_i32 s28, s22, s35
	s_cmp_ge_u32 s22, s35
	s_cselect_b32 s5, s23, s5
	s_cselect_b32 s22, s28, s22
	s_add_i32 s23, s5, 1
	s_cmp_ge_u32 s22, s35
	s_cselect_b32 s5, s23, s5
	s_xor_b32 s5, s5, s4
	s_sub_i32 s4, s5, s4
	s_mul_i32 s5, s4, s9
	s_sub_i32 s5, s8, s5
	s_mul_i32 s5, s5, s14
	s_mul_i32 s4, s4, s13
	v_mul_f32_e32 v22, 0x3c010204, v22
	s_add_i32 s22, s5, s4
	s_and_saveexec_b64 s[4:5], s[0:1]
	s_cbranch_execz .LBB127_16
; %bb.15:                               ;   in Loop: Header=BB127_10 Depth=1
	s_ashr_i32 s23, s22, 31
	s_lshl_b64 s[28:29], s[22:23], 2
	s_add_u32 s28, s18, s28
	s_addc_u32 s29, s19, s29
	global_store_dword v77, v22, s[28:29]
.LBB127_16:                             ;   in Loop: Header=BB127_10 Depth=1
	s_or_b64 exec, exec, s[4:5]
	s_and_saveexec_b64 s[4:5], s[2:3]
	s_cbranch_execz .LBB127_9
; %bb.17:                               ;   in Loop: Header=BB127_10 Depth=1
	v_rcp_f32_e32 v22, v22
	s_mul_hi_i32 s23, s22, s33
	s_mul_i32 s22, s22, s33
	s_add_u32 s28, s16, s22
	v_mov_b32_e32 v23, v22
	;;#ASMSTART
	v_pk_mul_f32 v[0:1], v[0:1], v[22:23]
	;;#ASMEND
	v_cvt_i32_f32_e32 v24, v0
	v_cvt_i32_f32_sdwa v25, v1 dst_sel:BYTE_1 dst_unused:UNUSED_PAD src0_sel:DWORD
	;;#ASMSTART
	v_pk_mul_f32 v[0:1], v[4:5], v[22:23]
	;;#ASMEND
	v_cvt_i32_f32_e32 v4, v0
	v_cvt_i32_f32_sdwa v5, v1 dst_sel:BYTE_1 dst_unused:UNUSED_PAD src0_sel:DWORD
	;; [unrolled: 5-line block ×8, first 2 shown]
	v_or_b32_sdwa v4, v4, v5 dst_sel:WORD_1 dst_unused:UNUSED_PAD src0_sel:BYTE_0 src1_sel:DWORD
	v_or_b32_sdwa v5, v6, v7 dst_sel:DWORD dst_unused:UNUSED_PAD src0_sel:BYTE_0 src1_sel:DWORD
	v_or_b32_sdwa v6, v10, v11 dst_sel:WORD_1 dst_unused:UNUSED_PAD src0_sel:BYTE_0 src1_sel:DWORD
	v_or_b32_sdwa v5, v5, v6 dst_sel:DWORD dst_unused:UNUSED_PAD src0_sel:WORD_0 src1_sel:DWORD
	v_or_b32_sdwa v6, v12, v13 dst_sel:DWORD dst_unused:UNUSED_PAD src0_sel:BYTE_0 src1_sel:DWORD
	v_or_b32_sdwa v7, v14, v15 dst_sel:WORD_1 dst_unused:UNUSED_PAD src0_sel:BYTE_0 src1_sel:DWORD
	s_addc_u32 s22, s17, s23
	v_or_b32_sdwa v20, v24, v25 dst_sel:DWORD dst_unused:UNUSED_PAD src0_sel:BYTE_0 src1_sel:DWORD
	v_or_b32_sdwa v6, v6, v7 dst_sel:DWORD dst_unused:UNUSED_PAD src0_sel:WORD_0 src1_sel:DWORD
	v_or_b32_sdwa v7, v18, v19 dst_sel:DWORD dst_unused:UNUSED_PAD src0_sel:BYTE_0 src1_sel:DWORD
	v_or_b32_sdwa v0, v0, v1 dst_sel:WORD_1 dst_unused:UNUSED_PAD src0_sel:BYTE_0 src1_sel:DWORD
	s_and_b32 s29, s22, 0xffff
	s_mov_b32 s31, s7
	v_or_b32_sdwa v4, v20, v4 dst_sel:DWORD dst_unused:UNUSED_PAD src0_sel:WORD_0 src1_sel:DWORD
	v_or_b32_sdwa v7, v7, v0 dst_sel:DWORD dst_unused:UNUSED_PAD src0_sel:WORD_0 src1_sel:DWORD
	buffer_store_dwordx4 v[4:7], v76, s[28:31], 0 offen
	;;#ASMSTART
	s_nop 0
	;;#ASMEND
	s_branch .LBB127_9
.LBB127_18:
	s_endpgm
.LBB127_19:
                                        ; implicit-def: $sgpr2
	s_branch .LBB127_2
	.section	.rodata,"a",@progbits
	.p2align	6, 0x0
	.amdhsa_kernel _ZN5aiter36smooth_per_token_scaled_quant_kernelItaLi512ELi16ELb1ELb0ELb0ELi1024EEEvPT0_PfPT_S3_PiS6_iiPKiiiiiiiii
		.amdhsa_group_segment_fixed_size 32
		.amdhsa_private_segment_fixed_size 0
		.amdhsa_kernarg_size 96
		.amdhsa_user_sgpr_count 6
		.amdhsa_user_sgpr_private_segment_buffer 1
		.amdhsa_user_sgpr_dispatch_ptr 0
		.amdhsa_user_sgpr_queue_ptr 0
		.amdhsa_user_sgpr_kernarg_segment_ptr 1
		.amdhsa_user_sgpr_dispatch_id 0
		.amdhsa_user_sgpr_flat_scratch_init 0
		.amdhsa_user_sgpr_kernarg_preload_length 0
		.amdhsa_user_sgpr_kernarg_preload_offset 0
		.amdhsa_user_sgpr_private_segment_size 0
		.amdhsa_uses_dynamic_stack 0
		.amdhsa_system_sgpr_private_segment_wavefront_offset 0
		.amdhsa_system_sgpr_workgroup_id_x 1
		.amdhsa_system_sgpr_workgroup_id_y 0
		.amdhsa_system_sgpr_workgroup_id_z 0
		.amdhsa_system_sgpr_workgroup_info 0
		.amdhsa_system_vgpr_workitem_id 0
		.amdhsa_next_free_vgpr 78
		.amdhsa_next_free_sgpr 42
		.amdhsa_accum_offset 80
		.amdhsa_reserve_vcc 1
		.amdhsa_reserve_flat_scratch 0
		.amdhsa_float_round_mode_32 0
		.amdhsa_float_round_mode_16_64 0
		.amdhsa_float_denorm_mode_32 3
		.amdhsa_float_denorm_mode_16_64 3
		.amdhsa_dx10_clamp 1
		.amdhsa_ieee_mode 1
		.amdhsa_fp16_overflow 0
		.amdhsa_tg_split 0
		.amdhsa_exception_fp_ieee_invalid_op 0
		.amdhsa_exception_fp_denorm_src 0
		.amdhsa_exception_fp_ieee_div_zero 0
		.amdhsa_exception_fp_ieee_overflow 0
		.amdhsa_exception_fp_ieee_underflow 0
		.amdhsa_exception_fp_ieee_inexact 0
		.amdhsa_exception_int_div_zero 0
	.end_amdhsa_kernel
	.section	.text._ZN5aiter36smooth_per_token_scaled_quant_kernelItaLi512ELi16ELb1ELb0ELb0ELi1024EEEvPT0_PfPT_S3_PiS6_iiPKiiiiiiiii,"axG",@progbits,_ZN5aiter36smooth_per_token_scaled_quant_kernelItaLi512ELi16ELb1ELb0ELb0ELi1024EEEvPT0_PfPT_S3_PiS6_iiPKiiiiiiiii,comdat
.Lfunc_end127:
	.size	_ZN5aiter36smooth_per_token_scaled_quant_kernelItaLi512ELi16ELb1ELb0ELb0ELi1024EEEvPT0_PfPT_S3_PiS6_iiPKiiiiiiiii, .Lfunc_end127-_ZN5aiter36smooth_per_token_scaled_quant_kernelItaLi512ELi16ELb1ELb0ELb0ELi1024EEEvPT0_PfPT_S3_PiS6_iiPKiiiiiiiii
                                        ; -- End function
	.section	.AMDGPU.csdata,"",@progbits
; Kernel info:
; codeLenInByte = 1732
; NumSgprs: 46
; NumVgprs: 78
; NumAgprs: 0
; TotalNumVgprs: 78
; ScratchSize: 0
; MemoryBound: 0
; FloatMode: 240
; IeeeMode: 1
; LDSByteSize: 32 bytes/workgroup (compile time only)
; SGPRBlocks: 5
; VGPRBlocks: 9
; NumSGPRsForWavesPerEU: 46
; NumVGPRsForWavesPerEU: 78
; AccumOffset: 80
; Occupancy: 6
; WaveLimiterHint : 0
; COMPUTE_PGM_RSRC2:SCRATCH_EN: 0
; COMPUTE_PGM_RSRC2:USER_SGPR: 6
; COMPUTE_PGM_RSRC2:TRAP_HANDLER: 0
; COMPUTE_PGM_RSRC2:TGID_X_EN: 1
; COMPUTE_PGM_RSRC2:TGID_Y_EN: 0
; COMPUTE_PGM_RSRC2:TGID_Z_EN: 0
; COMPUTE_PGM_RSRC2:TIDIG_COMP_CNT: 0
; COMPUTE_PGM_RSRC3_GFX90A:ACCUM_OFFSET: 19
; COMPUTE_PGM_RSRC3_GFX90A:TG_SPLIT: 0
	.section	.text._ZN5aiter36smooth_per_token_scaled_quant_kernelIDF16_aLi512ELi16ELb0ELb1ELb1ELi1024EEEvPT0_PfPT_S3_PiS6_iiPKiiiiiiiii,"axG",@progbits,_ZN5aiter36smooth_per_token_scaled_quant_kernelIDF16_aLi512ELi16ELb0ELb1ELb1ELi1024EEEvPT0_PfPT_S3_PiS6_iiPKiiiiiiiii,comdat
	.protected	_ZN5aiter36smooth_per_token_scaled_quant_kernelIDF16_aLi512ELi16ELb0ELb1ELb1ELi1024EEEvPT0_PfPT_S3_PiS6_iiPKiiiiiiiii ; -- Begin function _ZN5aiter36smooth_per_token_scaled_quant_kernelIDF16_aLi512ELi16ELb0ELb1ELb1ELi1024EEEvPT0_PfPT_S3_PiS6_iiPKiiiiiiiii
	.globl	_ZN5aiter36smooth_per_token_scaled_quant_kernelIDF16_aLi512ELi16ELb0ELb1ELb1ELi1024EEEvPT0_PfPT_S3_PiS6_iiPKiiiiiiiii
	.p2align	8
	.type	_ZN5aiter36smooth_per_token_scaled_quant_kernelIDF16_aLi512ELi16ELb0ELb1ELb1ELi1024EEEvPT0_PfPT_S3_PiS6_iiPKiiiiiiiii,@function
_ZN5aiter36smooth_per_token_scaled_quant_kernelIDF16_aLi512ELi16ELb0ELb1ELb1ELi1024EEEvPT0_PfPT_S3_PiS6_iiPKiiiiiiiii: ; @_ZN5aiter36smooth_per_token_scaled_quant_kernelIDF16_aLi512ELi16ELb0ELb1ELb1ELi1024EEEvPT0_PfPT_S3_PiS6_iiPKiiiiiiiii
; %bb.0:
	s_load_dwordx2 s[16:17], s[4:5], 0x38
	s_load_dwordx2 s[0:1], s[4:5], 0x28
	s_load_dwordx8 s[8:15], s[4:5], 0x40
	s_mov_b64 s[2:3], 0
	s_waitcnt lgkmcnt(0)
	s_cmp_lg_u64 s[16:17], 0
	s_cbranch_scc0 .LBB128_11
; %bb.1:
	s_load_dword s7, s[16:17], 0x0
	s_waitcnt lgkmcnt(0)
	s_mul_i32 s7, s7, s8
	s_andn2_b64 vcc, exec, s[2:3]
	s_cbranch_vccnz .LBB128_3
.LBB128_2:
	s_mul_i32 s7, s10, s9
.LBB128_3:
	s_load_dwordx2 s[8:9], s[4:5], 0x30
	s_lshl_b32 s2, s15, 2
	v_and_b32_e32 v1, 0x3c0, v0
	v_lshlrev_b32_e32 v1, 2, v1
	v_lshlrev_b32_e32 v2, 2, v0
	s_waitcnt lgkmcnt(0)
	s_abs_i32 s15, s8
	v_cvt_f32_u32_e32 v3, s15
	v_readfirstlane_b32 s16, v1
	v_add_u32_e32 v1, 0x800, v1
	s_and_b32 s1, s1, 0xffff
	v_rcp_iflag_f32_e32 v3, v3
	s_mov_b32 s3, 0x20000
	;;#ASMSTART
	s_mov_b32 m0 s16
	buffer_load_dword v2, s[0:3], 0 offen offset:0 lds
	
	;;#ASMEND
	v_readfirstlane_b32 s18, v1
	v_add_u32_e32 v1, 0x800, v2
	v_mul_f32_e32 v2, 0x4f7ffffe, v3
	v_cvt_u32_f32_e32 v2, v2
	s_sub_i32 s19, 0, s15
	s_abs_i32 s17, s7
	s_xor_b32 s16, s7, s8
	v_readfirstlane_b32 s20, v2
	s_mul_i32 s19, s19, s20
	s_mul_hi_u32 s19, s20, s19
	s_add_i32 s20, s20, s19
	s_mul_hi_u32 s19, s17, s20
	s_mul_i32 s20, s19, s15
	s_sub_i32 s17, s17, s20
	s_ashr_i32 s16, s16, 31
	s_add_i32 s20, s19, 1
	s_sub_i32 s21, s17, s15
	s_cmp_ge_u32 s17, s15
	s_cselect_b32 s19, s20, s19
	s_cselect_b32 s17, s21, s17
	s_add_i32 s20, s19, 1
	s_cmp_ge_u32 s17, s15
	s_cselect_b32 s15, s20, s19
	s_xor_b32 s15, s15, s16
	s_sub_i32 s15, s15, s16
	s_mul_i32 s8, s15, s8
	s_sub_i32 s8, s7, s8
	s_cmp_lt_u32 s6, s8
	;;#ASMSTART
	s_mov_b32 m0 s18
	buffer_load_dword v1, s[0:3], 0 offen offset:0 lds
	
	;;#ASMEND
	s_cselect_b64 s[16:17], -1, 0
	s_add_i32 s7, s15, 1
	s_cmp_ge_u32 s6, s8
	s_cbranch_scc0 .LBB128_5
; %bb.4:
	s_sub_i32 s1, s6, s8
	s_mul_i32 s0, s8, s7
	s_mul_i32 s1, s1, s15
	s_add_i32 s34, s1, s0
	s_cbranch_execz .LBB128_6
	s_branch .LBB128_7
.LBB128_5:
                                        ; implicit-def: $sgpr34
.LBB128_6:
	s_mul_i32 s34, s7, s6
.LBB128_7:
	v_cndmask_b32_e64 v1, 0, 1, s[16:17]
	v_readfirstlane_b32 s0, v1
	s_add_i32 s8, s15, s0
	s_cmp_lt_i32 s8, 1
	s_cbranch_scc1 .LBB128_35
; %bb.8:
	s_load_dwordx2 s[0:1], s[4:5], 0x20
	s_ashr_i32 s35, s34, 31
	s_lshl_b64 s[2:3], s[34:35], 2
	v_and_b32_e32 v1, 63, v0
	s_mov_b32 s27, 0x20000
	s_waitcnt lgkmcnt(0)
	s_add_u32 s24, s0, s2
	s_addc_u32 s0, s1, s3
	s_lshl_b32 s26, s8, 2
	s_and_b32 s25, s0, 0xffff
	v_lshlrev_b32_e32 v38, 2, v1
	buffer_load_dword v2, v38, s[24:27], 0 offen
	s_abs_i32 s40, s10
	v_cmp_eq_u32_e64 s[0:1], 63, v1
	v_cvt_f32_u32_e32 v1, s40
	s_add_i32 s2, s9, 15
	s_load_dwordx8 s[16:23], s[4:5], 0x0
	s_ashr_i32 s4, s2, 31
	v_rcp_iflag_f32_e32 v1, v1
	s_waitcnt vmcnt(0) lgkmcnt(0)
	s_barrier
	v_mul_f32_e32 v1, 0x4f7ffffe, v1
	v_cvt_u32_f32_e32 v1, v1
	s_add_i32 s3, s9, 3
	s_lshr_b32 s4, s4, 28
	s_ashr_i32 s5, s3, 31
	s_add_i32 s2, s2, s4
	s_sub_i32 s4, 0, s40
	v_readfirstlane_b32 s41, v1
	s_lshr_b32 s5, s5, 30
	s_mul_i32 s4, s4, s41
	s_add_i32 s3, s3, s5
	s_mul_hi_u32 s4, s41, s4
	v_lshrrev_b32_e32 v3, 4, v0
	v_mov_b32_e32 v4, 0x1000
	v_and_b32_e32 v5, 7, v0
	s_lshl_b32 s6, s9, 1
	s_lshl_b32 s30, s9, 2
	s_ashr_i32 s33, s10, 31
	s_ashr_i32 s2, s2, 4
	s_and_b32 s38, s3, -4
	s_add_i32 s41, s41, s4
	s_mov_b32 s15, s9
	v_lshlrev_b32_e32 v32, 5, v0
	v_lshlrev_b32_e32 v33, 6, v0
	v_cmp_eq_u32_e32 vcc, 0, v0
	v_and_or_b32 v34, v3, 60, v4
	v_lshl_or_b32 v35, v5, 2, v4
	v_cmp_gt_u32_e64 s[2:3], s2, v0
	v_lshlrev_b32_e32 v36, 4, v0
	v_lshlrev_b32_e32 v2, 2, v2
	ds_read_b32 v37, v2
	s_waitcnt lgkmcnt(0)
	v_readlane_b32 s28, v37, 0
	s_cmp_lt_i32 s28, 0
	s_cbranch_scc1 .LBB128_12
; %bb.9:
	s_abs_i32 s4, s34
	s_mul_hi_u32 s5, s4, s41
	s_mul_i32 s27, s5, s40
	s_sub_i32 s4, s4, s27
	s_xor_b32 s7, s35, s33
	s_add_i32 s27, s5, 1
	s_sub_i32 s29, s4, s40
	s_cmp_ge_u32 s4, s40
	s_cselect_b32 s5, s27, s5
	s_cselect_b32 s4, s29, s4
	s_add_i32 s27, s5, 1
	s_cmp_ge_u32 s4, s40
	s_cselect_b32 s4, s27, s5
	s_xor_b32 s4, s4, s7
	s_sub_i32 s27, s4, s7
	s_mul_i32 s4, s27, s10
	s_sub_i32 s36, s34, s4
	s_mul_i32 s4, s36, s12
	s_mul_i32 s5, s27, s11
	s_add_i32 s35, s4, s5
	s_cmp_eq_u32 s35, -1
	s_cbranch_scc1 .LBB128_13
; %bb.10:
	s_mul_hi_i32 s5, s35, s15
	s_mul_i32 s4, s35, s15
	s_lshl_b64 s[4:5], s[4:5], 1
	s_add_u32 s4, s20, s4
	s_addc_u32 s5, s21, s5
	s_and_b32 s5, s5, 0xffff
	s_mov_b32 s7, 0x20000
	buffer_load_dwordx4 v[4:7], v32, s[4:7], 0 offen
	buffer_load_dwordx4 v[12:15], v32, s[4:7], 16 offen
	s_waitcnt vmcnt(1)
	v_cvt_f32_f16_e32 v0, v4
	v_cvt_f32_f16_sdwa v1, v4 dst_sel:DWORD dst_unused:UNUSED_PAD src0_sel:WORD_1
	v_cvt_f32_f16_e32 v2, v5
	v_cvt_f32_f16_sdwa v3, v5 dst_sel:DWORD dst_unused:UNUSED_PAD src0_sel:WORD_1
	;; [unrolled: 2-line block ×4, first 2 shown]
	s_waitcnt vmcnt(0)
	v_cvt_f32_f16_e32 v8, v12
	v_cvt_f32_f16_sdwa v9, v12 dst_sel:DWORD dst_unused:UNUSED_PAD src0_sel:WORD_1
	v_cvt_f32_f16_e32 v10, v13
	v_cvt_f32_f16_sdwa v11, v13 dst_sel:DWORD dst_unused:UNUSED_PAD src0_sel:WORD_1
	;; [unrolled: 2-line block ×4, first 2 shown]
	s_branch .LBB128_14
.LBB128_11:
                                        ; implicit-def: $sgpr7
	s_branch .LBB128_2
.LBB128_12:
	s_mov_b32 s35, -1
                                        ; implicit-def: $vgpr0_vgpr1_vgpr2_vgpr3_vgpr4_vgpr5_vgpr6_vgpr7_vgpr8_vgpr9_vgpr10_vgpr11_vgpr12_vgpr13_vgpr14_vgpr15
	s_cmp_eq_u32 s8, 1
	s_mov_b32 s42, 1
	s_cbranch_scc0 .LBB128_21
	s_branch .LBB128_35
.LBB128_13:
                                        ; implicit-def: $vgpr0_vgpr1_vgpr2_vgpr3_vgpr4_vgpr5_vgpr6_vgpr7_vgpr8_vgpr9_vgpr10_vgpr11_vgpr12_vgpr13_vgpr14_vgpr15
.LBB128_14:
	s_mul_i32 s4, s28, s9
	s_ashr_i32 s5, s4, 31
	s_lshl_b64 s[4:5], s[4:5], 2
	s_add_u32 s28, s22, s4
	s_addc_u32 s4, s23, s5
	s_and_b32 s29, s4, 0xffff
	s_mov_b32 s31, 0x20000
	buffer_load_dwordx4 v[16:19], v33, s[28:31], 0 offen
	buffer_load_dwordx4 v[20:23], v33, s[28:31], 16 offen
	;; [unrolled: 1-line block ×4, first 2 shown]
	s_mov_b32 s4, 0x2edbe6ff
	s_waitcnt vmcnt(3)
	v_pk_mul_f32 v[16:17], v[0:1], v[16:17]
	v_pk_mul_f32 v[18:19], v[2:3], v[18:19]
	v_max3_f32 v39, |v16|, s4, |v17|
	s_waitcnt vmcnt(2)
	v_pk_mul_f32 v[20:21], v[4:5], v[20:21]
	v_max3_f32 v39, v39, |v18|, |v19|
	v_pk_mul_f32 v[22:23], v[6:7], v[22:23]
	v_max3_f32 v39, v39, |v20|, |v21|
	s_waitcnt vmcnt(1)
	v_pk_mul_f32 v[24:25], v[8:9], v[24:25]
	v_max3_f32 v39, v39, |v22|, |v23|
	v_pk_mul_f32 v[26:27], v[10:11], v[26:27]
	v_max3_f32 v39, v39, |v24|, |v25|
	;; [unrolled: 5-line block ×3, first 2 shown]
	v_max3_f32 v39, v39, |v30|, |v31|
	s_nop 1
	v_mov_b32_dpp v40, v39 quad_perm:[1,0,3,2] row_mask:0xf bank_mask:0xf
	v_cmp_gt_f32_e64 s[4:5], v39, v40
	v_cndmask_b32_e64 v39, v40, v39, s[4:5]
	s_nop 1
	v_mov_b32_dpp v40, v39 quad_perm:[2,3,0,1] row_mask:0xf bank_mask:0xf
	v_cmp_gt_f32_e64 s[4:5], v39, v40
	v_cndmask_b32_e64 v39, v40, v39, s[4:5]
	s_nop 1
	v_mov_b32_dpp v40, v39 row_half_mirror row_mask:0xf bank_mask:0xf
	v_cmp_gt_f32_e64 s[4:5], v39, v40
	v_cndmask_b32_e64 v39, v40, v39, s[4:5]
	s_nop 1
	v_mov_b32_dpp v40, v39 row_mirror row_mask:0xf bank_mask:0xf
	v_cmp_gt_f32_e64 s[4:5], v39, v40
	v_cndmask_b32_e64 v39, v40, v39, s[4:5]
	s_nop 1
	v_mov_b32_dpp v40, v39 row_bcast:15 row_mask:0xf bank_mask:0xf
	v_cmp_gt_f32_e64 s[4:5], v39, v40
	v_cndmask_b32_e64 v39, v40, v39, s[4:5]
	s_nop 1
	v_mov_b32_dpp v40, v39 row_bcast:31 row_mask:0xf bank_mask:0xf
	s_and_saveexec_b64 s[28:29], s[0:1]
	s_cbranch_execz .LBB128_16
; %bb.15:
	v_cmp_gt_f32_e64 s[4:5], v39, v40
	v_cndmask_b32_e64 v39, v40, v39, s[4:5]
	ds_write_b32 v34, v39
.LBB128_16:
	s_or_b64 exec, exec, s[28:29]
	s_waitcnt lgkmcnt(0)
	s_barrier
	ds_read_b32 v39, v35
	s_mul_i32 s27, s27, s13
	s_waitcnt lgkmcnt(0)
	v_mov_b32_dpp v40, v39 quad_perm:[1,0,3,2] row_mask:0xf bank_mask:0xf
	v_cmp_gt_f32_e64 s[4:5], v39, v40
	v_cndmask_b32_e64 v39, v40, v39, s[4:5]
	s_nop 1
	v_mov_b32_dpp v40, v39 quad_perm:[2,3,0,1] row_mask:0xf bank_mask:0xf
	v_cmp_gt_f32_e64 s[4:5], v39, v40
	v_cndmask_b32_e64 v39, v40, v39, s[4:5]
	s_nop 1
	v_mov_b32_dpp v40, v39 row_half_mirror row_mask:0xf bank_mask:0xf
	v_cmp_gt_f32_e64 s[4:5], v39, v40
	v_cndmask_b32_e64 v39, v40, v39, s[4:5]
	s_mul_i32 s4, s36, s14
	v_mul_f32_e32 v39, 0x3c010204, v39
	s_add_i32 s28, s4, s27
	s_and_saveexec_b64 s[4:5], vcc
	s_cbranch_execz .LBB128_18
; %bb.17:
	s_ashr_i32 s29, s28, 31
	s_lshl_b64 s[36:37], s[28:29], 2
	s_add_u32 s36, s18, s36
	s_addc_u32 s37, s19, s37
	v_mov_b32_e32 v40, 0
	global_store_dword v40, v39, s[36:37]
.LBB128_18:
	s_or_b64 exec, exec, s[4:5]
	s_and_saveexec_b64 s[4:5], s[2:3]
	s_cbranch_execz .LBB128_20
; %bb.19:
	v_rcp_f32_e32 v40, v39
	s_mul_i32 s27, s28, s15
	s_mul_hi_i32 s7, s28, s15
	s_add_u32 s36, s16, s27
	v_mov_b32_e32 v41, v40
	;;#ASMSTART
	v_pk_mul_f32 v[16:17], v[16:17], v[40:41]
	;;#ASMEND
	v_cvt_i32_f32_e32 v39, v16
	v_cvt_i32_f32_sdwa v42, v17 dst_sel:BYTE_1 dst_unused:UNUSED_PAD src0_sel:DWORD
	;;#ASMSTART
	v_pk_mul_f32 v[16:17], v[18:19], v[40:41]
	;;#ASMEND
	v_cvt_i32_f32_e32 v18, v16
	v_cvt_i32_f32_sdwa v19, v17 dst_sel:BYTE_1 dst_unused:UNUSED_PAD src0_sel:DWORD
	;; [unrolled: 5-line block ×8, first 2 shown]
	v_or_b32_sdwa v16, v39, v42 dst_sel:DWORD dst_unused:UNUSED_PAD src0_sel:BYTE_0 src1_sel:DWORD
	v_or_b32_sdwa v17, v18, v19 dst_sel:WORD_1 dst_unused:UNUSED_PAD src0_sel:BYTE_0 src1_sel:DWORD
	v_or_b32_sdwa v16, v16, v17 dst_sel:DWORD dst_unused:UNUSED_PAD src0_sel:WORD_0 src1_sel:DWORD
	v_or_b32_sdwa v17, v20, v21 dst_sel:DWORD dst_unused:UNUSED_PAD src0_sel:BYTE_0 src1_sel:DWORD
	v_or_b32_sdwa v18, v22, v23 dst_sel:WORD_1 dst_unused:UNUSED_PAD src0_sel:BYTE_0 src1_sel:DWORD
	v_or_b32_sdwa v17, v17, v18 dst_sel:DWORD dst_unused:UNUSED_PAD src0_sel:WORD_0 src1_sel:DWORD
	v_or_b32_sdwa v18, v24, v25 dst_sel:DWORD dst_unused:UNUSED_PAD src0_sel:BYTE_0 src1_sel:DWORD
	v_or_b32_sdwa v19, v26, v27 dst_sel:WORD_1 dst_unused:UNUSED_PAD src0_sel:BYTE_0 src1_sel:DWORD
	s_addc_u32 s7, s17, s7
	v_or_b32_sdwa v18, v18, v19 dst_sel:DWORD dst_unused:UNUSED_PAD src0_sel:WORD_0 src1_sel:DWORD
	v_or_b32_sdwa v19, v28, v29 dst_sel:DWORD dst_unused:UNUSED_PAD src0_sel:BYTE_0 src1_sel:DWORD
	v_or_b32_sdwa v20, v30, v31 dst_sel:WORD_1 dst_unused:UNUSED_PAD src0_sel:BYTE_0 src1_sel:DWORD
	s_and_b32 s37, s7, 0xffff
	s_mov_b32 s39, 0x20000
	v_or_b32_sdwa v19, v19, v20 dst_sel:DWORD dst_unused:UNUSED_PAD src0_sel:WORD_0 src1_sel:DWORD
	buffer_store_dwordx4 v[16:19], v36, s[36:39], 0 offen
	;;#ASMSTART
	s_nop 0
	;;#ASMEND
.LBB128_20:
	s_or_b64 exec, exec, s[4:5]
	s_cmp_eq_u32 s8, 1
	s_mov_b32 s42, 1
	s_cbranch_scc1 .LBB128_35
.LBB128_21:
	v_add_u32_e32 v38, 4, v38
	s_mov_b32 s31, 0x20000
	s_mov_b32 s43, 0x2edbe6ff
	v_mov_b32_e32 v39, 0
	s_branch .LBB128_24
.LBB128_22:                             ;   in Loop: Header=BB128_24 Depth=1
	s_or_b64 exec, exec, s[4:5]
.LBB128_23:                             ;   in Loop: Header=BB128_24 Depth=1
	s_add_i32 s42, s42, 1
	s_cmp_eq_u32 s8, s42
	v_add_u32_e32 v38, 4, v38
	s_cbranch_scc1 .LBB128_35
.LBB128_24:                             ; =>This Inner Loop Header: Depth=1
	s_and_b32 s4, s42, 63
	s_cmp_lg_u32 s4, 0
	s_cbranch_scc1 .LBB128_26
; %bb.25:                               ;   in Loop: Header=BB128_24 Depth=1
	s_mov_b32 s27, s31
	buffer_load_dword v16, v38, s[24:27], 0 offen
	s_waitcnt vmcnt(0)
	v_lshlrev_b32_e32 v16, 2, v16
	ds_read_b32 v37, v16
.LBB128_26:                             ;   in Loop: Header=BB128_24 Depth=1
	s_waitcnt lgkmcnt(0)
	v_readlane_b32 s28, v37, s4
	s_cmp_lt_i32 s28, 0
	s_cbranch_scc1 .LBB128_23
; %bb.27:                               ;   in Loop: Header=BB128_24 Depth=1
	s_add_i32 s4, s34, s42
	s_abs_i32 s7, s4
	s_mul_hi_u32 s27, s7, s41
	s_mul_i32 s29, s27, s40
	s_ashr_i32 s5, s4, 31
	s_sub_i32 s7, s7, s29
	s_xor_b32 s5, s5, s33
	s_add_i32 s29, s27, 1
	s_sub_i32 s36, s7, s40
	s_cmp_ge_u32 s7, s40
	s_cselect_b32 s27, s29, s27
	s_cselect_b32 s7, s36, s7
	s_add_i32 s29, s27, 1
	s_cmp_ge_u32 s7, s40
	s_cselect_b32 s7, s29, s27
	s_xor_b32 s7, s7, s5
	s_sub_i32 s27, s7, s5
	s_mul_i32 s5, s27, s10
	s_sub_i32 s36, s4, s5
	s_mul_i32 s29, s36, s12
	s_mul_i32 s4, s27, s11
	s_add_i32 s29, s29, s4
	s_cmp_eq_u32 s29, s35
	s_cbranch_scc1 .LBB128_29
; %bb.28:                               ;   in Loop: Header=BB128_24 Depth=1
	s_mul_hi_i32 s5, s29, s15
	s_mul_i32 s4, s29, s15
	s_lshl_b64 s[4:5], s[4:5], 1
	s_add_u32 s4, s20, s4
	s_addc_u32 s5, s21, s5
	s_and_b32 s5, s5, 0xffff
	s_mov_b32 s7, s31
	buffer_load_dwordx4 v[4:7], v32, s[4:7], 0 offen
	buffer_load_dwordx4 v[12:15], v32, s[4:7], 16 offen
	s_mov_b32 s35, s29
	s_waitcnt vmcnt(1)
	v_cvt_f32_f16_e32 v0, v4
	v_cvt_f32_f16_sdwa v1, v4 dst_sel:DWORD dst_unused:UNUSED_PAD src0_sel:WORD_1
	v_cvt_f32_f16_e32 v2, v5
	v_cvt_f32_f16_sdwa v3, v5 dst_sel:DWORD dst_unused:UNUSED_PAD src0_sel:WORD_1
	;; [unrolled: 2-line block ×4, first 2 shown]
	s_waitcnt vmcnt(0)
	v_cvt_f32_f16_e32 v8, v12
	v_cvt_f32_f16_sdwa v9, v12 dst_sel:DWORD dst_unused:UNUSED_PAD src0_sel:WORD_1
	v_cvt_f32_f16_e32 v10, v13
	v_cvt_f32_f16_sdwa v11, v13 dst_sel:DWORD dst_unused:UNUSED_PAD src0_sel:WORD_1
	;; [unrolled: 2-line block ×4, first 2 shown]
.LBB128_29:                             ;   in Loop: Header=BB128_24 Depth=1
	s_mul_i32 s4, s28, s9
	s_ashr_i32 s5, s4, 31
	s_lshl_b64 s[4:5], s[4:5], 2
	s_add_u32 s28, s22, s4
	s_addc_u32 s4, s23, s5
	s_and_b32 s29, s4, 0xffff
	buffer_load_dwordx4 v[16:19], v33, s[28:31], 0 offen
	buffer_load_dwordx4 v[20:23], v33, s[28:31], 16 offen
	;; [unrolled: 1-line block ×4, first 2 shown]
	s_waitcnt vmcnt(3)
	v_pk_mul_f32 v[16:17], v[0:1], v[16:17]
	v_pk_mul_f32 v[18:19], v[2:3], v[18:19]
	v_max3_f32 v40, |v16|, s43, |v17|
	s_waitcnt vmcnt(2)
	v_pk_mul_f32 v[20:21], v[4:5], v[20:21]
	v_max3_f32 v40, v40, |v18|, |v19|
	v_pk_mul_f32 v[22:23], v[6:7], v[22:23]
	v_max3_f32 v40, v40, |v20|, |v21|
	s_waitcnt vmcnt(1)
	v_pk_mul_f32 v[24:25], v[8:9], v[24:25]
	v_max3_f32 v40, v40, |v22|, |v23|
	v_pk_mul_f32 v[26:27], v[10:11], v[26:27]
	v_max3_f32 v40, v40, |v24|, |v25|
	;; [unrolled: 5-line block ×3, first 2 shown]
	v_max3_f32 v40, v40, |v30|, |v31|
	s_nop 1
	v_mov_b32_dpp v41, v40 quad_perm:[1,0,3,2] row_mask:0xf bank_mask:0xf
	v_cmp_gt_f32_e64 s[4:5], v40, v41
	v_cndmask_b32_e64 v40, v41, v40, s[4:5]
	s_nop 1
	v_mov_b32_dpp v41, v40 quad_perm:[2,3,0,1] row_mask:0xf bank_mask:0xf
	v_cmp_gt_f32_e64 s[4:5], v40, v41
	v_cndmask_b32_e64 v40, v41, v40, s[4:5]
	s_nop 1
	v_mov_b32_dpp v41, v40 row_half_mirror row_mask:0xf bank_mask:0xf
	v_cmp_gt_f32_e64 s[4:5], v40, v41
	v_cndmask_b32_e64 v40, v41, v40, s[4:5]
	s_nop 1
	v_mov_b32_dpp v41, v40 row_mirror row_mask:0xf bank_mask:0xf
	v_cmp_gt_f32_e64 s[4:5], v40, v41
	v_cndmask_b32_e64 v40, v41, v40, s[4:5]
	s_nop 1
	v_mov_b32_dpp v41, v40 row_bcast:15 row_mask:0xf bank_mask:0xf
	v_cmp_gt_f32_e64 s[4:5], v40, v41
	v_cndmask_b32_e64 v40, v41, v40, s[4:5]
	s_nop 1
	v_mov_b32_dpp v41, v40 row_bcast:31 row_mask:0xf bank_mask:0xf
	s_and_saveexec_b64 s[28:29], s[0:1]
	s_cbranch_execz .LBB128_31
; %bb.30:                               ;   in Loop: Header=BB128_24 Depth=1
	v_cmp_gt_f32_e64 s[4:5], v40, v41
	v_cndmask_b32_e64 v40, v41, v40, s[4:5]
	ds_write_b32 v34, v40
.LBB128_31:                             ;   in Loop: Header=BB128_24 Depth=1
	s_or_b64 exec, exec, s[28:29]
	s_waitcnt lgkmcnt(0)
	s_barrier
	ds_read_b32 v40, v35
	s_mul_i32 s27, s27, s13
	s_waitcnt lgkmcnt(0)
	v_mov_b32_dpp v41, v40 quad_perm:[1,0,3,2] row_mask:0xf bank_mask:0xf
	v_cmp_gt_f32_e64 s[4:5], v40, v41
	v_cndmask_b32_e64 v40, v41, v40, s[4:5]
	s_nop 1
	v_mov_b32_dpp v41, v40 quad_perm:[2,3,0,1] row_mask:0xf bank_mask:0xf
	v_cmp_gt_f32_e64 s[4:5], v40, v41
	v_cndmask_b32_e64 v40, v41, v40, s[4:5]
	s_nop 1
	v_mov_b32_dpp v41, v40 row_half_mirror row_mask:0xf bank_mask:0xf
	v_cmp_gt_f32_e64 s[4:5], v40, v41
	v_cndmask_b32_e64 v40, v41, v40, s[4:5]
	s_mul_i32 s4, s36, s14
	v_mul_f32_e32 v40, 0x3c010204, v40
	s_add_i32 s28, s4, s27
	s_and_saveexec_b64 s[4:5], vcc
	s_cbranch_execz .LBB128_33
; %bb.32:                               ;   in Loop: Header=BB128_24 Depth=1
	s_ashr_i32 s29, s28, 31
	s_lshl_b64 s[36:37], s[28:29], 2
	s_add_u32 s36, s18, s36
	s_addc_u32 s37, s19, s37
	global_store_dword v39, v40, s[36:37]
.LBB128_33:                             ;   in Loop: Header=BB128_24 Depth=1
	s_or_b64 exec, exec, s[4:5]
	s_and_saveexec_b64 s[4:5], s[2:3]
	s_cbranch_execz .LBB128_22
; %bb.34:                               ;   in Loop: Header=BB128_24 Depth=1
	v_rcp_f32_e32 v40, v40
	s_mul_i32 s27, s28, s15
	s_mul_hi_i32 s7, s28, s15
	s_add_u32 s36, s16, s27
	v_mov_b32_e32 v41, v40
	;;#ASMSTART
	v_pk_mul_f32 v[16:17], v[16:17], v[40:41]
	;;#ASMEND
	v_cvt_i32_f32_e32 v42, v16
	v_cvt_i32_f32_sdwa v43, v17 dst_sel:BYTE_1 dst_unused:UNUSED_PAD src0_sel:DWORD
	;;#ASMSTART
	v_pk_mul_f32 v[16:17], v[18:19], v[40:41]
	;;#ASMEND
	v_cvt_i32_f32_e32 v18, v16
	v_cvt_i32_f32_sdwa v19, v17 dst_sel:BYTE_1 dst_unused:UNUSED_PAD src0_sel:DWORD
	;;#ASMSTART
	v_pk_mul_f32 v[16:17], v[20:21], v[40:41]
	;;#ASMEND
	v_cvt_i32_f32_e32 v20, v16
	v_cvt_i32_f32_sdwa v21, v17 dst_sel:BYTE_1 dst_unused:UNUSED_PAD src0_sel:DWORD
	;;#ASMSTART
	v_pk_mul_f32 v[16:17], v[22:23], v[40:41]
	;;#ASMEND
	v_cvt_i32_f32_e32 v22, v16
	v_cvt_i32_f32_sdwa v23, v17 dst_sel:BYTE_1 dst_unused:UNUSED_PAD src0_sel:DWORD
	;;#ASMSTART
	v_pk_mul_f32 v[16:17], v[24:25], v[40:41]
	;;#ASMEND
	v_cvt_i32_f32_e32 v24, v16
	v_cvt_i32_f32_sdwa v25, v17 dst_sel:BYTE_1 dst_unused:UNUSED_PAD src0_sel:DWORD
	;;#ASMSTART
	v_pk_mul_f32 v[16:17], v[26:27], v[40:41]
	;;#ASMEND
	v_cvt_i32_f32_e32 v26, v16
	v_cvt_i32_f32_sdwa v27, v17 dst_sel:BYTE_1 dst_unused:UNUSED_PAD src0_sel:DWORD
	;;#ASMSTART
	v_pk_mul_f32 v[16:17], v[28:29], v[40:41]
	;;#ASMEND
	v_cvt_i32_f32_e32 v28, v16
	v_cvt_i32_f32_sdwa v29, v17 dst_sel:BYTE_1 dst_unused:UNUSED_PAD src0_sel:DWORD
	;;#ASMSTART
	v_pk_mul_f32 v[16:17], v[30:31], v[40:41]
	;;#ASMEND
	v_cvt_i32_f32_e32 v30, v16
	v_cvt_i32_f32_sdwa v31, v17 dst_sel:BYTE_1 dst_unused:UNUSED_PAD src0_sel:DWORD
	v_or_b32_sdwa v16, v42, v43 dst_sel:DWORD dst_unused:UNUSED_PAD src0_sel:BYTE_0 src1_sel:DWORD
	v_or_b32_sdwa v17, v18, v19 dst_sel:WORD_1 dst_unused:UNUSED_PAD src0_sel:BYTE_0 src1_sel:DWORD
	v_or_b32_sdwa v16, v16, v17 dst_sel:DWORD dst_unused:UNUSED_PAD src0_sel:WORD_0 src1_sel:DWORD
	v_or_b32_sdwa v17, v20, v21 dst_sel:DWORD dst_unused:UNUSED_PAD src0_sel:BYTE_0 src1_sel:DWORD
	v_or_b32_sdwa v18, v22, v23 dst_sel:WORD_1 dst_unused:UNUSED_PAD src0_sel:BYTE_0 src1_sel:DWORD
	v_or_b32_sdwa v17, v17, v18 dst_sel:DWORD dst_unused:UNUSED_PAD src0_sel:WORD_0 src1_sel:DWORD
	v_or_b32_sdwa v18, v24, v25 dst_sel:DWORD dst_unused:UNUSED_PAD src0_sel:BYTE_0 src1_sel:DWORD
	v_or_b32_sdwa v19, v26, v27 dst_sel:WORD_1 dst_unused:UNUSED_PAD src0_sel:BYTE_0 src1_sel:DWORD
	s_addc_u32 s7, s17, s7
	v_or_b32_sdwa v18, v18, v19 dst_sel:DWORD dst_unused:UNUSED_PAD src0_sel:WORD_0 src1_sel:DWORD
	v_or_b32_sdwa v19, v28, v29 dst_sel:DWORD dst_unused:UNUSED_PAD src0_sel:BYTE_0 src1_sel:DWORD
	v_or_b32_sdwa v20, v30, v31 dst_sel:WORD_1 dst_unused:UNUSED_PAD src0_sel:BYTE_0 src1_sel:DWORD
	s_and_b32 s37, s7, 0xffff
	s_mov_b32 s39, s31
	v_or_b32_sdwa v19, v19, v20 dst_sel:DWORD dst_unused:UNUSED_PAD src0_sel:WORD_0 src1_sel:DWORD
	buffer_store_dwordx4 v[16:19], v36, s[36:39], 0 offen
	;;#ASMSTART
	s_nop 0
	;;#ASMEND
	s_branch .LBB128_22
.LBB128_35:
	s_endpgm
	.section	.rodata,"a",@progbits
	.p2align	6, 0x0
	.amdhsa_kernel _ZN5aiter36smooth_per_token_scaled_quant_kernelIDF16_aLi512ELi16ELb0ELb1ELb1ELi1024EEEvPT0_PfPT_S3_PiS6_iiPKiiiiiiiii
		.amdhsa_group_segment_fixed_size 4128
		.amdhsa_private_segment_fixed_size 0
		.amdhsa_kernarg_size 96
		.amdhsa_user_sgpr_count 6
		.amdhsa_user_sgpr_private_segment_buffer 1
		.amdhsa_user_sgpr_dispatch_ptr 0
		.amdhsa_user_sgpr_queue_ptr 0
		.amdhsa_user_sgpr_kernarg_segment_ptr 1
		.amdhsa_user_sgpr_dispatch_id 0
		.amdhsa_user_sgpr_flat_scratch_init 0
		.amdhsa_user_sgpr_kernarg_preload_length 0
		.amdhsa_user_sgpr_kernarg_preload_offset 0
		.amdhsa_user_sgpr_private_segment_size 0
		.amdhsa_uses_dynamic_stack 0
		.amdhsa_system_sgpr_private_segment_wavefront_offset 0
		.amdhsa_system_sgpr_workgroup_id_x 1
		.amdhsa_system_sgpr_workgroup_id_y 0
		.amdhsa_system_sgpr_workgroup_id_z 0
		.amdhsa_system_sgpr_workgroup_info 0
		.amdhsa_system_vgpr_workitem_id 0
		.amdhsa_next_free_vgpr 44
		.amdhsa_next_free_sgpr 44
		.amdhsa_accum_offset 44
		.amdhsa_reserve_vcc 1
		.amdhsa_reserve_flat_scratch 0
		.amdhsa_float_round_mode_32 0
		.amdhsa_float_round_mode_16_64 0
		.amdhsa_float_denorm_mode_32 3
		.amdhsa_float_denorm_mode_16_64 3
		.amdhsa_dx10_clamp 1
		.amdhsa_ieee_mode 1
		.amdhsa_fp16_overflow 0
		.amdhsa_tg_split 0
		.amdhsa_exception_fp_ieee_invalid_op 0
		.amdhsa_exception_fp_denorm_src 0
		.amdhsa_exception_fp_ieee_div_zero 0
		.amdhsa_exception_fp_ieee_overflow 0
		.amdhsa_exception_fp_ieee_underflow 0
		.amdhsa_exception_fp_ieee_inexact 0
		.amdhsa_exception_int_div_zero 0
	.end_amdhsa_kernel
	.section	.text._ZN5aiter36smooth_per_token_scaled_quant_kernelIDF16_aLi512ELi16ELb0ELb1ELb1ELi1024EEEvPT0_PfPT_S3_PiS6_iiPKiiiiiiiii,"axG",@progbits,_ZN5aiter36smooth_per_token_scaled_quant_kernelIDF16_aLi512ELi16ELb0ELb1ELb1ELi1024EEEvPT0_PfPT_S3_PiS6_iiPKiiiiiiiii,comdat
.Lfunc_end128:
	.size	_ZN5aiter36smooth_per_token_scaled_quant_kernelIDF16_aLi512ELi16ELb0ELb1ELb1ELi1024EEEvPT0_PfPT_S3_PiS6_iiPKiiiiiiiii, .Lfunc_end128-_ZN5aiter36smooth_per_token_scaled_quant_kernelIDF16_aLi512ELi16ELb0ELb1ELb1ELi1024EEEvPT0_PfPT_S3_PiS6_iiPKiiiiiiiii
                                        ; -- End function
	.section	.AMDGPU.csdata,"",@progbits
; Kernel info:
; codeLenInByte = 3044
; NumSgprs: 48
; NumVgprs: 44
; NumAgprs: 0
; TotalNumVgprs: 44
; ScratchSize: 0
; MemoryBound: 0
; FloatMode: 240
; IeeeMode: 1
; LDSByteSize: 4128 bytes/workgroup (compile time only)
; SGPRBlocks: 5
; VGPRBlocks: 5
; NumSGPRsForWavesPerEU: 48
; NumVGPRsForWavesPerEU: 44
; AccumOffset: 44
; Occupancy: 8
; WaveLimiterHint : 0
; COMPUTE_PGM_RSRC2:SCRATCH_EN: 0
; COMPUTE_PGM_RSRC2:USER_SGPR: 6
; COMPUTE_PGM_RSRC2:TRAP_HANDLER: 0
; COMPUTE_PGM_RSRC2:TGID_X_EN: 1
; COMPUTE_PGM_RSRC2:TGID_Y_EN: 0
; COMPUTE_PGM_RSRC2:TGID_Z_EN: 0
; COMPUTE_PGM_RSRC2:TIDIG_COMP_CNT: 0
; COMPUTE_PGM_RSRC3_GFX90A:ACCUM_OFFSET: 10
; COMPUTE_PGM_RSRC3_GFX90A:TG_SPLIT: 0
	.section	.text._ZN5aiter36smooth_per_token_scaled_quant_kernelItaLi512ELi16ELb0ELb1ELb1ELi1024EEEvPT0_PfPT_S3_PiS6_iiPKiiiiiiiii,"axG",@progbits,_ZN5aiter36smooth_per_token_scaled_quant_kernelItaLi512ELi16ELb0ELb1ELb1ELi1024EEEvPT0_PfPT_S3_PiS6_iiPKiiiiiiiii,comdat
	.protected	_ZN5aiter36smooth_per_token_scaled_quant_kernelItaLi512ELi16ELb0ELb1ELb1ELi1024EEEvPT0_PfPT_S3_PiS6_iiPKiiiiiiiii ; -- Begin function _ZN5aiter36smooth_per_token_scaled_quant_kernelItaLi512ELi16ELb0ELb1ELb1ELi1024EEEvPT0_PfPT_S3_PiS6_iiPKiiiiiiiii
	.globl	_ZN5aiter36smooth_per_token_scaled_quant_kernelItaLi512ELi16ELb0ELb1ELb1ELi1024EEEvPT0_PfPT_S3_PiS6_iiPKiiiiiiiii
	.p2align	8
	.type	_ZN5aiter36smooth_per_token_scaled_quant_kernelItaLi512ELi16ELb0ELb1ELb1ELi1024EEEvPT0_PfPT_S3_PiS6_iiPKiiiiiiiii,@function
_ZN5aiter36smooth_per_token_scaled_quant_kernelItaLi512ELi16ELb0ELb1ELb1ELi1024EEEvPT0_PfPT_S3_PiS6_iiPKiiiiiiiii: ; @_ZN5aiter36smooth_per_token_scaled_quant_kernelItaLi512ELi16ELb0ELb1ELb1ELi1024EEEvPT0_PfPT_S3_PiS6_iiPKiiiiiiiii
; %bb.0:
	s_load_dwordx2 s[16:17], s[4:5], 0x38
	s_load_dwordx2 s[0:1], s[4:5], 0x28
	s_load_dwordx8 s[8:15], s[4:5], 0x40
	s_mov_b64 s[2:3], 0
	s_waitcnt lgkmcnt(0)
	s_cmp_lg_u64 s[16:17], 0
	s_cbranch_scc0 .LBB129_11
; %bb.1:
	s_load_dword s7, s[16:17], 0x0
	s_waitcnt lgkmcnt(0)
	s_mul_i32 s7, s7, s8
	s_andn2_b64 vcc, exec, s[2:3]
	s_cbranch_vccnz .LBB129_3
.LBB129_2:
	s_mul_i32 s7, s10, s9
.LBB129_3:
	s_load_dwordx2 s[8:9], s[4:5], 0x30
	s_lshl_b32 s2, s15, 2
	v_and_b32_e32 v1, 0x3c0, v0
	v_lshlrev_b32_e32 v1, 2, v1
	v_lshlrev_b32_e32 v2, 2, v0
	s_waitcnt lgkmcnt(0)
	s_abs_i32 s15, s8
	v_cvt_f32_u32_e32 v3, s15
	v_readfirstlane_b32 s16, v1
	v_add_u32_e32 v1, 0x800, v1
	s_and_b32 s1, s1, 0xffff
	v_rcp_iflag_f32_e32 v3, v3
	s_mov_b32 s3, 0x20000
	;;#ASMSTART
	s_mov_b32 m0 s16
	buffer_load_dword v2, s[0:3], 0 offen offset:0 lds
	
	;;#ASMEND
	v_readfirstlane_b32 s18, v1
	v_add_u32_e32 v1, 0x800, v2
	v_mul_f32_e32 v2, 0x4f7ffffe, v3
	v_cvt_u32_f32_e32 v2, v2
	s_sub_i32 s19, 0, s15
	s_abs_i32 s17, s7
	s_xor_b32 s16, s7, s8
	v_readfirstlane_b32 s20, v2
	s_mul_i32 s19, s19, s20
	s_mul_hi_u32 s19, s20, s19
	s_add_i32 s20, s20, s19
	s_mul_hi_u32 s19, s17, s20
	s_mul_i32 s20, s19, s15
	s_sub_i32 s17, s17, s20
	s_ashr_i32 s16, s16, 31
	s_add_i32 s20, s19, 1
	s_sub_i32 s21, s17, s15
	s_cmp_ge_u32 s17, s15
	s_cselect_b32 s19, s20, s19
	s_cselect_b32 s17, s21, s17
	s_add_i32 s20, s19, 1
	s_cmp_ge_u32 s17, s15
	s_cselect_b32 s15, s20, s19
	s_xor_b32 s15, s15, s16
	s_sub_i32 s15, s15, s16
	s_mul_i32 s8, s15, s8
	s_sub_i32 s8, s7, s8
	s_cmp_lt_u32 s6, s8
	;;#ASMSTART
	s_mov_b32 m0 s18
	buffer_load_dword v1, s[0:3], 0 offen offset:0 lds
	
	;;#ASMEND
	s_cselect_b64 s[16:17], -1, 0
	s_add_i32 s7, s15, 1
	s_cmp_ge_u32 s6, s8
	s_cbranch_scc0 .LBB129_5
; %bb.4:
	s_sub_i32 s1, s6, s8
	s_mul_i32 s0, s8, s7
	s_mul_i32 s1, s1, s15
	s_add_i32 s34, s1, s0
	s_cbranch_execz .LBB129_6
	s_branch .LBB129_7
.LBB129_5:
                                        ; implicit-def: $sgpr34
.LBB129_6:
	s_mul_i32 s34, s7, s6
.LBB129_7:
	v_cndmask_b32_e64 v1, 0, 1, s[16:17]
	v_readfirstlane_b32 s0, v1
	s_add_i32 s8, s15, s0
	s_cmp_lt_i32 s8, 1
	s_cbranch_scc1 .LBB129_35
; %bb.8:
	s_load_dwordx2 s[0:1], s[4:5], 0x20
	s_ashr_i32 s35, s34, 31
	s_lshl_b64 s[2:3], s[34:35], 2
	v_and_b32_e32 v1, 63, v0
	s_mov_b32 s27, 0x20000
	s_waitcnt lgkmcnt(0)
	s_add_u32 s24, s0, s2
	s_addc_u32 s0, s1, s3
	s_lshl_b32 s26, s8, 2
	s_and_b32 s25, s0, 0xffff
	v_lshlrev_b32_e32 v38, 2, v1
	buffer_load_dword v2, v38, s[24:27], 0 offen
	s_abs_i32 s40, s10
	v_cmp_eq_u32_e64 s[0:1], 63, v1
	v_cvt_f32_u32_e32 v1, s40
	s_add_i32 s2, s9, 15
	s_load_dwordx8 s[16:23], s[4:5], 0x0
	s_ashr_i32 s4, s2, 31
	v_rcp_iflag_f32_e32 v1, v1
	s_waitcnt vmcnt(0) lgkmcnt(0)
	s_barrier
	v_mul_f32_e32 v1, 0x4f7ffffe, v1
	v_cvt_u32_f32_e32 v1, v1
	s_add_i32 s3, s9, 3
	s_lshr_b32 s4, s4, 28
	s_ashr_i32 s5, s3, 31
	s_add_i32 s2, s2, s4
	s_sub_i32 s4, 0, s40
	v_readfirstlane_b32 s41, v1
	s_lshr_b32 s5, s5, 30
	s_mul_i32 s4, s4, s41
	s_add_i32 s3, s3, s5
	s_mul_hi_u32 s4, s41, s4
	v_lshrrev_b32_e32 v3, 4, v0
	v_mov_b32_e32 v4, 0x1000
	v_and_b32_e32 v5, 7, v0
	s_lshl_b32 s6, s9, 1
	s_lshl_b32 s30, s9, 2
	s_ashr_i32 s33, s10, 31
	s_ashr_i32 s2, s2, 4
	s_and_b32 s38, s3, -4
	s_add_i32 s41, s41, s4
	s_mov_b32 s15, s9
	v_lshlrev_b32_e32 v32, 5, v0
	v_lshlrev_b32_e32 v33, 6, v0
	v_cmp_eq_u32_e32 vcc, 0, v0
	v_and_or_b32 v34, v3, 60, v4
	v_lshl_or_b32 v35, v5, 2, v4
	v_cmp_gt_u32_e64 s[2:3], s2, v0
	v_lshlrev_b32_e32 v36, 4, v0
	v_lshlrev_b32_e32 v2, 2, v2
	ds_read_b32 v37, v2
	s_waitcnt lgkmcnt(0)
	v_readlane_b32 s28, v37, 0
	s_cmp_lt_i32 s28, 0
	s_cbranch_scc1 .LBB129_12
; %bb.9:
	s_abs_i32 s4, s34
	s_mul_hi_u32 s5, s4, s41
	s_mul_i32 s27, s5, s40
	s_sub_i32 s4, s4, s27
	s_xor_b32 s7, s35, s33
	s_add_i32 s27, s5, 1
	s_sub_i32 s29, s4, s40
	s_cmp_ge_u32 s4, s40
	s_cselect_b32 s5, s27, s5
	s_cselect_b32 s4, s29, s4
	s_add_i32 s27, s5, 1
	s_cmp_ge_u32 s4, s40
	s_cselect_b32 s4, s27, s5
	s_xor_b32 s4, s4, s7
	s_sub_i32 s27, s4, s7
	s_mul_i32 s4, s27, s10
	s_sub_i32 s36, s34, s4
	s_mul_i32 s4, s36, s12
	s_mul_i32 s5, s27, s11
	s_add_i32 s35, s4, s5
	s_cmp_eq_u32 s35, -1
	s_cbranch_scc1 .LBB129_13
; %bb.10:
	s_mul_hi_i32 s5, s35, s15
	s_mul_i32 s4, s35, s15
	s_lshl_b64 s[4:5], s[4:5], 1
	s_add_u32 s4, s20, s4
	s_addc_u32 s5, s21, s5
	s_and_b32 s5, s5, 0xffff
	s_mov_b32 s7, 0x20000
	buffer_load_dwordx4 v[6:9], v32, s[4:7], 0 offen
	buffer_load_dwordx4 v[14:17], v32, s[4:7], 16 offen
	s_waitcnt vmcnt(1)
	v_cvt_f32_u32_sdwa v1, v6 dst_sel:DWORD dst_unused:UNUSED_PAD src0_sel:WORD_1
	v_cvt_f32_u32_sdwa v0, v6 dst_sel:DWORD dst_unused:UNUSED_PAD src0_sel:WORD_0
	v_cvt_f32_u32_sdwa v3, v7 dst_sel:DWORD dst_unused:UNUSED_PAD src0_sel:WORD_1
	v_cvt_f32_u32_sdwa v2, v7 dst_sel:DWORD dst_unused:UNUSED_PAD src0_sel:WORD_0
	;; [unrolled: 2-line block ×4, first 2 shown]
	s_waitcnt vmcnt(0)
	v_cvt_f32_u32_sdwa v9, v14 dst_sel:DWORD dst_unused:UNUSED_PAD src0_sel:WORD_1
	v_cvt_f32_u32_sdwa v8, v14 dst_sel:DWORD dst_unused:UNUSED_PAD src0_sel:WORD_0
	v_cvt_f32_u32_sdwa v11, v15 dst_sel:DWORD dst_unused:UNUSED_PAD src0_sel:WORD_1
	v_cvt_f32_u32_sdwa v10, v15 dst_sel:DWORD dst_unused:UNUSED_PAD src0_sel:WORD_0
	;; [unrolled: 2-line block ×4, first 2 shown]
	s_branch .LBB129_14
.LBB129_11:
                                        ; implicit-def: $sgpr7
	s_branch .LBB129_2
.LBB129_12:
	s_mov_b32 s35, -1
                                        ; implicit-def: $vgpr0_vgpr1_vgpr2_vgpr3_vgpr4_vgpr5_vgpr6_vgpr7_vgpr8_vgpr9_vgpr10_vgpr11_vgpr12_vgpr13_vgpr14_vgpr15
	s_cmp_eq_u32 s8, 1
	s_mov_b32 s42, 1
	s_cbranch_scc0 .LBB129_21
	s_branch .LBB129_35
.LBB129_13:
                                        ; implicit-def: $vgpr0_vgpr1_vgpr2_vgpr3_vgpr4_vgpr5_vgpr6_vgpr7_vgpr8_vgpr9_vgpr10_vgpr11_vgpr12_vgpr13_vgpr14_vgpr15
.LBB129_14:
	s_mul_i32 s4, s28, s9
	s_ashr_i32 s5, s4, 31
	s_lshl_b64 s[4:5], s[4:5], 2
	s_add_u32 s28, s22, s4
	s_addc_u32 s4, s23, s5
	s_and_b32 s29, s4, 0xffff
	s_mov_b32 s31, 0x20000
	buffer_load_dwordx4 v[16:19], v33, s[28:31], 0 offen
	buffer_load_dwordx4 v[20:23], v33, s[28:31], 16 offen
	;; [unrolled: 1-line block ×4, first 2 shown]
	s_mov_b32 s4, 0x2edbe6ff
	s_waitcnt vmcnt(3)
	v_pk_mul_f32 v[16:17], v[0:1], v[16:17]
	v_pk_mul_f32 v[18:19], v[2:3], v[18:19]
	v_max3_f32 v39, |v16|, s4, |v17|
	s_waitcnt vmcnt(2)
	v_pk_mul_f32 v[20:21], v[4:5], v[20:21]
	v_max3_f32 v39, v39, |v18|, |v19|
	v_pk_mul_f32 v[22:23], v[6:7], v[22:23]
	v_max3_f32 v39, v39, |v20|, |v21|
	s_waitcnt vmcnt(1)
	v_pk_mul_f32 v[24:25], v[8:9], v[24:25]
	v_max3_f32 v39, v39, |v22|, |v23|
	v_pk_mul_f32 v[26:27], v[10:11], v[26:27]
	v_max3_f32 v39, v39, |v24|, |v25|
	;; [unrolled: 5-line block ×3, first 2 shown]
	v_max3_f32 v39, v39, |v30|, |v31|
	s_nop 1
	v_mov_b32_dpp v40, v39 quad_perm:[1,0,3,2] row_mask:0xf bank_mask:0xf
	v_cmp_gt_f32_e64 s[4:5], v39, v40
	v_cndmask_b32_e64 v39, v40, v39, s[4:5]
	s_nop 1
	v_mov_b32_dpp v40, v39 quad_perm:[2,3,0,1] row_mask:0xf bank_mask:0xf
	v_cmp_gt_f32_e64 s[4:5], v39, v40
	v_cndmask_b32_e64 v39, v40, v39, s[4:5]
	s_nop 1
	v_mov_b32_dpp v40, v39 row_half_mirror row_mask:0xf bank_mask:0xf
	v_cmp_gt_f32_e64 s[4:5], v39, v40
	v_cndmask_b32_e64 v39, v40, v39, s[4:5]
	s_nop 1
	v_mov_b32_dpp v40, v39 row_mirror row_mask:0xf bank_mask:0xf
	v_cmp_gt_f32_e64 s[4:5], v39, v40
	v_cndmask_b32_e64 v39, v40, v39, s[4:5]
	s_nop 1
	v_mov_b32_dpp v40, v39 row_bcast:15 row_mask:0xf bank_mask:0xf
	v_cmp_gt_f32_e64 s[4:5], v39, v40
	v_cndmask_b32_e64 v39, v40, v39, s[4:5]
	s_nop 1
	v_mov_b32_dpp v40, v39 row_bcast:31 row_mask:0xf bank_mask:0xf
	s_and_saveexec_b64 s[28:29], s[0:1]
	s_cbranch_execz .LBB129_16
; %bb.15:
	v_cmp_gt_f32_e64 s[4:5], v39, v40
	v_cndmask_b32_e64 v39, v40, v39, s[4:5]
	ds_write_b32 v34, v39
.LBB129_16:
	s_or_b64 exec, exec, s[28:29]
	s_waitcnt lgkmcnt(0)
	s_barrier
	ds_read_b32 v39, v35
	s_mul_i32 s27, s27, s13
	s_waitcnt lgkmcnt(0)
	v_mov_b32_dpp v40, v39 quad_perm:[1,0,3,2] row_mask:0xf bank_mask:0xf
	v_cmp_gt_f32_e64 s[4:5], v39, v40
	v_cndmask_b32_e64 v39, v40, v39, s[4:5]
	s_nop 1
	v_mov_b32_dpp v40, v39 quad_perm:[2,3,0,1] row_mask:0xf bank_mask:0xf
	v_cmp_gt_f32_e64 s[4:5], v39, v40
	v_cndmask_b32_e64 v39, v40, v39, s[4:5]
	s_nop 1
	v_mov_b32_dpp v40, v39 row_half_mirror row_mask:0xf bank_mask:0xf
	v_cmp_gt_f32_e64 s[4:5], v39, v40
	v_cndmask_b32_e64 v39, v40, v39, s[4:5]
	s_mul_i32 s4, s36, s14
	v_mul_f32_e32 v39, 0x3c010204, v39
	s_add_i32 s28, s4, s27
	s_and_saveexec_b64 s[4:5], vcc
	s_cbranch_execz .LBB129_18
; %bb.17:
	s_ashr_i32 s29, s28, 31
	s_lshl_b64 s[36:37], s[28:29], 2
	s_add_u32 s36, s18, s36
	s_addc_u32 s37, s19, s37
	v_mov_b32_e32 v40, 0
	global_store_dword v40, v39, s[36:37]
.LBB129_18:
	s_or_b64 exec, exec, s[4:5]
	s_and_saveexec_b64 s[4:5], s[2:3]
	s_cbranch_execz .LBB129_20
; %bb.19:
	v_rcp_f32_e32 v40, v39
	s_mul_i32 s27, s28, s15
	s_mul_hi_i32 s7, s28, s15
	s_add_u32 s36, s16, s27
	v_mov_b32_e32 v41, v40
	;;#ASMSTART
	v_pk_mul_f32 v[16:17], v[16:17], v[40:41]
	;;#ASMEND
	v_cvt_i32_f32_e32 v39, v16
	v_cvt_i32_f32_sdwa v42, v17 dst_sel:BYTE_1 dst_unused:UNUSED_PAD src0_sel:DWORD
	;;#ASMSTART
	v_pk_mul_f32 v[16:17], v[18:19], v[40:41]
	;;#ASMEND
	v_cvt_i32_f32_e32 v18, v16
	v_cvt_i32_f32_sdwa v19, v17 dst_sel:BYTE_1 dst_unused:UNUSED_PAD src0_sel:DWORD
	;; [unrolled: 5-line block ×8, first 2 shown]
	v_or_b32_sdwa v16, v39, v42 dst_sel:DWORD dst_unused:UNUSED_PAD src0_sel:BYTE_0 src1_sel:DWORD
	v_or_b32_sdwa v17, v18, v19 dst_sel:WORD_1 dst_unused:UNUSED_PAD src0_sel:BYTE_0 src1_sel:DWORD
	v_or_b32_sdwa v16, v16, v17 dst_sel:DWORD dst_unused:UNUSED_PAD src0_sel:WORD_0 src1_sel:DWORD
	v_or_b32_sdwa v17, v20, v21 dst_sel:DWORD dst_unused:UNUSED_PAD src0_sel:BYTE_0 src1_sel:DWORD
	v_or_b32_sdwa v18, v22, v23 dst_sel:WORD_1 dst_unused:UNUSED_PAD src0_sel:BYTE_0 src1_sel:DWORD
	v_or_b32_sdwa v17, v17, v18 dst_sel:DWORD dst_unused:UNUSED_PAD src0_sel:WORD_0 src1_sel:DWORD
	v_or_b32_sdwa v18, v24, v25 dst_sel:DWORD dst_unused:UNUSED_PAD src0_sel:BYTE_0 src1_sel:DWORD
	v_or_b32_sdwa v19, v26, v27 dst_sel:WORD_1 dst_unused:UNUSED_PAD src0_sel:BYTE_0 src1_sel:DWORD
	s_addc_u32 s7, s17, s7
	v_or_b32_sdwa v18, v18, v19 dst_sel:DWORD dst_unused:UNUSED_PAD src0_sel:WORD_0 src1_sel:DWORD
	v_or_b32_sdwa v19, v28, v29 dst_sel:DWORD dst_unused:UNUSED_PAD src0_sel:BYTE_0 src1_sel:DWORD
	v_or_b32_sdwa v20, v30, v31 dst_sel:WORD_1 dst_unused:UNUSED_PAD src0_sel:BYTE_0 src1_sel:DWORD
	s_and_b32 s37, s7, 0xffff
	s_mov_b32 s39, 0x20000
	v_or_b32_sdwa v19, v19, v20 dst_sel:DWORD dst_unused:UNUSED_PAD src0_sel:WORD_0 src1_sel:DWORD
	buffer_store_dwordx4 v[16:19], v36, s[36:39], 0 offen
	;;#ASMSTART
	s_nop 0
	;;#ASMEND
.LBB129_20:
	s_or_b64 exec, exec, s[4:5]
	s_cmp_eq_u32 s8, 1
	s_mov_b32 s42, 1
	s_cbranch_scc1 .LBB129_35
.LBB129_21:
	v_add_u32_e32 v38, 4, v38
	s_mov_b32 s31, 0x20000
	s_mov_b32 s43, 0x2edbe6ff
	v_mov_b32_e32 v39, 0
	s_branch .LBB129_24
.LBB129_22:                             ;   in Loop: Header=BB129_24 Depth=1
	s_or_b64 exec, exec, s[4:5]
.LBB129_23:                             ;   in Loop: Header=BB129_24 Depth=1
	s_add_i32 s42, s42, 1
	s_cmp_eq_u32 s8, s42
	v_add_u32_e32 v38, 4, v38
	s_cbranch_scc1 .LBB129_35
.LBB129_24:                             ; =>This Inner Loop Header: Depth=1
	s_and_b32 s4, s42, 63
	s_cmp_lg_u32 s4, 0
	s_cbranch_scc1 .LBB129_26
; %bb.25:                               ;   in Loop: Header=BB129_24 Depth=1
	s_mov_b32 s27, s31
	buffer_load_dword v16, v38, s[24:27], 0 offen
	s_waitcnt vmcnt(0)
	v_lshlrev_b32_e32 v16, 2, v16
	ds_read_b32 v37, v16
.LBB129_26:                             ;   in Loop: Header=BB129_24 Depth=1
	s_waitcnt lgkmcnt(0)
	v_readlane_b32 s28, v37, s4
	s_cmp_lt_i32 s28, 0
	s_cbranch_scc1 .LBB129_23
; %bb.27:                               ;   in Loop: Header=BB129_24 Depth=1
	s_add_i32 s4, s34, s42
	s_abs_i32 s7, s4
	s_mul_hi_u32 s27, s7, s41
	s_mul_i32 s29, s27, s40
	s_ashr_i32 s5, s4, 31
	s_sub_i32 s7, s7, s29
	s_xor_b32 s5, s5, s33
	s_add_i32 s29, s27, 1
	s_sub_i32 s36, s7, s40
	s_cmp_ge_u32 s7, s40
	s_cselect_b32 s27, s29, s27
	s_cselect_b32 s7, s36, s7
	s_add_i32 s29, s27, 1
	s_cmp_ge_u32 s7, s40
	s_cselect_b32 s7, s29, s27
	s_xor_b32 s7, s7, s5
	s_sub_i32 s27, s7, s5
	s_mul_i32 s5, s27, s10
	s_sub_i32 s36, s4, s5
	s_mul_i32 s29, s36, s12
	s_mul_i32 s4, s27, s11
	s_add_i32 s29, s29, s4
	s_cmp_eq_u32 s29, s35
	s_cbranch_scc1 .LBB129_29
; %bb.28:                               ;   in Loop: Header=BB129_24 Depth=1
	s_mul_hi_i32 s5, s29, s15
	s_mul_i32 s4, s29, s15
	s_lshl_b64 s[4:5], s[4:5], 1
	s_add_u32 s4, s20, s4
	s_addc_u32 s5, s21, s5
	s_and_b32 s5, s5, 0xffff
	s_mov_b32 s7, s31
	buffer_load_dwordx4 v[6:9], v32, s[4:7], 0 offen
	buffer_load_dwordx4 v[14:17], v32, s[4:7], 16 offen
	s_mov_b32 s35, s29
	s_waitcnt vmcnt(1)
	v_cvt_f32_u32_sdwa v1, v6 dst_sel:DWORD dst_unused:UNUSED_PAD src0_sel:WORD_1
	v_cvt_f32_u32_sdwa v0, v6 dst_sel:DWORD dst_unused:UNUSED_PAD src0_sel:WORD_0
	v_cvt_f32_u32_sdwa v3, v7 dst_sel:DWORD dst_unused:UNUSED_PAD src0_sel:WORD_1
	v_cvt_f32_u32_sdwa v2, v7 dst_sel:DWORD dst_unused:UNUSED_PAD src0_sel:WORD_0
	;; [unrolled: 2-line block ×4, first 2 shown]
	s_waitcnt vmcnt(0)
	v_cvt_f32_u32_sdwa v9, v14 dst_sel:DWORD dst_unused:UNUSED_PAD src0_sel:WORD_1
	v_cvt_f32_u32_sdwa v8, v14 dst_sel:DWORD dst_unused:UNUSED_PAD src0_sel:WORD_0
	v_cvt_f32_u32_sdwa v11, v15 dst_sel:DWORD dst_unused:UNUSED_PAD src0_sel:WORD_1
	v_cvt_f32_u32_sdwa v10, v15 dst_sel:DWORD dst_unused:UNUSED_PAD src0_sel:WORD_0
	;; [unrolled: 2-line block ×4, first 2 shown]
.LBB129_29:                             ;   in Loop: Header=BB129_24 Depth=1
	s_mul_i32 s4, s28, s9
	s_ashr_i32 s5, s4, 31
	s_lshl_b64 s[4:5], s[4:5], 2
	s_add_u32 s28, s22, s4
	s_addc_u32 s4, s23, s5
	s_and_b32 s29, s4, 0xffff
	buffer_load_dwordx4 v[16:19], v33, s[28:31], 0 offen
	buffer_load_dwordx4 v[20:23], v33, s[28:31], 16 offen
	;; [unrolled: 1-line block ×4, first 2 shown]
	s_waitcnt vmcnt(3)
	v_pk_mul_f32 v[16:17], v[0:1], v[16:17]
	v_pk_mul_f32 v[18:19], v[2:3], v[18:19]
	v_max3_f32 v40, |v16|, s43, |v17|
	s_waitcnt vmcnt(2)
	v_pk_mul_f32 v[20:21], v[4:5], v[20:21]
	v_max3_f32 v40, v40, |v18|, |v19|
	v_pk_mul_f32 v[22:23], v[6:7], v[22:23]
	v_max3_f32 v40, v40, |v20|, |v21|
	s_waitcnt vmcnt(1)
	v_pk_mul_f32 v[24:25], v[8:9], v[24:25]
	v_max3_f32 v40, v40, |v22|, |v23|
	v_pk_mul_f32 v[26:27], v[10:11], v[26:27]
	v_max3_f32 v40, v40, |v24|, |v25|
	;; [unrolled: 5-line block ×3, first 2 shown]
	v_max3_f32 v40, v40, |v30|, |v31|
	s_nop 1
	v_mov_b32_dpp v41, v40 quad_perm:[1,0,3,2] row_mask:0xf bank_mask:0xf
	v_cmp_gt_f32_e64 s[4:5], v40, v41
	v_cndmask_b32_e64 v40, v41, v40, s[4:5]
	s_nop 1
	v_mov_b32_dpp v41, v40 quad_perm:[2,3,0,1] row_mask:0xf bank_mask:0xf
	v_cmp_gt_f32_e64 s[4:5], v40, v41
	v_cndmask_b32_e64 v40, v41, v40, s[4:5]
	s_nop 1
	v_mov_b32_dpp v41, v40 row_half_mirror row_mask:0xf bank_mask:0xf
	v_cmp_gt_f32_e64 s[4:5], v40, v41
	v_cndmask_b32_e64 v40, v41, v40, s[4:5]
	s_nop 1
	v_mov_b32_dpp v41, v40 row_mirror row_mask:0xf bank_mask:0xf
	v_cmp_gt_f32_e64 s[4:5], v40, v41
	v_cndmask_b32_e64 v40, v41, v40, s[4:5]
	s_nop 1
	v_mov_b32_dpp v41, v40 row_bcast:15 row_mask:0xf bank_mask:0xf
	v_cmp_gt_f32_e64 s[4:5], v40, v41
	v_cndmask_b32_e64 v40, v41, v40, s[4:5]
	s_nop 1
	v_mov_b32_dpp v41, v40 row_bcast:31 row_mask:0xf bank_mask:0xf
	s_and_saveexec_b64 s[28:29], s[0:1]
	s_cbranch_execz .LBB129_31
; %bb.30:                               ;   in Loop: Header=BB129_24 Depth=1
	v_cmp_gt_f32_e64 s[4:5], v40, v41
	v_cndmask_b32_e64 v40, v41, v40, s[4:5]
	ds_write_b32 v34, v40
.LBB129_31:                             ;   in Loop: Header=BB129_24 Depth=1
	s_or_b64 exec, exec, s[28:29]
	s_waitcnt lgkmcnt(0)
	s_barrier
	ds_read_b32 v40, v35
	s_mul_i32 s27, s27, s13
	s_waitcnt lgkmcnt(0)
	v_mov_b32_dpp v41, v40 quad_perm:[1,0,3,2] row_mask:0xf bank_mask:0xf
	v_cmp_gt_f32_e64 s[4:5], v40, v41
	v_cndmask_b32_e64 v40, v41, v40, s[4:5]
	s_nop 1
	v_mov_b32_dpp v41, v40 quad_perm:[2,3,0,1] row_mask:0xf bank_mask:0xf
	v_cmp_gt_f32_e64 s[4:5], v40, v41
	v_cndmask_b32_e64 v40, v41, v40, s[4:5]
	s_nop 1
	v_mov_b32_dpp v41, v40 row_half_mirror row_mask:0xf bank_mask:0xf
	v_cmp_gt_f32_e64 s[4:5], v40, v41
	v_cndmask_b32_e64 v40, v41, v40, s[4:5]
	s_mul_i32 s4, s36, s14
	v_mul_f32_e32 v40, 0x3c010204, v40
	s_add_i32 s28, s4, s27
	s_and_saveexec_b64 s[4:5], vcc
	s_cbranch_execz .LBB129_33
; %bb.32:                               ;   in Loop: Header=BB129_24 Depth=1
	s_ashr_i32 s29, s28, 31
	s_lshl_b64 s[36:37], s[28:29], 2
	s_add_u32 s36, s18, s36
	s_addc_u32 s37, s19, s37
	global_store_dword v39, v40, s[36:37]
.LBB129_33:                             ;   in Loop: Header=BB129_24 Depth=1
	s_or_b64 exec, exec, s[4:5]
	s_and_saveexec_b64 s[4:5], s[2:3]
	s_cbranch_execz .LBB129_22
; %bb.34:                               ;   in Loop: Header=BB129_24 Depth=1
	v_rcp_f32_e32 v40, v40
	s_mul_i32 s27, s28, s15
	s_mul_hi_i32 s7, s28, s15
	s_add_u32 s36, s16, s27
	v_mov_b32_e32 v41, v40
	;;#ASMSTART
	v_pk_mul_f32 v[16:17], v[16:17], v[40:41]
	;;#ASMEND
	v_cvt_i32_f32_e32 v42, v16
	v_cvt_i32_f32_sdwa v43, v17 dst_sel:BYTE_1 dst_unused:UNUSED_PAD src0_sel:DWORD
	;;#ASMSTART
	v_pk_mul_f32 v[16:17], v[18:19], v[40:41]
	;;#ASMEND
	v_cvt_i32_f32_e32 v18, v16
	v_cvt_i32_f32_sdwa v19, v17 dst_sel:BYTE_1 dst_unused:UNUSED_PAD src0_sel:DWORD
	;; [unrolled: 5-line block ×8, first 2 shown]
	v_or_b32_sdwa v16, v42, v43 dst_sel:DWORD dst_unused:UNUSED_PAD src0_sel:BYTE_0 src1_sel:DWORD
	v_or_b32_sdwa v17, v18, v19 dst_sel:WORD_1 dst_unused:UNUSED_PAD src0_sel:BYTE_0 src1_sel:DWORD
	v_or_b32_sdwa v16, v16, v17 dst_sel:DWORD dst_unused:UNUSED_PAD src0_sel:WORD_0 src1_sel:DWORD
	v_or_b32_sdwa v17, v20, v21 dst_sel:DWORD dst_unused:UNUSED_PAD src0_sel:BYTE_0 src1_sel:DWORD
	v_or_b32_sdwa v18, v22, v23 dst_sel:WORD_1 dst_unused:UNUSED_PAD src0_sel:BYTE_0 src1_sel:DWORD
	v_or_b32_sdwa v17, v17, v18 dst_sel:DWORD dst_unused:UNUSED_PAD src0_sel:WORD_0 src1_sel:DWORD
	v_or_b32_sdwa v18, v24, v25 dst_sel:DWORD dst_unused:UNUSED_PAD src0_sel:BYTE_0 src1_sel:DWORD
	v_or_b32_sdwa v19, v26, v27 dst_sel:WORD_1 dst_unused:UNUSED_PAD src0_sel:BYTE_0 src1_sel:DWORD
	s_addc_u32 s7, s17, s7
	v_or_b32_sdwa v18, v18, v19 dst_sel:DWORD dst_unused:UNUSED_PAD src0_sel:WORD_0 src1_sel:DWORD
	v_or_b32_sdwa v19, v28, v29 dst_sel:DWORD dst_unused:UNUSED_PAD src0_sel:BYTE_0 src1_sel:DWORD
	v_or_b32_sdwa v20, v30, v31 dst_sel:WORD_1 dst_unused:UNUSED_PAD src0_sel:BYTE_0 src1_sel:DWORD
	s_and_b32 s37, s7, 0xffff
	s_mov_b32 s39, s31
	v_or_b32_sdwa v19, v19, v20 dst_sel:DWORD dst_unused:UNUSED_PAD src0_sel:WORD_0 src1_sel:DWORD
	buffer_store_dwordx4 v[16:19], v36, s[36:39], 0 offen
	;;#ASMSTART
	s_nop 0
	;;#ASMEND
	s_branch .LBB129_22
.LBB129_35:
	s_endpgm
	.section	.rodata,"a",@progbits
	.p2align	6, 0x0
	.amdhsa_kernel _ZN5aiter36smooth_per_token_scaled_quant_kernelItaLi512ELi16ELb0ELb1ELb1ELi1024EEEvPT0_PfPT_S3_PiS6_iiPKiiiiiiiii
		.amdhsa_group_segment_fixed_size 4128
		.amdhsa_private_segment_fixed_size 0
		.amdhsa_kernarg_size 96
		.amdhsa_user_sgpr_count 6
		.amdhsa_user_sgpr_private_segment_buffer 1
		.amdhsa_user_sgpr_dispatch_ptr 0
		.amdhsa_user_sgpr_queue_ptr 0
		.amdhsa_user_sgpr_kernarg_segment_ptr 1
		.amdhsa_user_sgpr_dispatch_id 0
		.amdhsa_user_sgpr_flat_scratch_init 0
		.amdhsa_user_sgpr_kernarg_preload_length 0
		.amdhsa_user_sgpr_kernarg_preload_offset 0
		.amdhsa_user_sgpr_private_segment_size 0
		.amdhsa_uses_dynamic_stack 0
		.amdhsa_system_sgpr_private_segment_wavefront_offset 0
		.amdhsa_system_sgpr_workgroup_id_x 1
		.amdhsa_system_sgpr_workgroup_id_y 0
		.amdhsa_system_sgpr_workgroup_id_z 0
		.amdhsa_system_sgpr_workgroup_info 0
		.amdhsa_system_vgpr_workitem_id 0
		.amdhsa_next_free_vgpr 44
		.amdhsa_next_free_sgpr 44
		.amdhsa_accum_offset 44
		.amdhsa_reserve_vcc 1
		.amdhsa_reserve_flat_scratch 0
		.amdhsa_float_round_mode_32 0
		.amdhsa_float_round_mode_16_64 0
		.amdhsa_float_denorm_mode_32 3
		.amdhsa_float_denorm_mode_16_64 3
		.amdhsa_dx10_clamp 1
		.amdhsa_ieee_mode 1
		.amdhsa_fp16_overflow 0
		.amdhsa_tg_split 0
		.amdhsa_exception_fp_ieee_invalid_op 0
		.amdhsa_exception_fp_denorm_src 0
		.amdhsa_exception_fp_ieee_div_zero 0
		.amdhsa_exception_fp_ieee_overflow 0
		.amdhsa_exception_fp_ieee_underflow 0
		.amdhsa_exception_fp_ieee_inexact 0
		.amdhsa_exception_int_div_zero 0
	.end_amdhsa_kernel
	.section	.text._ZN5aiter36smooth_per_token_scaled_quant_kernelItaLi512ELi16ELb0ELb1ELb1ELi1024EEEvPT0_PfPT_S3_PiS6_iiPKiiiiiiiii,"axG",@progbits,_ZN5aiter36smooth_per_token_scaled_quant_kernelItaLi512ELi16ELb0ELb1ELb1ELi1024EEEvPT0_PfPT_S3_PiS6_iiPKiiiiiiiii,comdat
.Lfunc_end129:
	.size	_ZN5aiter36smooth_per_token_scaled_quant_kernelItaLi512ELi16ELb0ELb1ELb1ELi1024EEEvPT0_PfPT_S3_PiS6_iiPKiiiiiiiii, .Lfunc_end129-_ZN5aiter36smooth_per_token_scaled_quant_kernelItaLi512ELi16ELb0ELb1ELb1ELi1024EEEvPT0_PfPT_S3_PiS6_iiPKiiiiiiiii
                                        ; -- End function
	.section	.AMDGPU.csdata,"",@progbits
; Kernel info:
; codeLenInByte = 3108
; NumSgprs: 48
; NumVgprs: 44
; NumAgprs: 0
; TotalNumVgprs: 44
; ScratchSize: 0
; MemoryBound: 0
; FloatMode: 240
; IeeeMode: 1
; LDSByteSize: 4128 bytes/workgroup (compile time only)
; SGPRBlocks: 5
; VGPRBlocks: 5
; NumSGPRsForWavesPerEU: 48
; NumVGPRsForWavesPerEU: 44
; AccumOffset: 44
; Occupancy: 8
; WaveLimiterHint : 0
; COMPUTE_PGM_RSRC2:SCRATCH_EN: 0
; COMPUTE_PGM_RSRC2:USER_SGPR: 6
; COMPUTE_PGM_RSRC2:TRAP_HANDLER: 0
; COMPUTE_PGM_RSRC2:TGID_X_EN: 1
; COMPUTE_PGM_RSRC2:TGID_Y_EN: 0
; COMPUTE_PGM_RSRC2:TGID_Z_EN: 0
; COMPUTE_PGM_RSRC2:TIDIG_COMP_CNT: 0
; COMPUTE_PGM_RSRC3_GFX90A:ACCUM_OFFSET: 10
; COMPUTE_PGM_RSRC3_GFX90A:TG_SPLIT: 0
	.section	.text._ZN5aiter36smooth_per_token_scaled_quant_kernelIDF16_aLi512ELi16ELb0ELb1ELb0ELi1024EEEvPT0_PfPT_S3_PiS6_iiPKiiiiiiiii,"axG",@progbits,_ZN5aiter36smooth_per_token_scaled_quant_kernelIDF16_aLi512ELi16ELb0ELb1ELb0ELi1024EEEvPT0_PfPT_S3_PiS6_iiPKiiiiiiiii,comdat
	.protected	_ZN5aiter36smooth_per_token_scaled_quant_kernelIDF16_aLi512ELi16ELb0ELb1ELb0ELi1024EEEvPT0_PfPT_S3_PiS6_iiPKiiiiiiiii ; -- Begin function _ZN5aiter36smooth_per_token_scaled_quant_kernelIDF16_aLi512ELi16ELb0ELb1ELb0ELi1024EEEvPT0_PfPT_S3_PiS6_iiPKiiiiiiiii
	.globl	_ZN5aiter36smooth_per_token_scaled_quant_kernelIDF16_aLi512ELi16ELb0ELb1ELb0ELi1024EEEvPT0_PfPT_S3_PiS6_iiPKiiiiiiiii
	.p2align	8
	.type	_ZN5aiter36smooth_per_token_scaled_quant_kernelIDF16_aLi512ELi16ELb0ELb1ELb0ELi1024EEEvPT0_PfPT_S3_PiS6_iiPKiiiiiiiii,@function
_ZN5aiter36smooth_per_token_scaled_quant_kernelIDF16_aLi512ELi16ELb0ELb1ELb0ELi1024EEEvPT0_PfPT_S3_PiS6_iiPKiiiiiiiii: ; @_ZN5aiter36smooth_per_token_scaled_quant_kernelIDF16_aLi512ELi16ELb0ELb1ELb0ELi1024EEEvPT0_PfPT_S3_PiS6_iiPKiiiiiiiii
; %bb.0:
	s_load_dwordx2 s[2:3], s[4:5], 0x38
	s_load_dwordx8 s[8:15], s[4:5], 0x40
	s_mov_b64 s[0:1], 0
	s_waitcnt lgkmcnt(0)
	s_cmp_lg_u64 s[2:3], 0
	s_cbranch_scc0 .LBB130_11
; %bb.1:
	s_load_dword s2, s[2:3], 0x0
	s_waitcnt lgkmcnt(0)
	s_mul_i32 s2, s2, s8
	s_andn2_b64 vcc, exec, s[0:1]
	s_cbranch_vccnz .LBB130_3
.LBB130_2:
	s_mul_i32 s2, s10, s9
.LBB130_3:
	s_load_dwordx2 s[8:9], s[4:5], 0x30
	s_abs_i32 s1, s2
	s_waitcnt lgkmcnt(0)
	s_abs_i32 s0, s8
	v_cvt_f32_u32_e32 v1, s0
	s_sub_i32 s7, 0, s0
	s_xor_b32 s3, s2, s8
	s_ashr_i32 s3, s3, 31
	v_rcp_iflag_f32_e32 v1, v1
	v_mul_f32_e32 v1, 0x4f7ffffe, v1
	v_cvt_u32_f32_e32 v1, v1
	v_readfirstlane_b32 s15, v1
	s_mul_i32 s7, s7, s15
	s_mul_hi_u32 s7, s15, s7
	s_add_i32 s15, s15, s7
	s_mul_hi_u32 s7, s1, s15
	s_mul_i32 s15, s7, s0
	s_sub_i32 s1, s1, s15
	s_add_i32 s16, s7, 1
	s_sub_i32 s15, s1, s0
	s_cmp_ge_u32 s1, s0
	s_cselect_b32 s7, s16, s7
	s_cselect_b32 s1, s15, s1
	s_add_i32 s15, s7, 1
	s_cmp_ge_u32 s1, s0
	s_cselect_b32 s0, s15, s7
	s_xor_b32 s0, s0, s3
	s_sub_i32 s7, s0, s3
	s_mul_i32 s0, s7, s8
	s_sub_i32 s2, s2, s0
	s_cmp_lt_u32 s6, s2
	s_cselect_b64 s[0:1], -1, 0
	s_add_i32 s8, s7, 1
	s_cmp_ge_u32 s6, s2
	s_cbranch_scc0 .LBB130_5
; %bb.4:
	s_mul_i32 s3, s2, s8
	s_sub_i32 s2, s6, s2
	s_mul_i32 s2, s2, s7
	s_add_i32 s34, s2, s3
	s_cbranch_execz .LBB130_6
	s_branch .LBB130_7
.LBB130_5:
                                        ; implicit-def: $sgpr34
.LBB130_6:
	s_mul_i32 s34, s8, s6
.LBB130_7:
	v_cndmask_b32_e64 v1, 0, 1, s[0:1]
	v_readfirstlane_b32 s0, v1
	s_add_i32 s8, s7, s0
	s_cmp_lt_i32 s8, 1
	s_cbranch_scc1 .LBB130_35
; %bb.8:
	s_load_dwordx2 s[0:1], s[4:5], 0x20
	s_ashr_i32 s35, s34, 31
	s_lshl_b64 s[2:3], s[34:35], 2
	v_and_b32_e32 v1, 63, v0
	s_mov_b32 s27, 0x20000
	s_waitcnt lgkmcnt(0)
	s_add_u32 s24, s0, s2
	s_addc_u32 s0, s1, s3
	s_lshl_b32 s26, s8, 2
	s_and_b32 s25, s0, 0xffff
	v_lshlrev_b32_e32 v38, 2, v1
	buffer_load_dword v33, v38, s[24:27], 0 offen
	v_cmp_eq_u32_e32 vcc, 63, v1
	v_lshrrev_b32_e32 v1, 4, v0
	v_and_b32_e32 v35, 60, v1
	v_and_b32_e32 v1, 7, v0
	s_abs_i32 s33, s10
	v_lshlrev_b32_e32 v36, 2, v1
	v_cvt_f32_u32_e32 v1, s33
	s_add_i32 s2, s9, 15
	s_ashr_i32 s3, s2, 31
	s_lshr_b32 s3, s3, 28
	v_rcp_iflag_f32_e32 v1, v1
	s_add_i32 s2, s2, s3
	s_ashr_i32 s2, s2, 4
	v_lshlrev_b32_e32 v32, 5, v0
	v_lshlrev_b32_e32 v34, 6, v0
	v_cmp_eq_u32_e64 s[0:1], 0, v0
	v_cmp_gt_u32_e64 s[2:3], s2, v0
	v_lshlrev_b32_e32 v37, 4, v0
	v_mul_f32_e32 v0, 0x4f7ffffe, v1
	s_load_dwordx8 s[16:23], s[4:5], 0x0
	s_add_i32 s4, s9, 3
	v_cvt_u32_f32_e32 v0, v0
	s_ashr_i32 s5, s4, 31
	s_lshr_b32 s5, s5, 30
	s_add_i32 s4, s4, s5
	s_and_b32 s38, s4, -4
	s_sub_i32 s4, 0, s33
	v_readfirstlane_b32 s41, v0
	s_mul_i32 s4, s4, s41
	s_mul_hi_u32 s4, s41, s4
	s_lshl_b32 s6, s9, 1
	s_lshl_b32 s30, s9, 2
	s_ashr_i32 s40, s10, 31
	s_add_i32 s41, s41, s4
	s_mov_b32 s15, s9
	s_waitcnt vmcnt(0) lgkmcnt(0)
	s_barrier
	v_readlane_b32 s28, v33, 0
	s_cmp_lt_i32 s28, 0
	s_cbranch_scc1 .LBB130_12
; %bb.9:
	s_abs_i32 s4, s34
	s_mul_hi_u32 s5, s4, s41
	s_mul_i32 s27, s5, s33
	s_sub_i32 s4, s4, s27
	s_xor_b32 s7, s35, s40
	s_add_i32 s27, s5, 1
	s_sub_i32 s29, s4, s33
	s_cmp_ge_u32 s4, s33
	s_cselect_b32 s5, s27, s5
	s_cselect_b32 s4, s29, s4
	s_add_i32 s27, s5, 1
	s_cmp_ge_u32 s4, s33
	s_cselect_b32 s4, s27, s5
	s_xor_b32 s4, s4, s7
	s_sub_i32 s27, s4, s7
	s_mul_i32 s4, s27, s10
	s_sub_i32 s36, s34, s4
	s_mul_i32 s4, s36, s12
	s_mul_i32 s5, s27, s11
	s_add_i32 s35, s4, s5
	s_cmp_eq_u32 s35, -1
	s_cbranch_scc1 .LBB130_13
; %bb.10:
	s_mul_hi_i32 s5, s35, s15
	s_mul_i32 s4, s35, s15
	s_lshl_b64 s[4:5], s[4:5], 1
	s_add_u32 s4, s20, s4
	s_addc_u32 s5, s21, s5
	s_and_b32 s5, s5, 0xffff
	s_mov_b32 s7, 0x20000
	buffer_load_dwordx4 v[4:7], v32, s[4:7], 0 offen
	buffer_load_dwordx4 v[12:15], v32, s[4:7], 16 offen
	s_waitcnt vmcnt(1)
	v_cvt_f32_f16_e32 v0, v4
	v_cvt_f32_f16_sdwa v1, v4 dst_sel:DWORD dst_unused:UNUSED_PAD src0_sel:WORD_1
	v_cvt_f32_f16_e32 v2, v5
	v_cvt_f32_f16_sdwa v3, v5 dst_sel:DWORD dst_unused:UNUSED_PAD src0_sel:WORD_1
	;; [unrolled: 2-line block ×4, first 2 shown]
	s_waitcnt vmcnt(0)
	v_cvt_f32_f16_e32 v8, v12
	v_cvt_f32_f16_sdwa v9, v12 dst_sel:DWORD dst_unused:UNUSED_PAD src0_sel:WORD_1
	v_cvt_f32_f16_e32 v10, v13
	v_cvt_f32_f16_sdwa v11, v13 dst_sel:DWORD dst_unused:UNUSED_PAD src0_sel:WORD_1
	;; [unrolled: 2-line block ×4, first 2 shown]
	s_branch .LBB130_14
.LBB130_11:
                                        ; implicit-def: $sgpr2
	s_branch .LBB130_2
.LBB130_12:
	s_mov_b32 s35, -1
                                        ; implicit-def: $vgpr0_vgpr1_vgpr2_vgpr3_vgpr4_vgpr5_vgpr6_vgpr7_vgpr8_vgpr9_vgpr10_vgpr11_vgpr12_vgpr13_vgpr14_vgpr15
	s_cmp_eq_u32 s8, 1
	s_mov_b32 s42, 1
	s_cbranch_scc0 .LBB130_21
	s_branch .LBB130_35
.LBB130_13:
                                        ; implicit-def: $vgpr0_vgpr1_vgpr2_vgpr3_vgpr4_vgpr5_vgpr6_vgpr7_vgpr8_vgpr9_vgpr10_vgpr11_vgpr12_vgpr13_vgpr14_vgpr15
.LBB130_14:
	s_mul_i32 s4, s28, s9
	s_ashr_i32 s5, s4, 31
	s_lshl_b64 s[4:5], s[4:5], 2
	s_add_u32 s28, s22, s4
	s_addc_u32 s4, s23, s5
	s_and_b32 s29, s4, 0xffff
	s_mov_b32 s31, 0x20000
	buffer_load_dwordx4 v[16:19], v34, s[28:31], 0 offen
	buffer_load_dwordx4 v[20:23], v34, s[28:31], 16 offen
	;; [unrolled: 1-line block ×4, first 2 shown]
	s_mov_b32 s4, 0x2edbe6ff
	s_waitcnt vmcnt(3)
	v_pk_mul_f32 v[16:17], v[0:1], v[16:17]
	v_pk_mul_f32 v[18:19], v[2:3], v[18:19]
	v_max3_f32 v39, |v16|, s4, |v17|
	s_waitcnt vmcnt(2)
	v_pk_mul_f32 v[20:21], v[4:5], v[20:21]
	v_max3_f32 v39, v39, |v18|, |v19|
	v_pk_mul_f32 v[22:23], v[6:7], v[22:23]
	v_max3_f32 v39, v39, |v20|, |v21|
	s_waitcnt vmcnt(1)
	v_pk_mul_f32 v[24:25], v[8:9], v[24:25]
	v_max3_f32 v39, v39, |v22|, |v23|
	v_pk_mul_f32 v[26:27], v[10:11], v[26:27]
	v_max3_f32 v39, v39, |v24|, |v25|
	;; [unrolled: 5-line block ×3, first 2 shown]
	v_max3_f32 v39, v39, |v30|, |v31|
	s_nop 1
	v_mov_b32_dpp v40, v39 quad_perm:[1,0,3,2] row_mask:0xf bank_mask:0xf
	v_cmp_gt_f32_e64 s[4:5], v39, v40
	v_cndmask_b32_e64 v39, v40, v39, s[4:5]
	s_nop 1
	v_mov_b32_dpp v40, v39 quad_perm:[2,3,0,1] row_mask:0xf bank_mask:0xf
	v_cmp_gt_f32_e64 s[4:5], v39, v40
	v_cndmask_b32_e64 v39, v40, v39, s[4:5]
	s_nop 1
	v_mov_b32_dpp v40, v39 row_half_mirror row_mask:0xf bank_mask:0xf
	v_cmp_gt_f32_e64 s[4:5], v39, v40
	v_cndmask_b32_e64 v39, v40, v39, s[4:5]
	s_nop 1
	v_mov_b32_dpp v40, v39 row_mirror row_mask:0xf bank_mask:0xf
	v_cmp_gt_f32_e64 s[4:5], v39, v40
	v_cndmask_b32_e64 v39, v40, v39, s[4:5]
	s_nop 1
	v_mov_b32_dpp v40, v39 row_bcast:15 row_mask:0xf bank_mask:0xf
	v_cmp_gt_f32_e64 s[4:5], v39, v40
	v_cndmask_b32_e64 v39, v40, v39, s[4:5]
	s_nop 1
	v_mov_b32_dpp v40, v39 row_bcast:31 row_mask:0xf bank_mask:0xf
	s_and_saveexec_b64 s[28:29], vcc
	s_cbranch_execz .LBB130_16
; %bb.15:
	v_cmp_gt_f32_e64 s[4:5], v39, v40
	v_cndmask_b32_e64 v39, v40, v39, s[4:5]
	ds_write_b32 v35, v39
.LBB130_16:
	s_or_b64 exec, exec, s[28:29]
	s_waitcnt lgkmcnt(0)
	s_barrier
	ds_read_b32 v39, v36
	s_mul_i32 s27, s27, s13
	s_waitcnt lgkmcnt(0)
	v_mov_b32_dpp v40, v39 quad_perm:[1,0,3,2] row_mask:0xf bank_mask:0xf
	v_cmp_gt_f32_e64 s[4:5], v39, v40
	v_cndmask_b32_e64 v39, v40, v39, s[4:5]
	s_nop 1
	v_mov_b32_dpp v40, v39 quad_perm:[2,3,0,1] row_mask:0xf bank_mask:0xf
	v_cmp_gt_f32_e64 s[4:5], v39, v40
	v_cndmask_b32_e64 v39, v40, v39, s[4:5]
	s_nop 1
	v_mov_b32_dpp v40, v39 row_half_mirror row_mask:0xf bank_mask:0xf
	v_cmp_gt_f32_e64 s[4:5], v39, v40
	v_cndmask_b32_e64 v39, v40, v39, s[4:5]
	s_mul_i32 s4, s36, s14
	v_mul_f32_e32 v39, 0x3c010204, v39
	s_add_i32 s28, s4, s27
	s_and_saveexec_b64 s[4:5], s[0:1]
	s_cbranch_execz .LBB130_18
; %bb.17:
	s_ashr_i32 s29, s28, 31
	s_lshl_b64 s[36:37], s[28:29], 2
	s_add_u32 s36, s18, s36
	s_addc_u32 s37, s19, s37
	v_mov_b32_e32 v40, 0
	global_store_dword v40, v39, s[36:37]
.LBB130_18:
	s_or_b64 exec, exec, s[4:5]
	s_and_saveexec_b64 s[4:5], s[2:3]
	s_cbranch_execz .LBB130_20
; %bb.19:
	v_rcp_f32_e32 v40, v39
	s_mul_i32 s27, s28, s15
	s_mul_hi_i32 s7, s28, s15
	s_add_u32 s36, s16, s27
	v_mov_b32_e32 v41, v40
	;;#ASMSTART
	v_pk_mul_f32 v[16:17], v[16:17], v[40:41]
	;;#ASMEND
	v_cvt_i32_f32_e32 v39, v16
	v_cvt_i32_f32_sdwa v42, v17 dst_sel:BYTE_1 dst_unused:UNUSED_PAD src0_sel:DWORD
	;;#ASMSTART
	v_pk_mul_f32 v[16:17], v[18:19], v[40:41]
	;;#ASMEND
	v_cvt_i32_f32_e32 v18, v16
	v_cvt_i32_f32_sdwa v19, v17 dst_sel:BYTE_1 dst_unused:UNUSED_PAD src0_sel:DWORD
	;; [unrolled: 5-line block ×8, first 2 shown]
	v_or_b32_sdwa v16, v39, v42 dst_sel:DWORD dst_unused:UNUSED_PAD src0_sel:BYTE_0 src1_sel:DWORD
	v_or_b32_sdwa v17, v18, v19 dst_sel:WORD_1 dst_unused:UNUSED_PAD src0_sel:BYTE_0 src1_sel:DWORD
	v_or_b32_sdwa v16, v16, v17 dst_sel:DWORD dst_unused:UNUSED_PAD src0_sel:WORD_0 src1_sel:DWORD
	v_or_b32_sdwa v17, v20, v21 dst_sel:DWORD dst_unused:UNUSED_PAD src0_sel:BYTE_0 src1_sel:DWORD
	v_or_b32_sdwa v18, v22, v23 dst_sel:WORD_1 dst_unused:UNUSED_PAD src0_sel:BYTE_0 src1_sel:DWORD
	v_or_b32_sdwa v17, v17, v18 dst_sel:DWORD dst_unused:UNUSED_PAD src0_sel:WORD_0 src1_sel:DWORD
	v_or_b32_sdwa v18, v24, v25 dst_sel:DWORD dst_unused:UNUSED_PAD src0_sel:BYTE_0 src1_sel:DWORD
	v_or_b32_sdwa v19, v26, v27 dst_sel:WORD_1 dst_unused:UNUSED_PAD src0_sel:BYTE_0 src1_sel:DWORD
	s_addc_u32 s7, s17, s7
	v_or_b32_sdwa v18, v18, v19 dst_sel:DWORD dst_unused:UNUSED_PAD src0_sel:WORD_0 src1_sel:DWORD
	v_or_b32_sdwa v19, v28, v29 dst_sel:DWORD dst_unused:UNUSED_PAD src0_sel:BYTE_0 src1_sel:DWORD
	v_or_b32_sdwa v20, v30, v31 dst_sel:WORD_1 dst_unused:UNUSED_PAD src0_sel:BYTE_0 src1_sel:DWORD
	s_and_b32 s37, s7, 0xffff
	s_mov_b32 s39, 0x20000
	v_or_b32_sdwa v19, v19, v20 dst_sel:DWORD dst_unused:UNUSED_PAD src0_sel:WORD_0 src1_sel:DWORD
	buffer_store_dwordx4 v[16:19], v37, s[36:39], 0 offen
	;;#ASMSTART
	s_nop 0
	;;#ASMEND
.LBB130_20:
	s_or_b64 exec, exec, s[4:5]
	s_cmp_eq_u32 s8, 1
	s_mov_b32 s42, 1
	s_cbranch_scc1 .LBB130_35
.LBB130_21:
	v_add_u32_e32 v38, 4, v38
	s_mov_b32 s31, 0x20000
	s_mov_b32 s43, 0x2edbe6ff
	v_mov_b32_e32 v39, 0
	s_branch .LBB130_24
.LBB130_22:                             ;   in Loop: Header=BB130_24 Depth=1
	s_or_b64 exec, exec, s[4:5]
.LBB130_23:                             ;   in Loop: Header=BB130_24 Depth=1
	s_add_i32 s42, s42, 1
	s_cmp_eq_u32 s8, s42
	v_add_u32_e32 v38, 4, v38
	s_cbranch_scc1 .LBB130_35
.LBB130_24:                             ; =>This Inner Loop Header: Depth=1
	s_and_b32 s4, s42, 63
	s_cmp_lg_u32 s4, 0
	s_cbranch_scc1 .LBB130_26
; %bb.25:                               ;   in Loop: Header=BB130_24 Depth=1
	s_mov_b32 s27, s31
	buffer_load_dword v33, v38, s[24:27], 0 offen
	s_waitcnt vmcnt(0)
.LBB130_26:                             ;   in Loop: Header=BB130_24 Depth=1
	v_readlane_b32 s28, v33, s4
	s_cmp_lt_i32 s28, 0
	s_cbranch_scc1 .LBB130_23
; %bb.27:                               ;   in Loop: Header=BB130_24 Depth=1
	s_add_i32 s4, s34, s42
	s_abs_i32 s7, s4
	s_mul_hi_u32 s27, s7, s41
	s_mul_i32 s29, s27, s33
	s_ashr_i32 s5, s4, 31
	s_sub_i32 s7, s7, s29
	s_xor_b32 s5, s5, s40
	s_add_i32 s29, s27, 1
	s_sub_i32 s36, s7, s33
	s_cmp_ge_u32 s7, s33
	s_cselect_b32 s27, s29, s27
	s_cselect_b32 s7, s36, s7
	s_add_i32 s29, s27, 1
	s_cmp_ge_u32 s7, s33
	s_cselect_b32 s7, s29, s27
	s_xor_b32 s7, s7, s5
	s_sub_i32 s27, s7, s5
	s_mul_i32 s5, s27, s10
	s_sub_i32 s36, s4, s5
	s_mul_i32 s29, s36, s12
	s_mul_i32 s4, s27, s11
	s_add_i32 s29, s29, s4
	s_cmp_eq_u32 s29, s35
	s_cbranch_scc1 .LBB130_29
; %bb.28:                               ;   in Loop: Header=BB130_24 Depth=1
	s_mul_hi_i32 s5, s29, s15
	s_mul_i32 s4, s29, s15
	s_lshl_b64 s[4:5], s[4:5], 1
	s_add_u32 s4, s20, s4
	s_addc_u32 s5, s21, s5
	s_and_b32 s5, s5, 0xffff
	s_mov_b32 s7, s31
	buffer_load_dwordx4 v[4:7], v32, s[4:7], 0 offen
	buffer_load_dwordx4 v[12:15], v32, s[4:7], 16 offen
	s_mov_b32 s35, s29
	s_waitcnt vmcnt(1)
	v_cvt_f32_f16_e32 v0, v4
	v_cvt_f32_f16_sdwa v1, v4 dst_sel:DWORD dst_unused:UNUSED_PAD src0_sel:WORD_1
	v_cvt_f32_f16_e32 v2, v5
	v_cvt_f32_f16_sdwa v3, v5 dst_sel:DWORD dst_unused:UNUSED_PAD src0_sel:WORD_1
	;; [unrolled: 2-line block ×4, first 2 shown]
	s_waitcnt vmcnt(0)
	v_cvt_f32_f16_e32 v8, v12
	v_cvt_f32_f16_sdwa v9, v12 dst_sel:DWORD dst_unused:UNUSED_PAD src0_sel:WORD_1
	v_cvt_f32_f16_e32 v10, v13
	v_cvt_f32_f16_sdwa v11, v13 dst_sel:DWORD dst_unused:UNUSED_PAD src0_sel:WORD_1
	;; [unrolled: 2-line block ×4, first 2 shown]
.LBB130_29:                             ;   in Loop: Header=BB130_24 Depth=1
	s_mul_i32 s4, s28, s9
	s_ashr_i32 s5, s4, 31
	s_lshl_b64 s[4:5], s[4:5], 2
	s_add_u32 s28, s22, s4
	s_addc_u32 s4, s23, s5
	s_and_b32 s29, s4, 0xffff
	buffer_load_dwordx4 v[16:19], v34, s[28:31], 0 offen
	buffer_load_dwordx4 v[20:23], v34, s[28:31], 16 offen
	buffer_load_dwordx4 v[24:27], v34, s[28:31], 32 offen
	buffer_load_dwordx4 v[28:31], v34, s[28:31], 48 offen
	s_waitcnt vmcnt(3)
	v_pk_mul_f32 v[16:17], v[0:1], v[16:17]
	v_pk_mul_f32 v[18:19], v[2:3], v[18:19]
	v_max3_f32 v40, |v16|, s43, |v17|
	s_waitcnt vmcnt(2)
	v_pk_mul_f32 v[20:21], v[4:5], v[20:21]
	v_max3_f32 v40, v40, |v18|, |v19|
	v_pk_mul_f32 v[22:23], v[6:7], v[22:23]
	v_max3_f32 v40, v40, |v20|, |v21|
	s_waitcnt vmcnt(1)
	v_pk_mul_f32 v[24:25], v[8:9], v[24:25]
	v_max3_f32 v40, v40, |v22|, |v23|
	v_pk_mul_f32 v[26:27], v[10:11], v[26:27]
	v_max3_f32 v40, v40, |v24|, |v25|
	;; [unrolled: 5-line block ×3, first 2 shown]
	v_max3_f32 v40, v40, |v30|, |v31|
	s_nop 1
	v_mov_b32_dpp v41, v40 quad_perm:[1,0,3,2] row_mask:0xf bank_mask:0xf
	v_cmp_gt_f32_e64 s[4:5], v40, v41
	v_cndmask_b32_e64 v40, v41, v40, s[4:5]
	s_nop 1
	v_mov_b32_dpp v41, v40 quad_perm:[2,3,0,1] row_mask:0xf bank_mask:0xf
	v_cmp_gt_f32_e64 s[4:5], v40, v41
	v_cndmask_b32_e64 v40, v41, v40, s[4:5]
	s_nop 1
	v_mov_b32_dpp v41, v40 row_half_mirror row_mask:0xf bank_mask:0xf
	v_cmp_gt_f32_e64 s[4:5], v40, v41
	v_cndmask_b32_e64 v40, v41, v40, s[4:5]
	s_nop 1
	v_mov_b32_dpp v41, v40 row_mirror row_mask:0xf bank_mask:0xf
	v_cmp_gt_f32_e64 s[4:5], v40, v41
	v_cndmask_b32_e64 v40, v41, v40, s[4:5]
	s_nop 1
	v_mov_b32_dpp v41, v40 row_bcast:15 row_mask:0xf bank_mask:0xf
	v_cmp_gt_f32_e64 s[4:5], v40, v41
	v_cndmask_b32_e64 v40, v41, v40, s[4:5]
	s_nop 1
	v_mov_b32_dpp v41, v40 row_bcast:31 row_mask:0xf bank_mask:0xf
	s_and_saveexec_b64 s[28:29], vcc
	s_cbranch_execz .LBB130_31
; %bb.30:                               ;   in Loop: Header=BB130_24 Depth=1
	v_cmp_gt_f32_e64 s[4:5], v40, v41
	v_cndmask_b32_e64 v40, v41, v40, s[4:5]
	ds_write_b32 v35, v40
.LBB130_31:                             ;   in Loop: Header=BB130_24 Depth=1
	s_or_b64 exec, exec, s[28:29]
	s_waitcnt lgkmcnt(0)
	s_barrier
	ds_read_b32 v40, v36
	s_mul_i32 s27, s27, s13
	s_waitcnt lgkmcnt(0)
	v_mov_b32_dpp v41, v40 quad_perm:[1,0,3,2] row_mask:0xf bank_mask:0xf
	v_cmp_gt_f32_e64 s[4:5], v40, v41
	v_cndmask_b32_e64 v40, v41, v40, s[4:5]
	s_nop 1
	v_mov_b32_dpp v41, v40 quad_perm:[2,3,0,1] row_mask:0xf bank_mask:0xf
	v_cmp_gt_f32_e64 s[4:5], v40, v41
	v_cndmask_b32_e64 v40, v41, v40, s[4:5]
	s_nop 1
	v_mov_b32_dpp v41, v40 row_half_mirror row_mask:0xf bank_mask:0xf
	v_cmp_gt_f32_e64 s[4:5], v40, v41
	v_cndmask_b32_e64 v40, v41, v40, s[4:5]
	s_mul_i32 s4, s36, s14
	v_mul_f32_e32 v40, 0x3c010204, v40
	s_add_i32 s28, s4, s27
	s_and_saveexec_b64 s[4:5], s[0:1]
	s_cbranch_execz .LBB130_33
; %bb.32:                               ;   in Loop: Header=BB130_24 Depth=1
	s_ashr_i32 s29, s28, 31
	s_lshl_b64 s[36:37], s[28:29], 2
	s_add_u32 s36, s18, s36
	s_addc_u32 s37, s19, s37
	global_store_dword v39, v40, s[36:37]
.LBB130_33:                             ;   in Loop: Header=BB130_24 Depth=1
	s_or_b64 exec, exec, s[4:5]
	s_and_saveexec_b64 s[4:5], s[2:3]
	s_cbranch_execz .LBB130_22
; %bb.34:                               ;   in Loop: Header=BB130_24 Depth=1
	v_rcp_f32_e32 v40, v40
	s_mul_i32 s27, s28, s15
	s_mul_hi_i32 s7, s28, s15
	s_add_u32 s36, s16, s27
	v_mov_b32_e32 v41, v40
	;;#ASMSTART
	v_pk_mul_f32 v[16:17], v[16:17], v[40:41]
	;;#ASMEND
	v_cvt_i32_f32_e32 v42, v16
	v_cvt_i32_f32_sdwa v43, v17 dst_sel:BYTE_1 dst_unused:UNUSED_PAD src0_sel:DWORD
	;;#ASMSTART
	v_pk_mul_f32 v[16:17], v[18:19], v[40:41]
	;;#ASMEND
	v_cvt_i32_f32_e32 v18, v16
	v_cvt_i32_f32_sdwa v19, v17 dst_sel:BYTE_1 dst_unused:UNUSED_PAD src0_sel:DWORD
	;; [unrolled: 5-line block ×8, first 2 shown]
	v_or_b32_sdwa v16, v42, v43 dst_sel:DWORD dst_unused:UNUSED_PAD src0_sel:BYTE_0 src1_sel:DWORD
	v_or_b32_sdwa v17, v18, v19 dst_sel:WORD_1 dst_unused:UNUSED_PAD src0_sel:BYTE_0 src1_sel:DWORD
	v_or_b32_sdwa v16, v16, v17 dst_sel:DWORD dst_unused:UNUSED_PAD src0_sel:WORD_0 src1_sel:DWORD
	v_or_b32_sdwa v17, v20, v21 dst_sel:DWORD dst_unused:UNUSED_PAD src0_sel:BYTE_0 src1_sel:DWORD
	v_or_b32_sdwa v18, v22, v23 dst_sel:WORD_1 dst_unused:UNUSED_PAD src0_sel:BYTE_0 src1_sel:DWORD
	v_or_b32_sdwa v17, v17, v18 dst_sel:DWORD dst_unused:UNUSED_PAD src0_sel:WORD_0 src1_sel:DWORD
	v_or_b32_sdwa v18, v24, v25 dst_sel:DWORD dst_unused:UNUSED_PAD src0_sel:BYTE_0 src1_sel:DWORD
	v_or_b32_sdwa v19, v26, v27 dst_sel:WORD_1 dst_unused:UNUSED_PAD src0_sel:BYTE_0 src1_sel:DWORD
	s_addc_u32 s7, s17, s7
	v_or_b32_sdwa v18, v18, v19 dst_sel:DWORD dst_unused:UNUSED_PAD src0_sel:WORD_0 src1_sel:DWORD
	v_or_b32_sdwa v19, v28, v29 dst_sel:DWORD dst_unused:UNUSED_PAD src0_sel:BYTE_0 src1_sel:DWORD
	v_or_b32_sdwa v20, v30, v31 dst_sel:WORD_1 dst_unused:UNUSED_PAD src0_sel:BYTE_0 src1_sel:DWORD
	s_and_b32 s37, s7, 0xffff
	s_mov_b32 s39, s31
	v_or_b32_sdwa v19, v19, v20 dst_sel:DWORD dst_unused:UNUSED_PAD src0_sel:WORD_0 src1_sel:DWORD
	buffer_store_dwordx4 v[16:19], v37, s[36:39], 0 offen
	;;#ASMSTART
	s_nop 0
	;;#ASMEND
	s_branch .LBB130_22
.LBB130_35:
	s_endpgm
	.section	.rodata,"a",@progbits
	.p2align	6, 0x0
	.amdhsa_kernel _ZN5aiter36smooth_per_token_scaled_quant_kernelIDF16_aLi512ELi16ELb0ELb1ELb0ELi1024EEEvPT0_PfPT_S3_PiS6_iiPKiiiiiiiii
		.amdhsa_group_segment_fixed_size 32
		.amdhsa_private_segment_fixed_size 0
		.amdhsa_kernarg_size 96
		.amdhsa_user_sgpr_count 6
		.amdhsa_user_sgpr_private_segment_buffer 1
		.amdhsa_user_sgpr_dispatch_ptr 0
		.amdhsa_user_sgpr_queue_ptr 0
		.amdhsa_user_sgpr_kernarg_segment_ptr 1
		.amdhsa_user_sgpr_dispatch_id 0
		.amdhsa_user_sgpr_flat_scratch_init 0
		.amdhsa_user_sgpr_kernarg_preload_length 0
		.amdhsa_user_sgpr_kernarg_preload_offset 0
		.amdhsa_user_sgpr_private_segment_size 0
		.amdhsa_uses_dynamic_stack 0
		.amdhsa_system_sgpr_private_segment_wavefront_offset 0
		.amdhsa_system_sgpr_workgroup_id_x 1
		.amdhsa_system_sgpr_workgroup_id_y 0
		.amdhsa_system_sgpr_workgroup_id_z 0
		.amdhsa_system_sgpr_workgroup_info 0
		.amdhsa_system_vgpr_workitem_id 0
		.amdhsa_next_free_vgpr 44
		.amdhsa_next_free_sgpr 44
		.amdhsa_accum_offset 44
		.amdhsa_reserve_vcc 1
		.amdhsa_reserve_flat_scratch 0
		.amdhsa_float_round_mode_32 0
		.amdhsa_float_round_mode_16_64 0
		.amdhsa_float_denorm_mode_32 3
		.amdhsa_float_denorm_mode_16_64 3
		.amdhsa_dx10_clamp 1
		.amdhsa_ieee_mode 1
		.amdhsa_fp16_overflow 0
		.amdhsa_tg_split 0
		.amdhsa_exception_fp_ieee_invalid_op 0
		.amdhsa_exception_fp_denorm_src 0
		.amdhsa_exception_fp_ieee_div_zero 0
		.amdhsa_exception_fp_ieee_overflow 0
		.amdhsa_exception_fp_ieee_underflow 0
		.amdhsa_exception_fp_ieee_inexact 0
		.amdhsa_exception_int_div_zero 0
	.end_amdhsa_kernel
	.section	.text._ZN5aiter36smooth_per_token_scaled_quant_kernelIDF16_aLi512ELi16ELb0ELb1ELb0ELi1024EEEvPT0_PfPT_S3_PiS6_iiPKiiiiiiiii,"axG",@progbits,_ZN5aiter36smooth_per_token_scaled_quant_kernelIDF16_aLi512ELi16ELb0ELb1ELb0ELi1024EEEvPT0_PfPT_S3_PiS6_iiPKiiiiiiiii,comdat
.Lfunc_end130:
	.size	_ZN5aiter36smooth_per_token_scaled_quant_kernelIDF16_aLi512ELi16ELb0ELb1ELb0ELi1024EEEvPT0_PfPT_S3_PiS6_iiPKiiiiiiiii, .Lfunc_end130-_ZN5aiter36smooth_per_token_scaled_quant_kernelIDF16_aLi512ELi16ELb0ELb1ELb0ELi1024EEEvPT0_PfPT_S3_PiS6_iiPKiiiiiiiii
                                        ; -- End function
	.section	.AMDGPU.csdata,"",@progbits
; Kernel info:
; codeLenInByte = 2896
; NumSgprs: 48
; NumVgprs: 44
; NumAgprs: 0
; TotalNumVgprs: 44
; ScratchSize: 0
; MemoryBound: 0
; FloatMode: 240
; IeeeMode: 1
; LDSByteSize: 32 bytes/workgroup (compile time only)
; SGPRBlocks: 5
; VGPRBlocks: 5
; NumSGPRsForWavesPerEU: 48
; NumVGPRsForWavesPerEU: 44
; AccumOffset: 44
; Occupancy: 8
; WaveLimiterHint : 0
; COMPUTE_PGM_RSRC2:SCRATCH_EN: 0
; COMPUTE_PGM_RSRC2:USER_SGPR: 6
; COMPUTE_PGM_RSRC2:TRAP_HANDLER: 0
; COMPUTE_PGM_RSRC2:TGID_X_EN: 1
; COMPUTE_PGM_RSRC2:TGID_Y_EN: 0
; COMPUTE_PGM_RSRC2:TGID_Z_EN: 0
; COMPUTE_PGM_RSRC2:TIDIG_COMP_CNT: 0
; COMPUTE_PGM_RSRC3_GFX90A:ACCUM_OFFSET: 10
; COMPUTE_PGM_RSRC3_GFX90A:TG_SPLIT: 0
	.section	.text._ZN5aiter36smooth_per_token_scaled_quant_kernelItaLi512ELi16ELb0ELb1ELb0ELi1024EEEvPT0_PfPT_S3_PiS6_iiPKiiiiiiiii,"axG",@progbits,_ZN5aiter36smooth_per_token_scaled_quant_kernelItaLi512ELi16ELb0ELb1ELb0ELi1024EEEvPT0_PfPT_S3_PiS6_iiPKiiiiiiiii,comdat
	.protected	_ZN5aiter36smooth_per_token_scaled_quant_kernelItaLi512ELi16ELb0ELb1ELb0ELi1024EEEvPT0_PfPT_S3_PiS6_iiPKiiiiiiiii ; -- Begin function _ZN5aiter36smooth_per_token_scaled_quant_kernelItaLi512ELi16ELb0ELb1ELb0ELi1024EEEvPT0_PfPT_S3_PiS6_iiPKiiiiiiiii
	.globl	_ZN5aiter36smooth_per_token_scaled_quant_kernelItaLi512ELi16ELb0ELb1ELb0ELi1024EEEvPT0_PfPT_S3_PiS6_iiPKiiiiiiiii
	.p2align	8
	.type	_ZN5aiter36smooth_per_token_scaled_quant_kernelItaLi512ELi16ELb0ELb1ELb0ELi1024EEEvPT0_PfPT_S3_PiS6_iiPKiiiiiiiii,@function
_ZN5aiter36smooth_per_token_scaled_quant_kernelItaLi512ELi16ELb0ELb1ELb0ELi1024EEEvPT0_PfPT_S3_PiS6_iiPKiiiiiiiii: ; @_ZN5aiter36smooth_per_token_scaled_quant_kernelItaLi512ELi16ELb0ELb1ELb0ELi1024EEEvPT0_PfPT_S3_PiS6_iiPKiiiiiiiii
; %bb.0:
	s_load_dwordx2 s[2:3], s[4:5], 0x38
	s_load_dwordx8 s[8:15], s[4:5], 0x40
	s_mov_b64 s[0:1], 0
	s_waitcnt lgkmcnt(0)
	s_cmp_lg_u64 s[2:3], 0
	s_cbranch_scc0 .LBB131_11
; %bb.1:
	s_load_dword s2, s[2:3], 0x0
	s_waitcnt lgkmcnt(0)
	s_mul_i32 s2, s2, s8
	s_andn2_b64 vcc, exec, s[0:1]
	s_cbranch_vccnz .LBB131_3
.LBB131_2:
	s_mul_i32 s2, s10, s9
.LBB131_3:
	s_load_dwordx2 s[8:9], s[4:5], 0x30
	s_abs_i32 s1, s2
	s_waitcnt lgkmcnt(0)
	s_abs_i32 s0, s8
	v_cvt_f32_u32_e32 v1, s0
	s_sub_i32 s7, 0, s0
	s_xor_b32 s3, s2, s8
	s_ashr_i32 s3, s3, 31
	v_rcp_iflag_f32_e32 v1, v1
	v_mul_f32_e32 v1, 0x4f7ffffe, v1
	v_cvt_u32_f32_e32 v1, v1
	v_readfirstlane_b32 s15, v1
	s_mul_i32 s7, s7, s15
	s_mul_hi_u32 s7, s15, s7
	s_add_i32 s15, s15, s7
	s_mul_hi_u32 s7, s1, s15
	s_mul_i32 s15, s7, s0
	s_sub_i32 s1, s1, s15
	s_add_i32 s16, s7, 1
	s_sub_i32 s15, s1, s0
	s_cmp_ge_u32 s1, s0
	s_cselect_b32 s7, s16, s7
	s_cselect_b32 s1, s15, s1
	s_add_i32 s15, s7, 1
	s_cmp_ge_u32 s1, s0
	s_cselect_b32 s0, s15, s7
	s_xor_b32 s0, s0, s3
	s_sub_i32 s7, s0, s3
	s_mul_i32 s0, s7, s8
	s_sub_i32 s2, s2, s0
	s_cmp_lt_u32 s6, s2
	s_cselect_b64 s[0:1], -1, 0
	s_add_i32 s8, s7, 1
	s_cmp_ge_u32 s6, s2
	s_cbranch_scc0 .LBB131_5
; %bb.4:
	s_mul_i32 s3, s2, s8
	s_sub_i32 s2, s6, s2
	s_mul_i32 s2, s2, s7
	s_add_i32 s34, s2, s3
	s_cbranch_execz .LBB131_6
	s_branch .LBB131_7
.LBB131_5:
                                        ; implicit-def: $sgpr34
.LBB131_6:
	s_mul_i32 s34, s8, s6
.LBB131_7:
	v_cndmask_b32_e64 v1, 0, 1, s[0:1]
	v_readfirstlane_b32 s0, v1
	s_add_i32 s8, s7, s0
	s_cmp_lt_i32 s8, 1
	s_cbranch_scc1 .LBB131_35
; %bb.8:
	s_load_dwordx2 s[0:1], s[4:5], 0x20
	s_ashr_i32 s35, s34, 31
	s_lshl_b64 s[2:3], s[34:35], 2
	v_and_b32_e32 v1, 63, v0
	s_mov_b32 s27, 0x20000
	s_waitcnt lgkmcnt(0)
	s_add_u32 s24, s0, s2
	s_addc_u32 s0, s1, s3
	s_lshl_b32 s26, s8, 2
	s_and_b32 s25, s0, 0xffff
	v_lshlrev_b32_e32 v38, 2, v1
	buffer_load_dword v33, v38, s[24:27], 0 offen
	v_cmp_eq_u32_e32 vcc, 63, v1
	v_lshrrev_b32_e32 v1, 4, v0
	v_and_b32_e32 v35, 60, v1
	v_and_b32_e32 v1, 7, v0
	s_abs_i32 s33, s10
	v_lshlrev_b32_e32 v36, 2, v1
	v_cvt_f32_u32_e32 v1, s33
	s_add_i32 s2, s9, 15
	s_ashr_i32 s3, s2, 31
	s_lshr_b32 s3, s3, 28
	v_rcp_iflag_f32_e32 v1, v1
	s_add_i32 s2, s2, s3
	s_ashr_i32 s2, s2, 4
	v_lshlrev_b32_e32 v32, 5, v0
	v_lshlrev_b32_e32 v34, 6, v0
	v_cmp_eq_u32_e64 s[0:1], 0, v0
	v_cmp_gt_u32_e64 s[2:3], s2, v0
	v_lshlrev_b32_e32 v37, 4, v0
	v_mul_f32_e32 v0, 0x4f7ffffe, v1
	s_load_dwordx8 s[16:23], s[4:5], 0x0
	s_add_i32 s4, s9, 3
	v_cvt_u32_f32_e32 v0, v0
	s_ashr_i32 s5, s4, 31
	s_lshr_b32 s5, s5, 30
	s_add_i32 s4, s4, s5
	s_and_b32 s38, s4, -4
	s_sub_i32 s4, 0, s33
	v_readfirstlane_b32 s41, v0
	s_mul_i32 s4, s4, s41
	s_mul_hi_u32 s4, s41, s4
	s_lshl_b32 s6, s9, 1
	s_lshl_b32 s30, s9, 2
	s_ashr_i32 s40, s10, 31
	s_add_i32 s41, s41, s4
	s_mov_b32 s15, s9
	s_waitcnt vmcnt(0) lgkmcnt(0)
	s_barrier
	v_readlane_b32 s28, v33, 0
	s_cmp_lt_i32 s28, 0
	s_cbranch_scc1 .LBB131_12
; %bb.9:
	s_abs_i32 s4, s34
	s_mul_hi_u32 s5, s4, s41
	s_mul_i32 s27, s5, s33
	s_sub_i32 s4, s4, s27
	s_xor_b32 s7, s35, s40
	s_add_i32 s27, s5, 1
	s_sub_i32 s29, s4, s33
	s_cmp_ge_u32 s4, s33
	s_cselect_b32 s5, s27, s5
	s_cselect_b32 s4, s29, s4
	s_add_i32 s27, s5, 1
	s_cmp_ge_u32 s4, s33
	s_cselect_b32 s4, s27, s5
	s_xor_b32 s4, s4, s7
	s_sub_i32 s27, s4, s7
	s_mul_i32 s4, s27, s10
	s_sub_i32 s36, s34, s4
	s_mul_i32 s4, s36, s12
	s_mul_i32 s5, s27, s11
	s_add_i32 s35, s4, s5
	s_cmp_eq_u32 s35, -1
	s_cbranch_scc1 .LBB131_13
; %bb.10:
	s_mul_hi_i32 s5, s35, s15
	s_mul_i32 s4, s35, s15
	s_lshl_b64 s[4:5], s[4:5], 1
	s_add_u32 s4, s20, s4
	s_addc_u32 s5, s21, s5
	s_and_b32 s5, s5, 0xffff
	s_mov_b32 s7, 0x20000
	buffer_load_dwordx4 v[6:9], v32, s[4:7], 0 offen
	buffer_load_dwordx4 v[14:17], v32, s[4:7], 16 offen
	s_waitcnt vmcnt(1)
	v_cvt_f32_u32_sdwa v1, v6 dst_sel:DWORD dst_unused:UNUSED_PAD src0_sel:WORD_1
	v_cvt_f32_u32_sdwa v0, v6 dst_sel:DWORD dst_unused:UNUSED_PAD src0_sel:WORD_0
	v_cvt_f32_u32_sdwa v3, v7 dst_sel:DWORD dst_unused:UNUSED_PAD src0_sel:WORD_1
	v_cvt_f32_u32_sdwa v2, v7 dst_sel:DWORD dst_unused:UNUSED_PAD src0_sel:WORD_0
	;; [unrolled: 2-line block ×4, first 2 shown]
	s_waitcnt vmcnt(0)
	v_cvt_f32_u32_sdwa v9, v14 dst_sel:DWORD dst_unused:UNUSED_PAD src0_sel:WORD_1
	v_cvt_f32_u32_sdwa v8, v14 dst_sel:DWORD dst_unused:UNUSED_PAD src0_sel:WORD_0
	v_cvt_f32_u32_sdwa v11, v15 dst_sel:DWORD dst_unused:UNUSED_PAD src0_sel:WORD_1
	v_cvt_f32_u32_sdwa v10, v15 dst_sel:DWORD dst_unused:UNUSED_PAD src0_sel:WORD_0
	v_cvt_f32_u32_sdwa v13, v16 dst_sel:DWORD dst_unused:UNUSED_PAD src0_sel:WORD_1
	v_cvt_f32_u32_sdwa v12, v16 dst_sel:DWORD dst_unused:UNUSED_PAD src0_sel:WORD_0
	v_cvt_f32_u32_sdwa v15, v17 dst_sel:DWORD dst_unused:UNUSED_PAD src0_sel:WORD_1
	v_cvt_f32_u32_sdwa v14, v17 dst_sel:DWORD dst_unused:UNUSED_PAD src0_sel:WORD_0
	s_branch .LBB131_14
.LBB131_11:
                                        ; implicit-def: $sgpr2
	s_branch .LBB131_2
.LBB131_12:
	s_mov_b32 s35, -1
                                        ; implicit-def: $vgpr0_vgpr1_vgpr2_vgpr3_vgpr4_vgpr5_vgpr6_vgpr7_vgpr8_vgpr9_vgpr10_vgpr11_vgpr12_vgpr13_vgpr14_vgpr15
	s_cmp_eq_u32 s8, 1
	s_mov_b32 s42, 1
	s_cbranch_scc0 .LBB131_21
	s_branch .LBB131_35
.LBB131_13:
                                        ; implicit-def: $vgpr0_vgpr1_vgpr2_vgpr3_vgpr4_vgpr5_vgpr6_vgpr7_vgpr8_vgpr9_vgpr10_vgpr11_vgpr12_vgpr13_vgpr14_vgpr15
.LBB131_14:
	s_mul_i32 s4, s28, s9
	s_ashr_i32 s5, s4, 31
	s_lshl_b64 s[4:5], s[4:5], 2
	s_add_u32 s28, s22, s4
	s_addc_u32 s4, s23, s5
	s_and_b32 s29, s4, 0xffff
	s_mov_b32 s31, 0x20000
	buffer_load_dwordx4 v[16:19], v34, s[28:31], 0 offen
	buffer_load_dwordx4 v[20:23], v34, s[28:31], 16 offen
	;; [unrolled: 1-line block ×4, first 2 shown]
	s_mov_b32 s4, 0x2edbe6ff
	s_waitcnt vmcnt(3)
	v_pk_mul_f32 v[16:17], v[0:1], v[16:17]
	v_pk_mul_f32 v[18:19], v[2:3], v[18:19]
	v_max3_f32 v39, |v16|, s4, |v17|
	s_waitcnt vmcnt(2)
	v_pk_mul_f32 v[20:21], v[4:5], v[20:21]
	v_max3_f32 v39, v39, |v18|, |v19|
	v_pk_mul_f32 v[22:23], v[6:7], v[22:23]
	v_max3_f32 v39, v39, |v20|, |v21|
	s_waitcnt vmcnt(1)
	v_pk_mul_f32 v[24:25], v[8:9], v[24:25]
	v_max3_f32 v39, v39, |v22|, |v23|
	v_pk_mul_f32 v[26:27], v[10:11], v[26:27]
	v_max3_f32 v39, v39, |v24|, |v25|
	;; [unrolled: 5-line block ×3, first 2 shown]
	v_max3_f32 v39, v39, |v30|, |v31|
	s_nop 1
	v_mov_b32_dpp v40, v39 quad_perm:[1,0,3,2] row_mask:0xf bank_mask:0xf
	v_cmp_gt_f32_e64 s[4:5], v39, v40
	v_cndmask_b32_e64 v39, v40, v39, s[4:5]
	s_nop 1
	v_mov_b32_dpp v40, v39 quad_perm:[2,3,0,1] row_mask:0xf bank_mask:0xf
	v_cmp_gt_f32_e64 s[4:5], v39, v40
	v_cndmask_b32_e64 v39, v40, v39, s[4:5]
	s_nop 1
	v_mov_b32_dpp v40, v39 row_half_mirror row_mask:0xf bank_mask:0xf
	v_cmp_gt_f32_e64 s[4:5], v39, v40
	v_cndmask_b32_e64 v39, v40, v39, s[4:5]
	s_nop 1
	v_mov_b32_dpp v40, v39 row_mirror row_mask:0xf bank_mask:0xf
	v_cmp_gt_f32_e64 s[4:5], v39, v40
	v_cndmask_b32_e64 v39, v40, v39, s[4:5]
	s_nop 1
	v_mov_b32_dpp v40, v39 row_bcast:15 row_mask:0xf bank_mask:0xf
	v_cmp_gt_f32_e64 s[4:5], v39, v40
	v_cndmask_b32_e64 v39, v40, v39, s[4:5]
	s_nop 1
	v_mov_b32_dpp v40, v39 row_bcast:31 row_mask:0xf bank_mask:0xf
	s_and_saveexec_b64 s[28:29], vcc
	s_cbranch_execz .LBB131_16
; %bb.15:
	v_cmp_gt_f32_e64 s[4:5], v39, v40
	v_cndmask_b32_e64 v39, v40, v39, s[4:5]
	ds_write_b32 v35, v39
.LBB131_16:
	s_or_b64 exec, exec, s[28:29]
	s_waitcnt lgkmcnt(0)
	s_barrier
	ds_read_b32 v39, v36
	s_mul_i32 s27, s27, s13
	s_waitcnt lgkmcnt(0)
	v_mov_b32_dpp v40, v39 quad_perm:[1,0,3,2] row_mask:0xf bank_mask:0xf
	v_cmp_gt_f32_e64 s[4:5], v39, v40
	v_cndmask_b32_e64 v39, v40, v39, s[4:5]
	s_nop 1
	v_mov_b32_dpp v40, v39 quad_perm:[2,3,0,1] row_mask:0xf bank_mask:0xf
	v_cmp_gt_f32_e64 s[4:5], v39, v40
	v_cndmask_b32_e64 v39, v40, v39, s[4:5]
	s_nop 1
	v_mov_b32_dpp v40, v39 row_half_mirror row_mask:0xf bank_mask:0xf
	v_cmp_gt_f32_e64 s[4:5], v39, v40
	v_cndmask_b32_e64 v39, v40, v39, s[4:5]
	s_mul_i32 s4, s36, s14
	v_mul_f32_e32 v39, 0x3c010204, v39
	s_add_i32 s28, s4, s27
	s_and_saveexec_b64 s[4:5], s[0:1]
	s_cbranch_execz .LBB131_18
; %bb.17:
	s_ashr_i32 s29, s28, 31
	s_lshl_b64 s[36:37], s[28:29], 2
	s_add_u32 s36, s18, s36
	s_addc_u32 s37, s19, s37
	v_mov_b32_e32 v40, 0
	global_store_dword v40, v39, s[36:37]
.LBB131_18:
	s_or_b64 exec, exec, s[4:5]
	s_and_saveexec_b64 s[4:5], s[2:3]
	s_cbranch_execz .LBB131_20
; %bb.19:
	v_rcp_f32_e32 v40, v39
	s_mul_i32 s27, s28, s15
	s_mul_hi_i32 s7, s28, s15
	s_add_u32 s36, s16, s27
	v_mov_b32_e32 v41, v40
	;;#ASMSTART
	v_pk_mul_f32 v[16:17], v[16:17], v[40:41]
	;;#ASMEND
	v_cvt_i32_f32_e32 v39, v16
	v_cvt_i32_f32_sdwa v42, v17 dst_sel:BYTE_1 dst_unused:UNUSED_PAD src0_sel:DWORD
	;;#ASMSTART
	v_pk_mul_f32 v[16:17], v[18:19], v[40:41]
	;;#ASMEND
	v_cvt_i32_f32_e32 v18, v16
	v_cvt_i32_f32_sdwa v19, v17 dst_sel:BYTE_1 dst_unused:UNUSED_PAD src0_sel:DWORD
	;; [unrolled: 5-line block ×8, first 2 shown]
	v_or_b32_sdwa v16, v39, v42 dst_sel:DWORD dst_unused:UNUSED_PAD src0_sel:BYTE_0 src1_sel:DWORD
	v_or_b32_sdwa v17, v18, v19 dst_sel:WORD_1 dst_unused:UNUSED_PAD src0_sel:BYTE_0 src1_sel:DWORD
	v_or_b32_sdwa v16, v16, v17 dst_sel:DWORD dst_unused:UNUSED_PAD src0_sel:WORD_0 src1_sel:DWORD
	v_or_b32_sdwa v17, v20, v21 dst_sel:DWORD dst_unused:UNUSED_PAD src0_sel:BYTE_0 src1_sel:DWORD
	v_or_b32_sdwa v18, v22, v23 dst_sel:WORD_1 dst_unused:UNUSED_PAD src0_sel:BYTE_0 src1_sel:DWORD
	v_or_b32_sdwa v17, v17, v18 dst_sel:DWORD dst_unused:UNUSED_PAD src0_sel:WORD_0 src1_sel:DWORD
	v_or_b32_sdwa v18, v24, v25 dst_sel:DWORD dst_unused:UNUSED_PAD src0_sel:BYTE_0 src1_sel:DWORD
	v_or_b32_sdwa v19, v26, v27 dst_sel:WORD_1 dst_unused:UNUSED_PAD src0_sel:BYTE_0 src1_sel:DWORD
	s_addc_u32 s7, s17, s7
	v_or_b32_sdwa v18, v18, v19 dst_sel:DWORD dst_unused:UNUSED_PAD src0_sel:WORD_0 src1_sel:DWORD
	v_or_b32_sdwa v19, v28, v29 dst_sel:DWORD dst_unused:UNUSED_PAD src0_sel:BYTE_0 src1_sel:DWORD
	v_or_b32_sdwa v20, v30, v31 dst_sel:WORD_1 dst_unused:UNUSED_PAD src0_sel:BYTE_0 src1_sel:DWORD
	s_and_b32 s37, s7, 0xffff
	s_mov_b32 s39, 0x20000
	v_or_b32_sdwa v19, v19, v20 dst_sel:DWORD dst_unused:UNUSED_PAD src0_sel:WORD_0 src1_sel:DWORD
	buffer_store_dwordx4 v[16:19], v37, s[36:39], 0 offen
	;;#ASMSTART
	s_nop 0
	;;#ASMEND
.LBB131_20:
	s_or_b64 exec, exec, s[4:5]
	s_cmp_eq_u32 s8, 1
	s_mov_b32 s42, 1
	s_cbranch_scc1 .LBB131_35
.LBB131_21:
	v_add_u32_e32 v38, 4, v38
	s_mov_b32 s31, 0x20000
	s_mov_b32 s43, 0x2edbe6ff
	v_mov_b32_e32 v39, 0
	s_branch .LBB131_24
.LBB131_22:                             ;   in Loop: Header=BB131_24 Depth=1
	s_or_b64 exec, exec, s[4:5]
.LBB131_23:                             ;   in Loop: Header=BB131_24 Depth=1
	s_add_i32 s42, s42, 1
	s_cmp_eq_u32 s8, s42
	v_add_u32_e32 v38, 4, v38
	s_cbranch_scc1 .LBB131_35
.LBB131_24:                             ; =>This Inner Loop Header: Depth=1
	s_and_b32 s4, s42, 63
	s_cmp_lg_u32 s4, 0
	s_cbranch_scc1 .LBB131_26
; %bb.25:                               ;   in Loop: Header=BB131_24 Depth=1
	s_mov_b32 s27, s31
	buffer_load_dword v33, v38, s[24:27], 0 offen
	s_waitcnt vmcnt(0)
.LBB131_26:                             ;   in Loop: Header=BB131_24 Depth=1
	v_readlane_b32 s28, v33, s4
	s_cmp_lt_i32 s28, 0
	s_cbranch_scc1 .LBB131_23
; %bb.27:                               ;   in Loop: Header=BB131_24 Depth=1
	s_add_i32 s4, s34, s42
	s_abs_i32 s7, s4
	s_mul_hi_u32 s27, s7, s41
	s_mul_i32 s29, s27, s33
	s_ashr_i32 s5, s4, 31
	s_sub_i32 s7, s7, s29
	s_xor_b32 s5, s5, s40
	s_add_i32 s29, s27, 1
	s_sub_i32 s36, s7, s33
	s_cmp_ge_u32 s7, s33
	s_cselect_b32 s27, s29, s27
	s_cselect_b32 s7, s36, s7
	s_add_i32 s29, s27, 1
	s_cmp_ge_u32 s7, s33
	s_cselect_b32 s7, s29, s27
	s_xor_b32 s7, s7, s5
	s_sub_i32 s27, s7, s5
	s_mul_i32 s5, s27, s10
	s_sub_i32 s36, s4, s5
	s_mul_i32 s29, s36, s12
	s_mul_i32 s4, s27, s11
	s_add_i32 s29, s29, s4
	s_cmp_eq_u32 s29, s35
	s_cbranch_scc1 .LBB131_29
; %bb.28:                               ;   in Loop: Header=BB131_24 Depth=1
	s_mul_hi_i32 s5, s29, s15
	s_mul_i32 s4, s29, s15
	s_lshl_b64 s[4:5], s[4:5], 1
	s_add_u32 s4, s20, s4
	s_addc_u32 s5, s21, s5
	s_and_b32 s5, s5, 0xffff
	s_mov_b32 s7, s31
	buffer_load_dwordx4 v[6:9], v32, s[4:7], 0 offen
	buffer_load_dwordx4 v[14:17], v32, s[4:7], 16 offen
	s_mov_b32 s35, s29
	s_waitcnt vmcnt(1)
	v_cvt_f32_u32_sdwa v1, v6 dst_sel:DWORD dst_unused:UNUSED_PAD src0_sel:WORD_1
	v_cvt_f32_u32_sdwa v0, v6 dst_sel:DWORD dst_unused:UNUSED_PAD src0_sel:WORD_0
	v_cvt_f32_u32_sdwa v3, v7 dst_sel:DWORD dst_unused:UNUSED_PAD src0_sel:WORD_1
	v_cvt_f32_u32_sdwa v2, v7 dst_sel:DWORD dst_unused:UNUSED_PAD src0_sel:WORD_0
	;; [unrolled: 2-line block ×4, first 2 shown]
	s_waitcnt vmcnt(0)
	v_cvt_f32_u32_sdwa v9, v14 dst_sel:DWORD dst_unused:UNUSED_PAD src0_sel:WORD_1
	v_cvt_f32_u32_sdwa v8, v14 dst_sel:DWORD dst_unused:UNUSED_PAD src0_sel:WORD_0
	v_cvt_f32_u32_sdwa v11, v15 dst_sel:DWORD dst_unused:UNUSED_PAD src0_sel:WORD_1
	v_cvt_f32_u32_sdwa v10, v15 dst_sel:DWORD dst_unused:UNUSED_PAD src0_sel:WORD_0
	;; [unrolled: 2-line block ×4, first 2 shown]
.LBB131_29:                             ;   in Loop: Header=BB131_24 Depth=1
	s_mul_i32 s4, s28, s9
	s_ashr_i32 s5, s4, 31
	s_lshl_b64 s[4:5], s[4:5], 2
	s_add_u32 s28, s22, s4
	s_addc_u32 s4, s23, s5
	s_and_b32 s29, s4, 0xffff
	buffer_load_dwordx4 v[16:19], v34, s[28:31], 0 offen
	buffer_load_dwordx4 v[20:23], v34, s[28:31], 16 offen
	buffer_load_dwordx4 v[24:27], v34, s[28:31], 32 offen
	buffer_load_dwordx4 v[28:31], v34, s[28:31], 48 offen
	s_waitcnt vmcnt(3)
	v_pk_mul_f32 v[16:17], v[0:1], v[16:17]
	v_pk_mul_f32 v[18:19], v[2:3], v[18:19]
	v_max3_f32 v40, |v16|, s43, |v17|
	s_waitcnt vmcnt(2)
	v_pk_mul_f32 v[20:21], v[4:5], v[20:21]
	v_max3_f32 v40, v40, |v18|, |v19|
	v_pk_mul_f32 v[22:23], v[6:7], v[22:23]
	v_max3_f32 v40, v40, |v20|, |v21|
	s_waitcnt vmcnt(1)
	v_pk_mul_f32 v[24:25], v[8:9], v[24:25]
	v_max3_f32 v40, v40, |v22|, |v23|
	v_pk_mul_f32 v[26:27], v[10:11], v[26:27]
	v_max3_f32 v40, v40, |v24|, |v25|
	;; [unrolled: 5-line block ×3, first 2 shown]
	v_max3_f32 v40, v40, |v30|, |v31|
	s_nop 1
	v_mov_b32_dpp v41, v40 quad_perm:[1,0,3,2] row_mask:0xf bank_mask:0xf
	v_cmp_gt_f32_e64 s[4:5], v40, v41
	v_cndmask_b32_e64 v40, v41, v40, s[4:5]
	s_nop 1
	v_mov_b32_dpp v41, v40 quad_perm:[2,3,0,1] row_mask:0xf bank_mask:0xf
	v_cmp_gt_f32_e64 s[4:5], v40, v41
	v_cndmask_b32_e64 v40, v41, v40, s[4:5]
	s_nop 1
	v_mov_b32_dpp v41, v40 row_half_mirror row_mask:0xf bank_mask:0xf
	v_cmp_gt_f32_e64 s[4:5], v40, v41
	v_cndmask_b32_e64 v40, v41, v40, s[4:5]
	s_nop 1
	v_mov_b32_dpp v41, v40 row_mirror row_mask:0xf bank_mask:0xf
	v_cmp_gt_f32_e64 s[4:5], v40, v41
	v_cndmask_b32_e64 v40, v41, v40, s[4:5]
	s_nop 1
	v_mov_b32_dpp v41, v40 row_bcast:15 row_mask:0xf bank_mask:0xf
	v_cmp_gt_f32_e64 s[4:5], v40, v41
	v_cndmask_b32_e64 v40, v41, v40, s[4:5]
	s_nop 1
	v_mov_b32_dpp v41, v40 row_bcast:31 row_mask:0xf bank_mask:0xf
	s_and_saveexec_b64 s[28:29], vcc
	s_cbranch_execz .LBB131_31
; %bb.30:                               ;   in Loop: Header=BB131_24 Depth=1
	v_cmp_gt_f32_e64 s[4:5], v40, v41
	v_cndmask_b32_e64 v40, v41, v40, s[4:5]
	ds_write_b32 v35, v40
.LBB131_31:                             ;   in Loop: Header=BB131_24 Depth=1
	s_or_b64 exec, exec, s[28:29]
	s_waitcnt lgkmcnt(0)
	s_barrier
	ds_read_b32 v40, v36
	s_mul_i32 s27, s27, s13
	s_waitcnt lgkmcnt(0)
	v_mov_b32_dpp v41, v40 quad_perm:[1,0,3,2] row_mask:0xf bank_mask:0xf
	v_cmp_gt_f32_e64 s[4:5], v40, v41
	v_cndmask_b32_e64 v40, v41, v40, s[4:5]
	s_nop 1
	v_mov_b32_dpp v41, v40 quad_perm:[2,3,0,1] row_mask:0xf bank_mask:0xf
	v_cmp_gt_f32_e64 s[4:5], v40, v41
	v_cndmask_b32_e64 v40, v41, v40, s[4:5]
	s_nop 1
	v_mov_b32_dpp v41, v40 row_half_mirror row_mask:0xf bank_mask:0xf
	v_cmp_gt_f32_e64 s[4:5], v40, v41
	v_cndmask_b32_e64 v40, v41, v40, s[4:5]
	s_mul_i32 s4, s36, s14
	v_mul_f32_e32 v40, 0x3c010204, v40
	s_add_i32 s28, s4, s27
	s_and_saveexec_b64 s[4:5], s[0:1]
	s_cbranch_execz .LBB131_33
; %bb.32:                               ;   in Loop: Header=BB131_24 Depth=1
	s_ashr_i32 s29, s28, 31
	s_lshl_b64 s[36:37], s[28:29], 2
	s_add_u32 s36, s18, s36
	s_addc_u32 s37, s19, s37
	global_store_dword v39, v40, s[36:37]
.LBB131_33:                             ;   in Loop: Header=BB131_24 Depth=1
	s_or_b64 exec, exec, s[4:5]
	s_and_saveexec_b64 s[4:5], s[2:3]
	s_cbranch_execz .LBB131_22
; %bb.34:                               ;   in Loop: Header=BB131_24 Depth=1
	v_rcp_f32_e32 v40, v40
	s_mul_i32 s27, s28, s15
	s_mul_hi_i32 s7, s28, s15
	s_add_u32 s36, s16, s27
	v_mov_b32_e32 v41, v40
	;;#ASMSTART
	v_pk_mul_f32 v[16:17], v[16:17], v[40:41]
	;;#ASMEND
	v_cvt_i32_f32_e32 v42, v16
	v_cvt_i32_f32_sdwa v43, v17 dst_sel:BYTE_1 dst_unused:UNUSED_PAD src0_sel:DWORD
	;;#ASMSTART
	v_pk_mul_f32 v[16:17], v[18:19], v[40:41]
	;;#ASMEND
	v_cvt_i32_f32_e32 v18, v16
	v_cvt_i32_f32_sdwa v19, v17 dst_sel:BYTE_1 dst_unused:UNUSED_PAD src0_sel:DWORD
	;; [unrolled: 5-line block ×8, first 2 shown]
	v_or_b32_sdwa v16, v42, v43 dst_sel:DWORD dst_unused:UNUSED_PAD src0_sel:BYTE_0 src1_sel:DWORD
	v_or_b32_sdwa v17, v18, v19 dst_sel:WORD_1 dst_unused:UNUSED_PAD src0_sel:BYTE_0 src1_sel:DWORD
	v_or_b32_sdwa v16, v16, v17 dst_sel:DWORD dst_unused:UNUSED_PAD src0_sel:WORD_0 src1_sel:DWORD
	v_or_b32_sdwa v17, v20, v21 dst_sel:DWORD dst_unused:UNUSED_PAD src0_sel:BYTE_0 src1_sel:DWORD
	v_or_b32_sdwa v18, v22, v23 dst_sel:WORD_1 dst_unused:UNUSED_PAD src0_sel:BYTE_0 src1_sel:DWORD
	v_or_b32_sdwa v17, v17, v18 dst_sel:DWORD dst_unused:UNUSED_PAD src0_sel:WORD_0 src1_sel:DWORD
	v_or_b32_sdwa v18, v24, v25 dst_sel:DWORD dst_unused:UNUSED_PAD src0_sel:BYTE_0 src1_sel:DWORD
	v_or_b32_sdwa v19, v26, v27 dst_sel:WORD_1 dst_unused:UNUSED_PAD src0_sel:BYTE_0 src1_sel:DWORD
	s_addc_u32 s7, s17, s7
	v_or_b32_sdwa v18, v18, v19 dst_sel:DWORD dst_unused:UNUSED_PAD src0_sel:WORD_0 src1_sel:DWORD
	v_or_b32_sdwa v19, v28, v29 dst_sel:DWORD dst_unused:UNUSED_PAD src0_sel:BYTE_0 src1_sel:DWORD
	v_or_b32_sdwa v20, v30, v31 dst_sel:WORD_1 dst_unused:UNUSED_PAD src0_sel:BYTE_0 src1_sel:DWORD
	s_and_b32 s37, s7, 0xffff
	s_mov_b32 s39, s31
	v_or_b32_sdwa v19, v19, v20 dst_sel:DWORD dst_unused:UNUSED_PAD src0_sel:WORD_0 src1_sel:DWORD
	buffer_store_dwordx4 v[16:19], v37, s[36:39], 0 offen
	;;#ASMSTART
	s_nop 0
	;;#ASMEND
	s_branch .LBB131_22
.LBB131_35:
	s_endpgm
	.section	.rodata,"a",@progbits
	.p2align	6, 0x0
	.amdhsa_kernel _ZN5aiter36smooth_per_token_scaled_quant_kernelItaLi512ELi16ELb0ELb1ELb0ELi1024EEEvPT0_PfPT_S3_PiS6_iiPKiiiiiiiii
		.amdhsa_group_segment_fixed_size 32
		.amdhsa_private_segment_fixed_size 0
		.amdhsa_kernarg_size 96
		.amdhsa_user_sgpr_count 6
		.amdhsa_user_sgpr_private_segment_buffer 1
		.amdhsa_user_sgpr_dispatch_ptr 0
		.amdhsa_user_sgpr_queue_ptr 0
		.amdhsa_user_sgpr_kernarg_segment_ptr 1
		.amdhsa_user_sgpr_dispatch_id 0
		.amdhsa_user_sgpr_flat_scratch_init 0
		.amdhsa_user_sgpr_kernarg_preload_length 0
		.amdhsa_user_sgpr_kernarg_preload_offset 0
		.amdhsa_user_sgpr_private_segment_size 0
		.amdhsa_uses_dynamic_stack 0
		.amdhsa_system_sgpr_private_segment_wavefront_offset 0
		.amdhsa_system_sgpr_workgroup_id_x 1
		.amdhsa_system_sgpr_workgroup_id_y 0
		.amdhsa_system_sgpr_workgroup_id_z 0
		.amdhsa_system_sgpr_workgroup_info 0
		.amdhsa_system_vgpr_workitem_id 0
		.amdhsa_next_free_vgpr 44
		.amdhsa_next_free_sgpr 44
		.amdhsa_accum_offset 44
		.amdhsa_reserve_vcc 1
		.amdhsa_reserve_flat_scratch 0
		.amdhsa_float_round_mode_32 0
		.amdhsa_float_round_mode_16_64 0
		.amdhsa_float_denorm_mode_32 3
		.amdhsa_float_denorm_mode_16_64 3
		.amdhsa_dx10_clamp 1
		.amdhsa_ieee_mode 1
		.amdhsa_fp16_overflow 0
		.amdhsa_tg_split 0
		.amdhsa_exception_fp_ieee_invalid_op 0
		.amdhsa_exception_fp_denorm_src 0
		.amdhsa_exception_fp_ieee_div_zero 0
		.amdhsa_exception_fp_ieee_overflow 0
		.amdhsa_exception_fp_ieee_underflow 0
		.amdhsa_exception_fp_ieee_inexact 0
		.amdhsa_exception_int_div_zero 0
	.end_amdhsa_kernel
	.section	.text._ZN5aiter36smooth_per_token_scaled_quant_kernelItaLi512ELi16ELb0ELb1ELb0ELi1024EEEvPT0_PfPT_S3_PiS6_iiPKiiiiiiiii,"axG",@progbits,_ZN5aiter36smooth_per_token_scaled_quant_kernelItaLi512ELi16ELb0ELb1ELb0ELi1024EEEvPT0_PfPT_S3_PiS6_iiPKiiiiiiiii,comdat
.Lfunc_end131:
	.size	_ZN5aiter36smooth_per_token_scaled_quant_kernelItaLi512ELi16ELb0ELb1ELb0ELi1024EEEvPT0_PfPT_S3_PiS6_iiPKiiiiiiiii, .Lfunc_end131-_ZN5aiter36smooth_per_token_scaled_quant_kernelItaLi512ELi16ELb0ELb1ELb0ELi1024EEEvPT0_PfPT_S3_PiS6_iiPKiiiiiiiii
                                        ; -- End function
	.section	.AMDGPU.csdata,"",@progbits
; Kernel info:
; codeLenInByte = 2960
; NumSgprs: 48
; NumVgprs: 44
; NumAgprs: 0
; TotalNumVgprs: 44
; ScratchSize: 0
; MemoryBound: 0
; FloatMode: 240
; IeeeMode: 1
; LDSByteSize: 32 bytes/workgroup (compile time only)
; SGPRBlocks: 5
; VGPRBlocks: 5
; NumSGPRsForWavesPerEU: 48
; NumVGPRsForWavesPerEU: 44
; AccumOffset: 44
; Occupancy: 8
; WaveLimiterHint : 0
; COMPUTE_PGM_RSRC2:SCRATCH_EN: 0
; COMPUTE_PGM_RSRC2:USER_SGPR: 6
; COMPUTE_PGM_RSRC2:TRAP_HANDLER: 0
; COMPUTE_PGM_RSRC2:TGID_X_EN: 1
; COMPUTE_PGM_RSRC2:TGID_Y_EN: 0
; COMPUTE_PGM_RSRC2:TGID_Z_EN: 0
; COMPUTE_PGM_RSRC2:TIDIG_COMP_CNT: 0
; COMPUTE_PGM_RSRC3_GFX90A:ACCUM_OFFSET: 10
; COMPUTE_PGM_RSRC3_GFX90A:TG_SPLIT: 0
	.section	.text._ZN5aiter36smooth_per_token_scaled_quant_kernelIDF16_aLi512ELi16ELb0ELb0ELb0ELi1024EEEvPT0_PfPT_S3_PiS6_iiPKiiiiiiiii,"axG",@progbits,_ZN5aiter36smooth_per_token_scaled_quant_kernelIDF16_aLi512ELi16ELb0ELb0ELb0ELi1024EEEvPT0_PfPT_S3_PiS6_iiPKiiiiiiiii,comdat
	.protected	_ZN5aiter36smooth_per_token_scaled_quant_kernelIDF16_aLi512ELi16ELb0ELb0ELb0ELi1024EEEvPT0_PfPT_S3_PiS6_iiPKiiiiiiiii ; -- Begin function _ZN5aiter36smooth_per_token_scaled_quant_kernelIDF16_aLi512ELi16ELb0ELb0ELb0ELi1024EEEvPT0_PfPT_S3_PiS6_iiPKiiiiiiiii
	.globl	_ZN5aiter36smooth_per_token_scaled_quant_kernelIDF16_aLi512ELi16ELb0ELb0ELb0ELi1024EEEvPT0_PfPT_S3_PiS6_iiPKiiiiiiiii
	.p2align	8
	.type	_ZN5aiter36smooth_per_token_scaled_quant_kernelIDF16_aLi512ELi16ELb0ELb0ELb0ELi1024EEEvPT0_PfPT_S3_PiS6_iiPKiiiiiiiii,@function
_ZN5aiter36smooth_per_token_scaled_quant_kernelIDF16_aLi512ELi16ELb0ELb0ELb0ELi1024EEEvPT0_PfPT_S3_PiS6_iiPKiiiiiiiii: ; @_ZN5aiter36smooth_per_token_scaled_quant_kernelIDF16_aLi512ELi16ELb0ELb0ELb0ELi1024EEEvPT0_PfPT_S3_PiS6_iiPKiiiiiiiii
; %bb.0:
	s_load_dwordx2 s[2:3], s[4:5], 0x38
	s_load_dwordx8 s[8:15], s[4:5], 0x40
	s_mov_b64 s[0:1], 0
	s_waitcnt lgkmcnt(0)
	s_cmp_lg_u64 s[2:3], 0
	s_cbranch_scc0 .LBB132_19
; %bb.1:
	s_load_dword s2, s[2:3], 0x0
	s_waitcnt lgkmcnt(0)
	s_mul_i32 s2, s2, s8
	s_andn2_b64 vcc, exec, s[0:1]
	s_cbranch_vccnz .LBB132_3
.LBB132_2:
	s_mul_i32 s2, s10, s9
.LBB132_3:
	s_load_dwordx2 s[8:9], s[4:5], 0x30
	s_abs_i32 s1, s2
	s_waitcnt lgkmcnt(0)
	s_abs_i32 s0, s8
	v_cvt_f32_u32_e32 v1, s0
	s_sub_i32 s7, 0, s0
	s_xor_b32 s3, s2, s8
	s_ashr_i32 s3, s3, 31
	v_rcp_iflag_f32_e32 v1, v1
	v_mul_f32_e32 v1, 0x4f7ffffe, v1
	v_cvt_u32_f32_e32 v1, v1
	v_readfirstlane_b32 s15, v1
	s_mul_i32 s7, s7, s15
	s_mul_hi_u32 s7, s15, s7
	s_add_i32 s15, s15, s7
	s_mul_hi_u32 s7, s1, s15
	s_mul_i32 s15, s7, s0
	s_sub_i32 s1, s1, s15
	s_add_i32 s16, s7, 1
	s_sub_i32 s15, s1, s0
	s_cmp_ge_u32 s1, s0
	s_cselect_b32 s7, s16, s7
	s_cselect_b32 s1, s15, s1
	s_add_i32 s15, s7, 1
	s_cmp_ge_u32 s1, s0
	s_cselect_b32 s0, s15, s7
	s_xor_b32 s0, s0, s3
	s_sub_i32 s7, s0, s3
	s_mul_i32 s0, s7, s8
	s_sub_i32 s2, s2, s0
	s_cmp_lt_u32 s6, s2
	s_cselect_b64 s[0:1], -1, 0
	s_add_i32 s8, s7, 1
	s_cmp_ge_u32 s6, s2
	s_cbranch_scc0 .LBB132_5
; %bb.4:
	s_mul_i32 s3, s2, s8
	s_sub_i32 s2, s6, s2
	s_mul_i32 s2, s2, s7
	s_add_i32 s15, s2, s3
	s_cbranch_execz .LBB132_6
	s_branch .LBB132_7
.LBB132_5:
                                        ; implicit-def: $sgpr15
.LBB132_6:
	s_mul_i32 s15, s8, s6
.LBB132_7:
	v_cndmask_b32_e64 v1, 0, 1, s[0:1]
	v_readfirstlane_b32 s0, v1
	s_add_i32 s33, s7, s0
	s_cmp_lt_i32 s33, 1
	s_cbranch_scc1 .LBB132_18
; %bb.8:
	v_and_b32_e32 v1, 63, v0
	v_cmp_eq_u32_e32 vcc, 63, v1
	v_lshrrev_b32_e32 v1, 4, v0
	v_and_b32_e32 v74, 60, v1
	v_and_b32_e32 v1, 7, v0
	s_abs_i32 s35, s10
	v_lshlrev_b32_e32 v75, 2, v1
	v_cvt_f32_u32_e32 v1, s35
	s_add_i32 s2, s9, 15
	s_ashr_i32 s3, s2, 31
	s_load_dwordx8 s[16:23], s[4:5], 0x0
	v_rcp_iflag_f32_e32 v1, v1
	s_lshr_b32 s3, s3, 28
	s_add_i32 s4, s9, 3
	s_add_i32 s2, s2, s3
	v_mul_f32_e32 v1, 0x4f7ffffe, v1
	v_cvt_u32_f32_e32 v1, v1
	s_ashr_i32 s5, s4, 31
	s_ashr_i32 s2, s2, 4
	s_lshr_b32 s5, s5, 30
	v_lshlrev_b32_e32 v72, 5, v0
	v_lshlrev_b32_e32 v73, 6, v0
	v_cmp_eq_u32_e64 s[0:1], 0, v0
	v_cmp_gt_u32_e64 s[2:3], s2, v0
	s_add_i32 s4, s4, s5
	v_lshlrev_b32_e32 v76, 4, v0
	v_readfirstlane_b32 s5, v1
                                        ; implicit-def: $vgpr0_vgpr1_vgpr2_vgpr3_vgpr4_vgpr5_vgpr6_vgpr7_vgpr8_vgpr9_vgpr10_vgpr11_vgpr12_vgpr13_vgpr14_vgpr15
                                        ; implicit-def: $vgpr4_vgpr5_vgpr6_vgpr7_vgpr8_vgpr9_vgpr10_vgpr11_vgpr12_vgpr13_vgpr14_vgpr15_vgpr16_vgpr17_vgpr18_vgpr19
	s_and_b32 s30, s4, -4
	s_sub_i32 s4, 0, s35
                                        ; implicit-def: $vgpr10_vgpr11_vgpr12_vgpr13_vgpr14_vgpr15_vgpr16_vgpr17_vgpr18_vgpr19_vgpr20_vgpr21_vgpr22_vgpr23_vgpr24_vgpr25
	s_mul_i32 s4, s4, s5
                                        ; implicit-def: $vgpr18_vgpr19_vgpr20_vgpr21_vgpr22_vgpr23_vgpr24_vgpr25_vgpr26_vgpr27_vgpr28_vgpr29_vgpr30_vgpr31_vgpr32_vgpr33
	s_mov_b32 s7, 0x20000
	s_waitcnt lgkmcnt(0)
	s_and_b32 s23, s23, 0xffff
	s_mul_hi_u32 s4, s5, s4
                                        ; implicit-def: $vgpr28_vgpr29_vgpr30_vgpr31_vgpr32_vgpr33_vgpr34_vgpr35_vgpr36_vgpr37_vgpr38_vgpr39_vgpr40_vgpr41_vgpr42_vgpr43
	s_mov_b32 s34, s9
	s_lshl_b32 s6, s9, 1
	s_lshl_b32 s26, s9, 2
	s_mov_b32 s27, s7
	s_ashr_i32 s36, s10, 31
	s_add_i32 s37, s5, s4
	s_mov_b32 s38, -1
	s_mov_b32 s24, s22
	s_mov_b32 s25, s23
	;; [unrolled: 1-line block ×3, first 2 shown]
	v_mov_b32_e32 v77, 0
                                        ; implicit-def: $vgpr40_vgpr41_vgpr42_vgpr43_vgpr44_vgpr45_vgpr46_vgpr47_vgpr48_vgpr49_vgpr50_vgpr51_vgpr52_vgpr53_vgpr54_vgpr55
                                        ; implicit-def: $vgpr70
                                        ; implicit-def: $vgpr54_vgpr55_vgpr56_vgpr57_vgpr58_vgpr59_vgpr60_vgpr61_vgpr62_vgpr63_vgpr64_vgpr65_vgpr66_vgpr67_vgpr68_vgpr69
	s_branch .LBB132_10
.LBB132_9:                              ;   in Loop: Header=BB132_10 Depth=1
	s_or_b64 exec, exec, s[4:5]
	s_add_i32 s33, s33, -1
	s_add_i32 s15, s15, 1
	s_cmp_eq_u32 s33, 0
	s_cbranch_scc1 .LBB132_18
.LBB132_10:                             ; =>This Inner Loop Header: Depth=1
	s_abs_i32 s5, s15
	s_mul_hi_u32 s8, s5, s37
	s_mul_i32 s9, s8, s35
	s_ashr_i32 s4, s15, 31
	s_sub_i32 s5, s5, s9
	s_xor_b32 s4, s4, s36
	s_add_i32 s9, s8, 1
	s_sub_i32 s23, s5, s35
	s_cmp_ge_u32 s5, s35
	s_cselect_b32 s8, s9, s8
	s_cselect_b32 s5, s23, s5
	s_add_i32 s9, s8, 1
	s_cmp_ge_u32 s5, s35
	s_cselect_b32 s5, s9, s8
	s_xor_b32 s5, s5, s4
	s_sub_i32 s23, s5, s4
	s_mul_i32 s4, s23, s10
	s_sub_i32 s28, s15, s4
	s_mul_i32 s8, s28, s12
	s_mul_i32 s4, s23, s11
	s_add_i32 s8, s8, s4
	s_cmp_eq_u32 s8, s38
	s_cbranch_scc1 .LBB132_12
; %bb.11:                               ;   in Loop: Header=BB132_10 Depth=1
	s_mul_hi_i32 s5, s8, s34
	s_mul_i32 s4, s8, s34
	s_lshl_b64 s[4:5], s[4:5], 1
	s_add_u32 s4, s20, s4
	s_addc_u32 s5, s21, s5
	s_and_b32 s5, s5, 0xffff
	buffer_load_dwordx4 v[2:5], v72, s[4:7], 0 offen
	buffer_load_dwordx4 v[10:13], v72, s[4:7], 16 offen
	s_mov_b32 s38, s8
	s_waitcnt vmcnt(1)
	v_cvt_f32_f16_e32 v70, v2
	v_cvt_f32_f16_sdwa v71, v2 dst_sel:DWORD dst_unused:UNUSED_PAD src0_sel:WORD_1
	v_cvt_f32_f16_e32 v2, v3
	v_cvt_f32_f16_sdwa v3, v3 dst_sel:DWORD dst_unused:UNUSED_PAD src0_sel:WORD_1
	;; [unrolled: 2-line block ×4, first 2 shown]
	s_waitcnt vmcnt(0)
	v_cvt_f32_f16_e32 v26, v10
	v_cvt_f32_f16_sdwa v27, v10 dst_sel:DWORD dst_unused:UNUSED_PAD src0_sel:WORD_1
	v_cvt_f32_f16_e32 v38, v11
	v_cvt_f32_f16_sdwa v39, v11 dst_sel:DWORD dst_unused:UNUSED_PAD src0_sel:WORD_1
	;; [unrolled: 2-line block ×4, first 2 shown]
.LBB132_12:                             ;   in Loop: Header=BB132_10 Depth=1
	buffer_load_dwordx4 v[4:7], v73, s[24:27], 0 offen
	buffer_load_dwordx4 v[10:13], v73, s[24:27], 16 offen
	s_waitcnt vmcnt(1)
	v_pk_mul_f32 v[0:1], v[70:71], v[4:5]
	v_pk_mul_f32 v[4:5], v[2:3], v[6:7]
	s_waitcnt vmcnt(0)
	v_pk_mul_f32 v[6:7], v[8:9], v[10:11]
	v_pk_mul_f32 v[10:11], v[16:17], v[12:13]
	buffer_load_dwordx4 v[12:15], v73, s[24:27], 32 offen
	buffer_load_dwordx4 v[18:21], v73, s[24:27], 48 offen
	v_max3_f32 v22, |v0|, s22, |v1|
	v_max3_f32 v22, v22, |v4|, |v5|
	v_max3_f32 v22, v22, |v6|, |v7|
	;; [unrolled: 1-line block ×3, first 2 shown]
	s_waitcnt vmcnt(1)
	v_pk_mul_f32 v[12:13], v[26:27], v[12:13]
	v_pk_mul_f32 v[14:15], v[38:39], v[14:15]
	v_max3_f32 v22, v22, |v12|, |v13|
	s_waitcnt vmcnt(0)
	v_pk_mul_f32 v[18:19], v[52:53], v[18:19]
	v_max3_f32 v22, v22, |v14|, |v15|
	v_pk_mul_f32 v[20:21], v[68:69], v[20:21]
	v_max3_f32 v22, v22, |v18|, |v19|
	v_max3_f32 v22, v22, |v20|, |v21|
	s_nop 1
	v_mov_b32_dpp v23, v22 quad_perm:[1,0,3,2] row_mask:0xf bank_mask:0xf
	v_cmp_gt_f32_e64 s[4:5], v22, v23
	v_cndmask_b32_e64 v22, v23, v22, s[4:5]
	s_nop 1
	v_mov_b32_dpp v23, v22 quad_perm:[2,3,0,1] row_mask:0xf bank_mask:0xf
	v_cmp_gt_f32_e64 s[4:5], v22, v23
	v_cndmask_b32_e64 v22, v23, v22, s[4:5]
	s_nop 1
	v_mov_b32_dpp v23, v22 row_half_mirror row_mask:0xf bank_mask:0xf
	v_cmp_gt_f32_e64 s[4:5], v22, v23
	v_cndmask_b32_e64 v22, v23, v22, s[4:5]
	s_nop 1
	v_mov_b32_dpp v23, v22 row_mirror row_mask:0xf bank_mask:0xf
	v_cmp_gt_f32_e64 s[4:5], v22, v23
	v_cndmask_b32_e64 v22, v23, v22, s[4:5]
	s_nop 1
	v_mov_b32_dpp v23, v22 row_bcast:15 row_mask:0xf bank_mask:0xf
	v_cmp_gt_f32_e64 s[4:5], v22, v23
	v_cndmask_b32_e64 v22, v23, v22, s[4:5]
	s_nop 1
	v_mov_b32_dpp v23, v22 row_bcast:31 row_mask:0xf bank_mask:0xf
	s_and_saveexec_b64 s[8:9], vcc
	s_cbranch_execz .LBB132_14
; %bb.13:                               ;   in Loop: Header=BB132_10 Depth=1
	v_cmp_gt_f32_e64 s[4:5], v22, v23
	v_cndmask_b32_e64 v22, v23, v22, s[4:5]
	ds_write_b32 v74, v22
.LBB132_14:                             ;   in Loop: Header=BB132_10 Depth=1
	s_or_b64 exec, exec, s[8:9]
	s_waitcnt lgkmcnt(0)
	s_barrier
	ds_read_b32 v22, v75
	s_mul_i32 s23, s23, s13
	s_waitcnt lgkmcnt(0)
	v_mov_b32_dpp v23, v22 quad_perm:[1,0,3,2] row_mask:0xf bank_mask:0xf
	v_cmp_gt_f32_e64 s[4:5], v22, v23
	v_cndmask_b32_e64 v22, v23, v22, s[4:5]
	s_nop 1
	v_mov_b32_dpp v23, v22 quad_perm:[2,3,0,1] row_mask:0xf bank_mask:0xf
	v_cmp_gt_f32_e64 s[4:5], v22, v23
	v_cndmask_b32_e64 v22, v23, v22, s[4:5]
	s_nop 1
	v_mov_b32_dpp v23, v22 row_half_mirror row_mask:0xf bank_mask:0xf
	v_cmp_gt_f32_e64 s[4:5], v22, v23
	v_cndmask_b32_e64 v22, v23, v22, s[4:5]
	s_mul_i32 s4, s28, s14
	v_mul_f32_e32 v22, 0x3c010204, v22
	s_add_i32 s8, s4, s23
	s_and_saveexec_b64 s[4:5], s[0:1]
	s_cbranch_execz .LBB132_16
; %bb.15:                               ;   in Loop: Header=BB132_10 Depth=1
	s_ashr_i32 s9, s8, 31
	s_lshl_b64 s[28:29], s[8:9], 2
	s_add_u32 s28, s18, s28
	s_addc_u32 s29, s19, s29
	global_store_dword v77, v22, s[28:29]
.LBB132_16:                             ;   in Loop: Header=BB132_10 Depth=1
	s_or_b64 exec, exec, s[4:5]
	s_and_saveexec_b64 s[4:5], s[2:3]
	s_cbranch_execz .LBB132_9
; %bb.17:                               ;   in Loop: Header=BB132_10 Depth=1
	v_rcp_f32_e32 v22, v22
	s_mul_hi_i32 s9, s8, s34
	s_mul_i32 s8, s8, s34
	s_add_u32 s28, s16, s8
	v_mov_b32_e32 v23, v22
	;;#ASMSTART
	v_pk_mul_f32 v[0:1], v[0:1], v[22:23]
	;;#ASMEND
	v_cvt_i32_f32_e32 v24, v0
	v_cvt_i32_f32_sdwa v25, v1 dst_sel:BYTE_1 dst_unused:UNUSED_PAD src0_sel:DWORD
	;;#ASMSTART
	v_pk_mul_f32 v[0:1], v[4:5], v[22:23]
	;;#ASMEND
	v_cvt_i32_f32_e32 v4, v0
	v_cvt_i32_f32_sdwa v5, v1 dst_sel:BYTE_1 dst_unused:UNUSED_PAD src0_sel:DWORD
	;; [unrolled: 5-line block ×8, first 2 shown]
	v_or_b32_sdwa v4, v4, v5 dst_sel:WORD_1 dst_unused:UNUSED_PAD src0_sel:BYTE_0 src1_sel:DWORD
	v_or_b32_sdwa v5, v6, v7 dst_sel:DWORD dst_unused:UNUSED_PAD src0_sel:BYTE_0 src1_sel:DWORD
	v_or_b32_sdwa v6, v10, v11 dst_sel:WORD_1 dst_unused:UNUSED_PAD src0_sel:BYTE_0 src1_sel:DWORD
	v_or_b32_sdwa v5, v5, v6 dst_sel:DWORD dst_unused:UNUSED_PAD src0_sel:WORD_0 src1_sel:DWORD
	v_or_b32_sdwa v6, v12, v13 dst_sel:DWORD dst_unused:UNUSED_PAD src0_sel:BYTE_0 src1_sel:DWORD
	v_or_b32_sdwa v7, v14, v15 dst_sel:WORD_1 dst_unused:UNUSED_PAD src0_sel:BYTE_0 src1_sel:DWORD
	s_addc_u32 s8, s17, s9
	v_or_b32_sdwa v20, v24, v25 dst_sel:DWORD dst_unused:UNUSED_PAD src0_sel:BYTE_0 src1_sel:DWORD
	v_or_b32_sdwa v6, v6, v7 dst_sel:DWORD dst_unused:UNUSED_PAD src0_sel:WORD_0 src1_sel:DWORD
	v_or_b32_sdwa v7, v18, v19 dst_sel:DWORD dst_unused:UNUSED_PAD src0_sel:BYTE_0 src1_sel:DWORD
	v_or_b32_sdwa v0, v0, v1 dst_sel:WORD_1 dst_unused:UNUSED_PAD src0_sel:BYTE_0 src1_sel:DWORD
	s_and_b32 s29, s8, 0xffff
	s_mov_b32 s31, s7
	v_or_b32_sdwa v4, v20, v4 dst_sel:DWORD dst_unused:UNUSED_PAD src0_sel:WORD_0 src1_sel:DWORD
	v_or_b32_sdwa v7, v7, v0 dst_sel:DWORD dst_unused:UNUSED_PAD src0_sel:WORD_0 src1_sel:DWORD
	buffer_store_dwordx4 v[4:7], v76, s[28:31], 0 offen
	;;#ASMSTART
	s_nop 0
	;;#ASMEND
	s_branch .LBB132_9
.LBB132_18:
	s_endpgm
.LBB132_19:
                                        ; implicit-def: $sgpr2
	s_branch .LBB132_2
	.section	.rodata,"a",@progbits
	.p2align	6, 0x0
	.amdhsa_kernel _ZN5aiter36smooth_per_token_scaled_quant_kernelIDF16_aLi512ELi16ELb0ELb0ELb0ELi1024EEEvPT0_PfPT_S3_PiS6_iiPKiiiiiiiii
		.amdhsa_group_segment_fixed_size 32
		.amdhsa_private_segment_fixed_size 0
		.amdhsa_kernarg_size 96
		.amdhsa_user_sgpr_count 6
		.amdhsa_user_sgpr_private_segment_buffer 1
		.amdhsa_user_sgpr_dispatch_ptr 0
		.amdhsa_user_sgpr_queue_ptr 0
		.amdhsa_user_sgpr_kernarg_segment_ptr 1
		.amdhsa_user_sgpr_dispatch_id 0
		.amdhsa_user_sgpr_flat_scratch_init 0
		.amdhsa_user_sgpr_kernarg_preload_length 0
		.amdhsa_user_sgpr_kernarg_preload_offset 0
		.amdhsa_user_sgpr_private_segment_size 0
		.amdhsa_uses_dynamic_stack 0
		.amdhsa_system_sgpr_private_segment_wavefront_offset 0
		.amdhsa_system_sgpr_workgroup_id_x 1
		.amdhsa_system_sgpr_workgroup_id_y 0
		.amdhsa_system_sgpr_workgroup_id_z 0
		.amdhsa_system_sgpr_workgroup_info 0
		.amdhsa_system_vgpr_workitem_id 0
		.amdhsa_next_free_vgpr 78
		.amdhsa_next_free_sgpr 39
		.amdhsa_accum_offset 80
		.amdhsa_reserve_vcc 1
		.amdhsa_reserve_flat_scratch 0
		.amdhsa_float_round_mode_32 0
		.amdhsa_float_round_mode_16_64 0
		.amdhsa_float_denorm_mode_32 3
		.amdhsa_float_denorm_mode_16_64 3
		.amdhsa_dx10_clamp 1
		.amdhsa_ieee_mode 1
		.amdhsa_fp16_overflow 0
		.amdhsa_tg_split 0
		.amdhsa_exception_fp_ieee_invalid_op 0
		.amdhsa_exception_fp_denorm_src 0
		.amdhsa_exception_fp_ieee_div_zero 0
		.amdhsa_exception_fp_ieee_overflow 0
		.amdhsa_exception_fp_ieee_underflow 0
		.amdhsa_exception_fp_ieee_inexact 0
		.amdhsa_exception_int_div_zero 0
	.end_amdhsa_kernel
	.section	.text._ZN5aiter36smooth_per_token_scaled_quant_kernelIDF16_aLi512ELi16ELb0ELb0ELb0ELi1024EEEvPT0_PfPT_S3_PiS6_iiPKiiiiiiiii,"axG",@progbits,_ZN5aiter36smooth_per_token_scaled_quant_kernelIDF16_aLi512ELi16ELb0ELb0ELb0ELi1024EEEvPT0_PfPT_S3_PiS6_iiPKiiiiiiiii,comdat
.Lfunc_end132:
	.size	_ZN5aiter36smooth_per_token_scaled_quant_kernelIDF16_aLi512ELi16ELb0ELb0ELb0ELi1024EEEvPT0_PfPT_S3_PiS6_iiPKiiiiiiiii, .Lfunc_end132-_ZN5aiter36smooth_per_token_scaled_quant_kernelIDF16_aLi512ELi16ELb0ELb0ELb0ELi1024EEEvPT0_PfPT_S3_PiS6_iiPKiiiiiiiii
                                        ; -- End function
	.section	.AMDGPU.csdata,"",@progbits
; Kernel info:
; codeLenInByte = 1584
; NumSgprs: 43
; NumVgprs: 78
; NumAgprs: 0
; TotalNumVgprs: 78
; ScratchSize: 0
; MemoryBound: 0
; FloatMode: 240
; IeeeMode: 1
; LDSByteSize: 32 bytes/workgroup (compile time only)
; SGPRBlocks: 5
; VGPRBlocks: 9
; NumSGPRsForWavesPerEU: 43
; NumVGPRsForWavesPerEU: 78
; AccumOffset: 80
; Occupancy: 6
; WaveLimiterHint : 0
; COMPUTE_PGM_RSRC2:SCRATCH_EN: 0
; COMPUTE_PGM_RSRC2:USER_SGPR: 6
; COMPUTE_PGM_RSRC2:TRAP_HANDLER: 0
; COMPUTE_PGM_RSRC2:TGID_X_EN: 1
; COMPUTE_PGM_RSRC2:TGID_Y_EN: 0
; COMPUTE_PGM_RSRC2:TGID_Z_EN: 0
; COMPUTE_PGM_RSRC2:TIDIG_COMP_CNT: 0
; COMPUTE_PGM_RSRC3_GFX90A:ACCUM_OFFSET: 19
; COMPUTE_PGM_RSRC3_GFX90A:TG_SPLIT: 0
	.section	.text._ZN5aiter36smooth_per_token_scaled_quant_kernelItaLi512ELi16ELb0ELb0ELb0ELi1024EEEvPT0_PfPT_S3_PiS6_iiPKiiiiiiiii,"axG",@progbits,_ZN5aiter36smooth_per_token_scaled_quant_kernelItaLi512ELi16ELb0ELb0ELb0ELi1024EEEvPT0_PfPT_S3_PiS6_iiPKiiiiiiiii,comdat
	.protected	_ZN5aiter36smooth_per_token_scaled_quant_kernelItaLi512ELi16ELb0ELb0ELb0ELi1024EEEvPT0_PfPT_S3_PiS6_iiPKiiiiiiiii ; -- Begin function _ZN5aiter36smooth_per_token_scaled_quant_kernelItaLi512ELi16ELb0ELb0ELb0ELi1024EEEvPT0_PfPT_S3_PiS6_iiPKiiiiiiiii
	.globl	_ZN5aiter36smooth_per_token_scaled_quant_kernelItaLi512ELi16ELb0ELb0ELb0ELi1024EEEvPT0_PfPT_S3_PiS6_iiPKiiiiiiiii
	.p2align	8
	.type	_ZN5aiter36smooth_per_token_scaled_quant_kernelItaLi512ELi16ELb0ELb0ELb0ELi1024EEEvPT0_PfPT_S3_PiS6_iiPKiiiiiiiii,@function
_ZN5aiter36smooth_per_token_scaled_quant_kernelItaLi512ELi16ELb0ELb0ELb0ELi1024EEEvPT0_PfPT_S3_PiS6_iiPKiiiiiiiii: ; @_ZN5aiter36smooth_per_token_scaled_quant_kernelItaLi512ELi16ELb0ELb0ELb0ELi1024EEEvPT0_PfPT_S3_PiS6_iiPKiiiiiiiii
; %bb.0:
	s_load_dwordx2 s[2:3], s[4:5], 0x38
	s_load_dwordx8 s[8:15], s[4:5], 0x40
	s_mov_b64 s[0:1], 0
	s_waitcnt lgkmcnt(0)
	s_cmp_lg_u64 s[2:3], 0
	s_cbranch_scc0 .LBB133_19
; %bb.1:
	s_load_dword s2, s[2:3], 0x0
	s_waitcnt lgkmcnt(0)
	s_mul_i32 s2, s2, s8
	s_andn2_b64 vcc, exec, s[0:1]
	s_cbranch_vccnz .LBB133_3
.LBB133_2:
	s_mul_i32 s2, s10, s9
.LBB133_3:
	s_load_dwordx2 s[8:9], s[4:5], 0x30
	s_abs_i32 s1, s2
	s_waitcnt lgkmcnt(0)
	s_abs_i32 s0, s8
	v_cvt_f32_u32_e32 v1, s0
	s_sub_i32 s7, 0, s0
	s_xor_b32 s3, s2, s8
	s_ashr_i32 s3, s3, 31
	v_rcp_iflag_f32_e32 v1, v1
	v_mul_f32_e32 v1, 0x4f7ffffe, v1
	v_cvt_u32_f32_e32 v1, v1
	v_readfirstlane_b32 s15, v1
	s_mul_i32 s7, s7, s15
	s_mul_hi_u32 s7, s15, s7
	s_add_i32 s15, s15, s7
	s_mul_hi_u32 s7, s1, s15
	s_mul_i32 s15, s7, s0
	s_sub_i32 s1, s1, s15
	s_add_i32 s16, s7, 1
	s_sub_i32 s15, s1, s0
	s_cmp_ge_u32 s1, s0
	s_cselect_b32 s7, s16, s7
	s_cselect_b32 s1, s15, s1
	s_add_i32 s15, s7, 1
	s_cmp_ge_u32 s1, s0
	s_cselect_b32 s0, s15, s7
	s_xor_b32 s0, s0, s3
	s_sub_i32 s7, s0, s3
	s_mul_i32 s0, s7, s8
	s_sub_i32 s2, s2, s0
	s_cmp_lt_u32 s6, s2
	s_cselect_b64 s[0:1], -1, 0
	s_add_i32 s8, s7, 1
	s_cmp_ge_u32 s6, s2
	s_cbranch_scc0 .LBB133_5
; %bb.4:
	s_mul_i32 s3, s2, s8
	s_sub_i32 s2, s6, s2
	s_mul_i32 s2, s2, s7
	s_add_i32 s15, s2, s3
	s_cbranch_execz .LBB133_6
	s_branch .LBB133_7
.LBB133_5:
                                        ; implicit-def: $sgpr15
.LBB133_6:
	s_mul_i32 s15, s8, s6
.LBB133_7:
	v_cndmask_b32_e64 v1, 0, 1, s[0:1]
	v_readfirstlane_b32 s0, v1
	s_add_i32 s33, s7, s0
	s_cmp_lt_i32 s33, 1
	s_cbranch_scc1 .LBB133_18
; %bb.8:
	v_and_b32_e32 v1, 63, v0
	v_cmp_eq_u32_e32 vcc, 63, v1
	v_lshrrev_b32_e32 v1, 4, v0
	v_and_b32_e32 v74, 60, v1
	v_and_b32_e32 v1, 7, v0
	s_abs_i32 s35, s10
	v_lshlrev_b32_e32 v75, 2, v1
	v_cvt_f32_u32_e32 v1, s35
	s_add_i32 s2, s9, 15
	s_ashr_i32 s3, s2, 31
	s_load_dwordx8 s[16:23], s[4:5], 0x0
	v_rcp_iflag_f32_e32 v1, v1
	s_lshr_b32 s3, s3, 28
	s_add_i32 s4, s9, 3
	s_add_i32 s2, s2, s3
	v_mul_f32_e32 v1, 0x4f7ffffe, v1
	v_cvt_u32_f32_e32 v1, v1
	s_ashr_i32 s5, s4, 31
	s_ashr_i32 s2, s2, 4
	s_lshr_b32 s5, s5, 30
	v_lshlrev_b32_e32 v72, 5, v0
	v_lshlrev_b32_e32 v73, 6, v0
	v_cmp_eq_u32_e64 s[0:1], 0, v0
	v_cmp_gt_u32_e64 s[2:3], s2, v0
	s_add_i32 s4, s4, s5
	v_lshlrev_b32_e32 v76, 4, v0
	v_readfirstlane_b32 s5, v1
                                        ; implicit-def: $vgpr0_vgpr1_vgpr2_vgpr3_vgpr4_vgpr5_vgpr6_vgpr7_vgpr8_vgpr9_vgpr10_vgpr11_vgpr12_vgpr13_vgpr14_vgpr15
                                        ; implicit-def: $vgpr4_vgpr5_vgpr6_vgpr7_vgpr8_vgpr9_vgpr10_vgpr11_vgpr12_vgpr13_vgpr14_vgpr15_vgpr16_vgpr17_vgpr18_vgpr19
	s_and_b32 s30, s4, -4
	s_sub_i32 s4, 0, s35
                                        ; implicit-def: $vgpr10_vgpr11_vgpr12_vgpr13_vgpr14_vgpr15_vgpr16_vgpr17_vgpr18_vgpr19_vgpr20_vgpr21_vgpr22_vgpr23_vgpr24_vgpr25
	s_mul_i32 s4, s4, s5
                                        ; implicit-def: $vgpr18_vgpr19_vgpr20_vgpr21_vgpr22_vgpr23_vgpr24_vgpr25_vgpr26_vgpr27_vgpr28_vgpr29_vgpr30_vgpr31_vgpr32_vgpr33
	s_mov_b32 s7, 0x20000
	s_waitcnt lgkmcnt(0)
	s_and_b32 s23, s23, 0xffff
	s_mul_hi_u32 s4, s5, s4
                                        ; implicit-def: $vgpr28_vgpr29_vgpr30_vgpr31_vgpr32_vgpr33_vgpr34_vgpr35_vgpr36_vgpr37_vgpr38_vgpr39_vgpr40_vgpr41_vgpr42_vgpr43
	s_mov_b32 s34, s9
	s_lshl_b32 s6, s9, 1
	s_lshl_b32 s26, s9, 2
	s_mov_b32 s27, s7
	s_ashr_i32 s36, s10, 31
	s_add_i32 s37, s5, s4
	s_mov_b32 s38, -1
	s_mov_b32 s24, s22
	s_mov_b32 s25, s23
	;; [unrolled: 1-line block ×3, first 2 shown]
	v_mov_b32_e32 v77, 0
                                        ; implicit-def: $vgpr40_vgpr41_vgpr42_vgpr43_vgpr44_vgpr45_vgpr46_vgpr47_vgpr48_vgpr49_vgpr50_vgpr51_vgpr52_vgpr53_vgpr54_vgpr55
                                        ; implicit-def: $vgpr70
                                        ; implicit-def: $vgpr54_vgpr55_vgpr56_vgpr57_vgpr58_vgpr59_vgpr60_vgpr61_vgpr62_vgpr63_vgpr64_vgpr65_vgpr66_vgpr67_vgpr68_vgpr69
	s_branch .LBB133_10
.LBB133_9:                              ;   in Loop: Header=BB133_10 Depth=1
	s_or_b64 exec, exec, s[4:5]
	s_add_i32 s33, s33, -1
	s_add_i32 s15, s15, 1
	s_cmp_eq_u32 s33, 0
	s_cbranch_scc1 .LBB133_18
.LBB133_10:                             ; =>This Inner Loop Header: Depth=1
	s_abs_i32 s5, s15
	s_mul_hi_u32 s8, s5, s37
	s_mul_i32 s9, s8, s35
	s_ashr_i32 s4, s15, 31
	s_sub_i32 s5, s5, s9
	s_xor_b32 s4, s4, s36
	s_add_i32 s9, s8, 1
	s_sub_i32 s23, s5, s35
	s_cmp_ge_u32 s5, s35
	s_cselect_b32 s8, s9, s8
	s_cselect_b32 s5, s23, s5
	s_add_i32 s9, s8, 1
	s_cmp_ge_u32 s5, s35
	s_cselect_b32 s5, s9, s8
	s_xor_b32 s5, s5, s4
	s_sub_i32 s23, s5, s4
	s_mul_i32 s4, s23, s10
	s_sub_i32 s28, s15, s4
	s_mul_i32 s8, s28, s12
	s_mul_i32 s4, s23, s11
	s_add_i32 s8, s8, s4
	s_cmp_eq_u32 s8, s38
	s_cbranch_scc1 .LBB133_12
; %bb.11:                               ;   in Loop: Header=BB133_10 Depth=1
	s_mul_hi_i32 s5, s8, s34
	s_mul_i32 s4, s8, s34
	s_lshl_b64 s[4:5], s[4:5], 1
	s_add_u32 s4, s20, s4
	s_addc_u32 s5, s21, s5
	s_and_b32 s5, s5, 0xffff
	buffer_load_dwordx4 v[4:7], v72, s[4:7], 0 offen
	buffer_load_dwordx4 v[10:13], v72, s[4:7], 16 offen
	s_mov_b32 s38, s8
	s_waitcnt vmcnt(1)
	v_cvt_f32_u32_sdwa v71, v4 dst_sel:DWORD dst_unused:UNUSED_PAD src0_sel:WORD_1
	v_cvt_f32_u32_sdwa v70, v4 dst_sel:DWORD dst_unused:UNUSED_PAD src0_sel:WORD_0
	v_cvt_f32_u32_sdwa v3, v5 dst_sel:DWORD dst_unused:UNUSED_PAD src0_sel:WORD_1
	v_cvt_f32_u32_sdwa v2, v5 dst_sel:DWORD dst_unused:UNUSED_PAD src0_sel:WORD_0
	;; [unrolled: 2-line block ×4, first 2 shown]
	s_waitcnt vmcnt(0)
	v_cvt_f32_u32_sdwa v27, v10 dst_sel:DWORD dst_unused:UNUSED_PAD src0_sel:WORD_1
	v_cvt_f32_u32_sdwa v26, v10 dst_sel:DWORD dst_unused:UNUSED_PAD src0_sel:WORD_0
	v_cvt_f32_u32_sdwa v39, v11 dst_sel:DWORD dst_unused:UNUSED_PAD src0_sel:WORD_1
	v_cvt_f32_u32_sdwa v38, v11 dst_sel:DWORD dst_unused:UNUSED_PAD src0_sel:WORD_0
	;; [unrolled: 2-line block ×4, first 2 shown]
.LBB133_12:                             ;   in Loop: Header=BB133_10 Depth=1
	buffer_load_dwordx4 v[4:7], v73, s[24:27], 0 offen
	buffer_load_dwordx4 v[10:13], v73, s[24:27], 16 offen
	s_waitcnt vmcnt(1)
	v_pk_mul_f32 v[0:1], v[70:71], v[4:5]
	v_pk_mul_f32 v[4:5], v[2:3], v[6:7]
	s_waitcnt vmcnt(0)
	v_pk_mul_f32 v[6:7], v[8:9], v[10:11]
	v_pk_mul_f32 v[10:11], v[16:17], v[12:13]
	buffer_load_dwordx4 v[12:15], v73, s[24:27], 32 offen
	buffer_load_dwordx4 v[18:21], v73, s[24:27], 48 offen
	v_max3_f32 v22, |v0|, s22, |v1|
	v_max3_f32 v22, v22, |v4|, |v5|
	v_max3_f32 v22, v22, |v6|, |v7|
	;; [unrolled: 1-line block ×3, first 2 shown]
	s_waitcnt vmcnt(1)
	v_pk_mul_f32 v[12:13], v[26:27], v[12:13]
	v_pk_mul_f32 v[14:15], v[38:39], v[14:15]
	v_max3_f32 v22, v22, |v12|, |v13|
	s_waitcnt vmcnt(0)
	v_pk_mul_f32 v[18:19], v[52:53], v[18:19]
	v_max3_f32 v22, v22, |v14|, |v15|
	v_pk_mul_f32 v[20:21], v[68:69], v[20:21]
	v_max3_f32 v22, v22, |v18|, |v19|
	v_max3_f32 v22, v22, |v20|, |v21|
	s_nop 1
	v_mov_b32_dpp v23, v22 quad_perm:[1,0,3,2] row_mask:0xf bank_mask:0xf
	v_cmp_gt_f32_e64 s[4:5], v22, v23
	v_cndmask_b32_e64 v22, v23, v22, s[4:5]
	s_nop 1
	v_mov_b32_dpp v23, v22 quad_perm:[2,3,0,1] row_mask:0xf bank_mask:0xf
	v_cmp_gt_f32_e64 s[4:5], v22, v23
	v_cndmask_b32_e64 v22, v23, v22, s[4:5]
	s_nop 1
	v_mov_b32_dpp v23, v22 row_half_mirror row_mask:0xf bank_mask:0xf
	v_cmp_gt_f32_e64 s[4:5], v22, v23
	v_cndmask_b32_e64 v22, v23, v22, s[4:5]
	s_nop 1
	v_mov_b32_dpp v23, v22 row_mirror row_mask:0xf bank_mask:0xf
	v_cmp_gt_f32_e64 s[4:5], v22, v23
	v_cndmask_b32_e64 v22, v23, v22, s[4:5]
	s_nop 1
	v_mov_b32_dpp v23, v22 row_bcast:15 row_mask:0xf bank_mask:0xf
	v_cmp_gt_f32_e64 s[4:5], v22, v23
	v_cndmask_b32_e64 v22, v23, v22, s[4:5]
	s_nop 1
	v_mov_b32_dpp v23, v22 row_bcast:31 row_mask:0xf bank_mask:0xf
	s_and_saveexec_b64 s[8:9], vcc
	s_cbranch_execz .LBB133_14
; %bb.13:                               ;   in Loop: Header=BB133_10 Depth=1
	v_cmp_gt_f32_e64 s[4:5], v22, v23
	v_cndmask_b32_e64 v22, v23, v22, s[4:5]
	ds_write_b32 v74, v22
.LBB133_14:                             ;   in Loop: Header=BB133_10 Depth=1
	s_or_b64 exec, exec, s[8:9]
	s_waitcnt lgkmcnt(0)
	s_barrier
	ds_read_b32 v22, v75
	s_mul_i32 s23, s23, s13
	s_waitcnt lgkmcnt(0)
	v_mov_b32_dpp v23, v22 quad_perm:[1,0,3,2] row_mask:0xf bank_mask:0xf
	v_cmp_gt_f32_e64 s[4:5], v22, v23
	v_cndmask_b32_e64 v22, v23, v22, s[4:5]
	s_nop 1
	v_mov_b32_dpp v23, v22 quad_perm:[2,3,0,1] row_mask:0xf bank_mask:0xf
	v_cmp_gt_f32_e64 s[4:5], v22, v23
	v_cndmask_b32_e64 v22, v23, v22, s[4:5]
	s_nop 1
	v_mov_b32_dpp v23, v22 row_half_mirror row_mask:0xf bank_mask:0xf
	v_cmp_gt_f32_e64 s[4:5], v22, v23
	v_cndmask_b32_e64 v22, v23, v22, s[4:5]
	s_mul_i32 s4, s28, s14
	v_mul_f32_e32 v22, 0x3c010204, v22
	s_add_i32 s8, s4, s23
	s_and_saveexec_b64 s[4:5], s[0:1]
	s_cbranch_execz .LBB133_16
; %bb.15:                               ;   in Loop: Header=BB133_10 Depth=1
	s_ashr_i32 s9, s8, 31
	s_lshl_b64 s[28:29], s[8:9], 2
	s_add_u32 s28, s18, s28
	s_addc_u32 s29, s19, s29
	global_store_dword v77, v22, s[28:29]
.LBB133_16:                             ;   in Loop: Header=BB133_10 Depth=1
	s_or_b64 exec, exec, s[4:5]
	s_and_saveexec_b64 s[4:5], s[2:3]
	s_cbranch_execz .LBB133_9
; %bb.17:                               ;   in Loop: Header=BB133_10 Depth=1
	v_rcp_f32_e32 v22, v22
	s_mul_hi_i32 s9, s8, s34
	s_mul_i32 s8, s8, s34
	s_add_u32 s28, s16, s8
	v_mov_b32_e32 v23, v22
	;;#ASMSTART
	v_pk_mul_f32 v[0:1], v[0:1], v[22:23]
	;;#ASMEND
	v_cvt_i32_f32_e32 v24, v0
	v_cvt_i32_f32_sdwa v25, v1 dst_sel:BYTE_1 dst_unused:UNUSED_PAD src0_sel:DWORD
	;;#ASMSTART
	v_pk_mul_f32 v[0:1], v[4:5], v[22:23]
	;;#ASMEND
	v_cvt_i32_f32_e32 v4, v0
	v_cvt_i32_f32_sdwa v5, v1 dst_sel:BYTE_1 dst_unused:UNUSED_PAD src0_sel:DWORD
	;; [unrolled: 5-line block ×8, first 2 shown]
	v_or_b32_sdwa v4, v4, v5 dst_sel:WORD_1 dst_unused:UNUSED_PAD src0_sel:BYTE_0 src1_sel:DWORD
	v_or_b32_sdwa v5, v6, v7 dst_sel:DWORD dst_unused:UNUSED_PAD src0_sel:BYTE_0 src1_sel:DWORD
	v_or_b32_sdwa v6, v10, v11 dst_sel:WORD_1 dst_unused:UNUSED_PAD src0_sel:BYTE_0 src1_sel:DWORD
	v_or_b32_sdwa v5, v5, v6 dst_sel:DWORD dst_unused:UNUSED_PAD src0_sel:WORD_0 src1_sel:DWORD
	v_or_b32_sdwa v6, v12, v13 dst_sel:DWORD dst_unused:UNUSED_PAD src0_sel:BYTE_0 src1_sel:DWORD
	v_or_b32_sdwa v7, v14, v15 dst_sel:WORD_1 dst_unused:UNUSED_PAD src0_sel:BYTE_0 src1_sel:DWORD
	s_addc_u32 s8, s17, s9
	v_or_b32_sdwa v20, v24, v25 dst_sel:DWORD dst_unused:UNUSED_PAD src0_sel:BYTE_0 src1_sel:DWORD
	v_or_b32_sdwa v6, v6, v7 dst_sel:DWORD dst_unused:UNUSED_PAD src0_sel:WORD_0 src1_sel:DWORD
	v_or_b32_sdwa v7, v18, v19 dst_sel:DWORD dst_unused:UNUSED_PAD src0_sel:BYTE_0 src1_sel:DWORD
	v_or_b32_sdwa v0, v0, v1 dst_sel:WORD_1 dst_unused:UNUSED_PAD src0_sel:BYTE_0 src1_sel:DWORD
	s_and_b32 s29, s8, 0xffff
	s_mov_b32 s31, s7
	v_or_b32_sdwa v4, v20, v4 dst_sel:DWORD dst_unused:UNUSED_PAD src0_sel:WORD_0 src1_sel:DWORD
	v_or_b32_sdwa v7, v7, v0 dst_sel:DWORD dst_unused:UNUSED_PAD src0_sel:WORD_0 src1_sel:DWORD
	buffer_store_dwordx4 v[4:7], v76, s[28:31], 0 offen
	;;#ASMSTART
	s_nop 0
	;;#ASMEND
	s_branch .LBB133_9
.LBB133_18:
	s_endpgm
.LBB133_19:
                                        ; implicit-def: $sgpr2
	s_branch .LBB133_2
	.section	.rodata,"a",@progbits
	.p2align	6, 0x0
	.amdhsa_kernel _ZN5aiter36smooth_per_token_scaled_quant_kernelItaLi512ELi16ELb0ELb0ELb0ELi1024EEEvPT0_PfPT_S3_PiS6_iiPKiiiiiiiii
		.amdhsa_group_segment_fixed_size 32
		.amdhsa_private_segment_fixed_size 0
		.amdhsa_kernarg_size 96
		.amdhsa_user_sgpr_count 6
		.amdhsa_user_sgpr_private_segment_buffer 1
		.amdhsa_user_sgpr_dispatch_ptr 0
		.amdhsa_user_sgpr_queue_ptr 0
		.amdhsa_user_sgpr_kernarg_segment_ptr 1
		.amdhsa_user_sgpr_dispatch_id 0
		.amdhsa_user_sgpr_flat_scratch_init 0
		.amdhsa_user_sgpr_kernarg_preload_length 0
		.amdhsa_user_sgpr_kernarg_preload_offset 0
		.amdhsa_user_sgpr_private_segment_size 0
		.amdhsa_uses_dynamic_stack 0
		.amdhsa_system_sgpr_private_segment_wavefront_offset 0
		.amdhsa_system_sgpr_workgroup_id_x 1
		.amdhsa_system_sgpr_workgroup_id_y 0
		.amdhsa_system_sgpr_workgroup_id_z 0
		.amdhsa_system_sgpr_workgroup_info 0
		.amdhsa_system_vgpr_workitem_id 0
		.amdhsa_next_free_vgpr 78
		.amdhsa_next_free_sgpr 39
		.amdhsa_accum_offset 80
		.amdhsa_reserve_vcc 1
		.amdhsa_reserve_flat_scratch 0
		.amdhsa_float_round_mode_32 0
		.amdhsa_float_round_mode_16_64 0
		.amdhsa_float_denorm_mode_32 3
		.amdhsa_float_denorm_mode_16_64 3
		.amdhsa_dx10_clamp 1
		.amdhsa_ieee_mode 1
		.amdhsa_fp16_overflow 0
		.amdhsa_tg_split 0
		.amdhsa_exception_fp_ieee_invalid_op 0
		.amdhsa_exception_fp_denorm_src 0
		.amdhsa_exception_fp_ieee_div_zero 0
		.amdhsa_exception_fp_ieee_overflow 0
		.amdhsa_exception_fp_ieee_underflow 0
		.amdhsa_exception_fp_ieee_inexact 0
		.amdhsa_exception_int_div_zero 0
	.end_amdhsa_kernel
	.section	.text._ZN5aiter36smooth_per_token_scaled_quant_kernelItaLi512ELi16ELb0ELb0ELb0ELi1024EEEvPT0_PfPT_S3_PiS6_iiPKiiiiiiiii,"axG",@progbits,_ZN5aiter36smooth_per_token_scaled_quant_kernelItaLi512ELi16ELb0ELb0ELb0ELi1024EEEvPT0_PfPT_S3_PiS6_iiPKiiiiiiiii,comdat
.Lfunc_end133:
	.size	_ZN5aiter36smooth_per_token_scaled_quant_kernelItaLi512ELi16ELb0ELb0ELb0ELi1024EEEvPT0_PfPT_S3_PiS6_iiPKiiiiiiiii, .Lfunc_end133-_ZN5aiter36smooth_per_token_scaled_quant_kernelItaLi512ELi16ELb0ELb0ELb0ELi1024EEEvPT0_PfPT_S3_PiS6_iiPKiiiiiiiii
                                        ; -- End function
	.section	.AMDGPU.csdata,"",@progbits
; Kernel info:
; codeLenInByte = 1616
; NumSgprs: 43
; NumVgprs: 78
; NumAgprs: 0
; TotalNumVgprs: 78
; ScratchSize: 0
; MemoryBound: 0
; FloatMode: 240
; IeeeMode: 1
; LDSByteSize: 32 bytes/workgroup (compile time only)
; SGPRBlocks: 5
; VGPRBlocks: 9
; NumSGPRsForWavesPerEU: 43
; NumVGPRsForWavesPerEU: 78
; AccumOffset: 80
; Occupancy: 6
; WaveLimiterHint : 0
; COMPUTE_PGM_RSRC2:SCRATCH_EN: 0
; COMPUTE_PGM_RSRC2:USER_SGPR: 6
; COMPUTE_PGM_RSRC2:TRAP_HANDLER: 0
; COMPUTE_PGM_RSRC2:TGID_X_EN: 1
; COMPUTE_PGM_RSRC2:TGID_Y_EN: 0
; COMPUTE_PGM_RSRC2:TGID_Z_EN: 0
; COMPUTE_PGM_RSRC2:TIDIG_COMP_CNT: 0
; COMPUTE_PGM_RSRC3_GFX90A:ACCUM_OFFSET: 19
; COMPUTE_PGM_RSRC3_GFX90A:TG_SPLIT: 0
	.section	.text._ZN5aiter24partial_transpose_kernelIfLi256ELi4ELi10000EEEvPT_S2_PKii,"axG",@progbits,_ZN5aiter24partial_transpose_kernelIfLi256ELi4ELi10000EEEvPT_S2_PKii,comdat
	.protected	_ZN5aiter24partial_transpose_kernelIfLi256ELi4ELi10000EEEvPT_S2_PKii ; -- Begin function _ZN5aiter24partial_transpose_kernelIfLi256ELi4ELi10000EEEvPT_S2_PKii
	.globl	_ZN5aiter24partial_transpose_kernelIfLi256ELi4ELi10000EEEvPT_S2_PKii
	.p2align	8
	.type	_ZN5aiter24partial_transpose_kernelIfLi256ELi4ELi10000EEEvPT_S2_PKii,@function
_ZN5aiter24partial_transpose_kernelIfLi256ELi4ELi10000EEEvPT_S2_PKii: ; @_ZN5aiter24partial_transpose_kernelIfLi256ELi4ELi10000EEEvPT_S2_PKii
; %bb.0:
	s_load_dwordx2 s[0:1], s[4:5], 0x10
	s_load_dword s28, s[4:5], 0x18
	s_load_dwordx4 s[8:11], s[4:5], 0x0
	s_mov_b32 s15, 0x20000
	s_lshl_b32 s34, s6, 8
	s_waitcnt lgkmcnt(0)
	s_load_dword s2, s[0:1], 0x0
	s_load_dword s7, s[4:5], 0x20
	s_add_i32 s0, s28, 3
	s_ashr_i32 s1, s0, 31
	s_lshr_b32 s1, s1, 30
	s_add_i32 s0, s0, s1
	s_ashr_i32 s29, s0, 2
	v_cvt_f32_u32_e32 v1, s29
	s_waitcnt lgkmcnt(0)
	s_mul_i32 s0, s28, s2
	s_and_b32 s11, s11, 0xffff
	s_lshl_b32 s14, s0, 2
	v_rcp_iflag_f32_e32 v1, v1
	s_mov_b64 s[12:13], s[10:11]
	s_ashr_i32 s30, s29, 31
	s_lshl_b32 s4, s2, 1
	v_mul_f32_e32 v1, 0x4f7ffffe, v1
	v_cvt_u32_f32_e32 v1, v1
	s_mul_i32 s10, s2, 3
	s_add_i32 s0, s6, s7
	s_ashr_i32 s3, s2, 31
	s_ashr_i32 s5, s4, 31
	;; [unrolled: 1-line block ×3, first 2 shown]
	s_lshl_b32 s31, s0, 8
	s_lshl_b32 s33, s7, 9
	s_movk_i32 s35, 0x2710
	s_mov_b64 s[6:7], 0
	v_mov_b32_e32 v7, 0
	s_mov_b32 s16, 0
	s_mov_b32 s18, 0
	s_mov_b32 s19, s30
	s_branch .LBB134_4
.LBB134_1:                              ;   in Loop: Header=BB134_4 Depth=1
	s_or_b64 exec, exec, s[22:23]
	s_add_i32 s35, s35, -2
	s_cmp_eq_u32 s35, 0
	s_cselect_b64 s[22:23], -1, 0
	v_add_u32_e32 v0, s33, v0
	s_orn2_b64 s[22:23], s[22:23], exec
.LBB134_2:                              ;   in Loop: Header=BB134_4 Depth=1
	s_or_b64 exec, exec, s[0:1]
	s_orn2_b64 s[0:1], s[22:23], exec
.LBB134_3:                              ;   in Loop: Header=BB134_4 Depth=1
	s_or_b64 exec, exec, s[20:21]
	s_and_b64 s[0:1], exec, s[0:1]
	s_or_b64 s[6:7], s[0:1], s[6:7]
	s_andn2_b64 exec, exec, s[6:7]
	s_cbranch_execz .LBB134_30
.LBB134_4:                              ; =>This Inner Loop Header: Depth=1
	s_cmp_lg_u64 s[18:19], 0
	v_add_u32_e32 v2, s34, v0
	s_cselect_b64 s[0:1], -1, 0
                                        ; implicit-def: $vgpr8_vgpr9
	s_and_saveexec_b64 s[20:21], s[0:1]
	s_xor_b64 s[20:21], exec, s[20:21]
	s_cbranch_execz .LBB134_6
; %bb.5:                                ;   in Loop: Header=BB134_4 Depth=1
	s_add_u32 s0, s29, s30
	s_mov_b32 s22, s30
	s_mov_b32 s23, s30
	s_addc_u32 s1, s30, s30
	s_xor_b64 s[24:25], s[0:1], s[22:23]
	v_cvt_f32_u32_e32 v3, s24
	v_cvt_f32_u32_e32 v4, s25
	s_sub_u32 s0, 0, s24
	s_subb_u32 s1, 0, s25
	v_mac_f32_e32 v3, 0x4f800000, v4
	v_rcp_f32_e32 v3, v3
	v_mul_f32_e32 v3, 0x5f7ffffc, v3
	v_mul_f32_e32 v4, 0x2f800000, v3
	v_trunc_f32_e32 v4, v4
	v_mac_f32_e32 v3, 0xcf800000, v4
	v_cvt_u32_f32_e32 v4, v4
	v_cvt_u32_f32_e32 v3, v3
	v_mul_lo_u32 v5, s0, v4
	v_mul_hi_u32 v8, s0, v3
	v_mul_lo_u32 v6, s1, v3
	v_add_u32_e32 v5, v8, v5
	v_mul_lo_u32 v9, s0, v3
	v_add_u32_e32 v5, v5, v6
	v_mul_lo_u32 v8, v3, v5
	v_mul_hi_u32 v10, v3, v9
	v_mul_hi_u32 v6, v3, v5
	v_add_co_u32_e32 v8, vcc, v10, v8
	v_addc_co_u32_e32 v6, vcc, 0, v6, vcc
	v_mul_hi_u32 v11, v4, v9
	v_mul_lo_u32 v9, v4, v9
	v_add_co_u32_e32 v8, vcc, v8, v9
	v_mul_hi_u32 v10, v4, v5
	v_addc_co_u32_e32 v6, vcc, v6, v11, vcc
	v_addc_co_u32_e32 v8, vcc, 0, v10, vcc
	v_mul_lo_u32 v5, v4, v5
	v_add_co_u32_e32 v5, vcc, v6, v5
	v_addc_co_u32_e32 v6, vcc, 0, v8, vcc
	v_add_co_u32_e32 v3, vcc, v3, v5
	v_addc_co_u32_e32 v4, vcc, v4, v6, vcc
	v_mul_lo_u32 v5, s0, v4
	v_mul_hi_u32 v6, s0, v3
	v_add_u32_e32 v5, v6, v5
	v_mul_lo_u32 v6, s1, v3
	v_add_u32_e32 v5, v5, v6
	v_mul_lo_u32 v8, s0, v3
	v_mul_hi_u32 v9, v4, v8
	v_mul_lo_u32 v10, v4, v8
	v_mul_lo_u32 v12, v3, v5
	v_mul_hi_u32 v8, v3, v8
	v_mul_hi_u32 v11, v3, v5
	v_add_co_u32_e32 v8, vcc, v8, v12
	v_addc_co_u32_e32 v11, vcc, 0, v11, vcc
	v_add_co_u32_e32 v8, vcc, v8, v10
	v_mul_hi_u32 v6, v4, v5
	v_addc_co_u32_e32 v8, vcc, v11, v9, vcc
	v_addc_co_u32_e32 v6, vcc, 0, v6, vcc
	v_mul_lo_u32 v5, v4, v5
	v_add_co_u32_e32 v5, vcc, v8, v5
	v_addc_co_u32_e32 v6, vcc, 0, v6, vcc
	v_add_co_u32_e32 v3, vcc, v3, v5
	v_addc_co_u32_e32 v6, vcc, v4, v6, vcc
	v_mad_u64_u32 v[4:5], s[0:1], v2, v6, 0
	v_mul_hi_u32 v8, v2, v3
	v_add_co_u32_e32 v10, vcc, v8, v4
	v_addc_co_u32_e32 v11, vcc, 0, v5, vcc
	v_mad_u64_u32 v[8:9], s[0:1], 0, v3, 0
	v_add_co_u32_e32 v3, vcc, v10, v8
	v_mad_u64_u32 v[4:5], s[0:1], 0, v6, 0
	v_addc_co_u32_e32 v3, vcc, v11, v9, vcc
	v_addc_co_u32_e32 v5, vcc, 0, v5, vcc
	v_add_co_u32_e32 v3, vcc, v3, v4
	v_addc_co_u32_e32 v6, vcc, 0, v5, vcc
	v_mul_lo_u32 v8, s25, v3
	v_mul_lo_u32 v9, s24, v6
	v_mad_u64_u32 v[4:5], s[0:1], s24, v3, 0
	v_add3_u32 v5, v5, v9, v8
	v_sub_u32_e32 v8, 0, v5
	v_mov_b32_e32 v9, s25
	v_sub_co_u32_e32 v4, vcc, v2, v4
	v_subb_co_u32_e64 v8, s[0:1], v8, v9, vcc
	v_subrev_co_u32_e64 v9, s[0:1], s24, v4
	v_subbrev_co_u32_e64 v8, s[0:1], 0, v8, s[0:1]
	v_cmp_le_u32_e64 s[0:1], s25, v8
	v_cndmask_b32_e64 v10, 0, -1, s[0:1]
	v_cmp_le_u32_e64 s[0:1], s24, v9
	v_cndmask_b32_e64 v9, 0, -1, s[0:1]
	v_cmp_eq_u32_e64 s[0:1], s25, v8
	v_cndmask_b32_e64 v8, v10, v9, s[0:1]
	v_add_co_u32_e64 v9, s[0:1], 2, v3
	v_addc_co_u32_e64 v10, s[0:1], 0, v6, s[0:1]
	v_add_co_u32_e64 v11, s[0:1], 1, v3
	v_addc_co_u32_e64 v12, s[0:1], 0, v6, s[0:1]
	v_subb_co_u32_e32 v5, vcc, 0, v5, vcc
	v_cmp_ne_u32_e64 s[0:1], 0, v8
	v_cmp_le_u32_e32 vcc, s25, v5
	v_cndmask_b32_e64 v8, v12, v10, s[0:1]
	v_cndmask_b32_e64 v10, 0, -1, vcc
	v_cmp_le_u32_e32 vcc, s24, v4
	v_cndmask_b32_e64 v4, 0, -1, vcc
	v_cmp_eq_u32_e32 vcc, s25, v5
	v_cndmask_b32_e32 v4, v10, v4, vcc
	v_cmp_ne_u32_e32 vcc, 0, v4
	v_cndmask_b32_e64 v5, v11, v9, s[0:1]
	v_cndmask_b32_e32 v3, v3, v5, vcc
	v_cndmask_b32_e32 v4, v6, v8, vcc
	v_xor_b32_e32 v3, s22, v3
	v_xor_b32_e32 v4, s23, v4
	v_mov_b32_e32 v5, s30
	v_subrev_co_u32_e32 v8, vcc, s22, v3
	v_subb_co_u32_e32 v9, vcc, v4, v5, vcc
.LBB134_6:                              ;   in Loop: Header=BB134_4 Depth=1
	s_andn2_saveexec_b64 s[0:1], s[20:21]
	s_cbranch_execz .LBB134_8
; %bb.7:                                ;   in Loop: Header=BB134_4 Depth=1
	s_sub_i32 s17, 0, s29
	v_mul_lo_u32 v3, s17, v1
	v_mul_hi_u32 v3, v1, v3
	v_add_u32_e32 v3, v1, v3
	v_mul_hi_u32 v3, v2, v3
	v_mul_lo_u32 v4, v3, s29
	v_sub_u32_e32 v4, v2, v4
	v_subrev_u32_e32 v5, s29, v4
	v_cmp_le_u32_e32 vcc, s29, v4
	v_cndmask_b32_e32 v4, v4, v5, vcc
	v_add_u32_e32 v5, 1, v3
	v_cndmask_b32_e32 v3, v3, v5, vcc
	v_add_u32_e32 v5, 1, v3
	v_cmp_le_u32_e32 vcc, s29, v4
	v_cndmask_b32_e32 v6, v3, v5, vcc
	v_pk_mov_b32 v[8:9], v[6:7], v[6:7] op_sel:[0,1]
.LBB134_8:                              ;   in Loop: Header=BB134_4 Depth=1
	s_or_b64 exec, exec, s[0:1]
	v_cmp_gt_i64_e32 vcc, s[2:3], v[8:9]
	s_mov_b64 s[0:1], -1
	s_and_saveexec_b64 s[20:21], vcc
	s_cbranch_execz .LBB134_3
; %bb.9:                                ;   in Loop: Header=BB134_4 Depth=1
	v_mul_lo_u32 v3, v8, s29
	v_sub_u32_e32 v2, v2, v3
	v_lshlrev_b32_e32 v6, 2, v2
	v_mul_lo_u32 v2, v8, s28
	v_add_lshl_u32 v2, v2, v6, 2
	buffer_load_dwordx4 v[2:5], v2, s[12:15], 0 offen
	v_mul_lo_u32 v10, v6, s2
	v_lshlrev_b64 v[8:9], 2, v[8:9]
	v_ashrrev_i32_e32 v11, 31, v10
	v_mov_b32_e32 v12, s9
	v_add_co_u32_e32 v13, vcc, s8, v8
	v_addc_co_u32_e32 v12, vcc, v12, v9, vcc
	v_lshlrev_b64 v[8:9], 2, v[10:11]
	v_add_co_u32_e32 v8, vcc, v13, v8
	v_addc_co_u32_e32 v9, vcc, v12, v9, vcc
	v_cmp_gt_i32_e32 vcc, s28, v6
	s_and_saveexec_b64 s[0:1], vcc
	s_cbranch_execz .LBB134_11
; %bb.10:                               ;   in Loop: Header=BB134_4 Depth=1
	s_waitcnt vmcnt(0)
	global_store_dword v[8:9], v2, off
.LBB134_11:                             ;   in Loop: Header=BB134_4 Depth=1
	s_or_b64 exec, exec, s[0:1]
	s_waitcnt vmcnt(0)
	v_or_b32_e32 v2, 1, v6
	v_cmp_gt_i32_e32 vcc, s28, v2
	s_and_saveexec_b64 s[0:1], vcc
	s_cbranch_execz .LBB134_13
; %bb.12:                               ;   in Loop: Header=BB134_4 Depth=1
	s_lshl_b64 s[22:23], s[2:3], 2
	v_mov_b32_e32 v2, s23
	v_add_co_u32_e32 v10, vcc, s22, v8
	v_addc_co_u32_e32 v11, vcc, v9, v2, vcc
	global_store_dword v[10:11], v3, off
.LBB134_13:                             ;   in Loop: Header=BB134_4 Depth=1
	s_or_b64 exec, exec, s[0:1]
	v_or_b32_e32 v2, 2, v6
	v_cmp_gt_i32_e32 vcc, s28, v2
	s_and_saveexec_b64 s[0:1], vcc
	s_cbranch_execz .LBB134_15
; %bb.14:                               ;   in Loop: Header=BB134_4 Depth=1
	s_lshl_b64 s[22:23], s[4:5], 2
	v_mov_b32_e32 v3, s23
	v_add_co_u32_e32 v2, vcc, s22, v8
	v_addc_co_u32_e32 v3, vcc, v9, v3, vcc
	global_store_dword v[2:3], v4, off
.LBB134_15:                             ;   in Loop: Header=BB134_4 Depth=1
	s_or_b64 exec, exec, s[0:1]
	;; [unrolled: 12-line block ×3, first 2 shown]
	s_mov_b32 s17, s30
	s_cmp_lg_u64 s[16:17], 0
	v_add_u32_e32 v2, s31, v0
	s_cselect_b64 s[0:1], -1, 0
                                        ; implicit-def: $vgpr8_vgpr9
	s_and_saveexec_b64 s[22:23], s[0:1]
	s_xor_b64 s[22:23], exec, s[22:23]
	s_cbranch_execz .LBB134_19
; %bb.18:                               ;   in Loop: Header=BB134_4 Depth=1
	s_add_u32 s0, s29, s30
	s_mov_b32 s24, s30
	s_mov_b32 s25, s30
	s_addc_u32 s1, s30, s30
	s_xor_b64 s[26:27], s[0:1], s[24:25]
	v_cvt_f32_u32_e32 v3, s26
	v_cvt_f32_u32_e32 v4, s27
	s_sub_u32 s0, 0, s26
	s_subb_u32 s1, 0, s27
	v_mac_f32_e32 v3, 0x4f800000, v4
	v_rcp_f32_e32 v3, v3
	v_mul_f32_e32 v3, 0x5f7ffffc, v3
	v_mul_f32_e32 v4, 0x2f800000, v3
	v_trunc_f32_e32 v4, v4
	v_mac_f32_e32 v3, 0xcf800000, v4
	v_cvt_u32_f32_e32 v4, v4
	v_cvt_u32_f32_e32 v3, v3
	v_mul_lo_u32 v5, s0, v4
	v_mul_hi_u32 v8, s0, v3
	v_mul_lo_u32 v6, s1, v3
	v_add_u32_e32 v5, v8, v5
	v_mul_lo_u32 v9, s0, v3
	v_add_u32_e32 v5, v5, v6
	v_mul_lo_u32 v8, v3, v5
	v_mul_hi_u32 v10, v3, v9
	v_mul_hi_u32 v6, v3, v5
	v_add_co_u32_e32 v8, vcc, v10, v8
	v_addc_co_u32_e32 v6, vcc, 0, v6, vcc
	v_mul_hi_u32 v11, v4, v9
	v_mul_lo_u32 v9, v4, v9
	v_add_co_u32_e32 v8, vcc, v8, v9
	v_mul_hi_u32 v10, v4, v5
	v_addc_co_u32_e32 v6, vcc, v6, v11, vcc
	v_addc_co_u32_e32 v8, vcc, 0, v10, vcc
	v_mul_lo_u32 v5, v4, v5
	v_add_co_u32_e32 v5, vcc, v6, v5
	v_addc_co_u32_e32 v6, vcc, 0, v8, vcc
	v_add_co_u32_e32 v3, vcc, v3, v5
	v_addc_co_u32_e32 v4, vcc, v4, v6, vcc
	v_mul_lo_u32 v5, s0, v4
	v_mul_hi_u32 v6, s0, v3
	v_add_u32_e32 v5, v6, v5
	v_mul_lo_u32 v6, s1, v3
	v_add_u32_e32 v5, v5, v6
	v_mul_lo_u32 v8, s0, v3
	v_mul_hi_u32 v9, v4, v8
	v_mul_lo_u32 v10, v4, v8
	v_mul_lo_u32 v12, v3, v5
	v_mul_hi_u32 v8, v3, v8
	v_mul_hi_u32 v11, v3, v5
	v_add_co_u32_e32 v8, vcc, v8, v12
	v_addc_co_u32_e32 v11, vcc, 0, v11, vcc
	v_add_co_u32_e32 v8, vcc, v8, v10
	v_mul_hi_u32 v6, v4, v5
	v_addc_co_u32_e32 v8, vcc, v11, v9, vcc
	v_addc_co_u32_e32 v6, vcc, 0, v6, vcc
	v_mul_lo_u32 v5, v4, v5
	v_add_co_u32_e32 v5, vcc, v8, v5
	v_addc_co_u32_e32 v6, vcc, 0, v6, vcc
	v_add_co_u32_e32 v3, vcc, v3, v5
	v_addc_co_u32_e32 v6, vcc, v4, v6, vcc
	v_mad_u64_u32 v[4:5], s[0:1], v2, v6, 0
	v_mul_hi_u32 v8, v2, v3
	v_add_co_u32_e32 v10, vcc, v8, v4
	v_addc_co_u32_e32 v11, vcc, 0, v5, vcc
	v_mad_u64_u32 v[8:9], s[0:1], 0, v3, 0
	v_add_co_u32_e32 v3, vcc, v10, v8
	v_mad_u64_u32 v[4:5], s[0:1], 0, v6, 0
	v_addc_co_u32_e32 v3, vcc, v11, v9, vcc
	v_addc_co_u32_e32 v5, vcc, 0, v5, vcc
	v_add_co_u32_e32 v3, vcc, v3, v4
	v_addc_co_u32_e32 v6, vcc, 0, v5, vcc
	v_mul_lo_u32 v8, s27, v3
	v_mul_lo_u32 v9, s26, v6
	v_mad_u64_u32 v[4:5], s[0:1], s26, v3, 0
	v_add3_u32 v5, v5, v9, v8
	v_sub_u32_e32 v8, 0, v5
	v_mov_b32_e32 v9, s27
	v_sub_co_u32_e32 v4, vcc, v2, v4
	v_subb_co_u32_e64 v8, s[0:1], v8, v9, vcc
	v_subrev_co_u32_e64 v9, s[0:1], s26, v4
	v_subbrev_co_u32_e64 v8, s[0:1], 0, v8, s[0:1]
	v_cmp_le_u32_e64 s[0:1], s27, v8
	v_cndmask_b32_e64 v10, 0, -1, s[0:1]
	v_cmp_le_u32_e64 s[0:1], s26, v9
	v_cndmask_b32_e64 v9, 0, -1, s[0:1]
	v_cmp_eq_u32_e64 s[0:1], s27, v8
	v_cndmask_b32_e64 v8, v10, v9, s[0:1]
	v_add_co_u32_e64 v9, s[0:1], 2, v3
	v_addc_co_u32_e64 v10, s[0:1], 0, v6, s[0:1]
	v_add_co_u32_e64 v11, s[0:1], 1, v3
	v_addc_co_u32_e64 v12, s[0:1], 0, v6, s[0:1]
	v_subb_co_u32_e32 v5, vcc, 0, v5, vcc
	v_cmp_ne_u32_e64 s[0:1], 0, v8
	v_cmp_le_u32_e32 vcc, s27, v5
	v_cndmask_b32_e64 v8, v12, v10, s[0:1]
	v_cndmask_b32_e64 v10, 0, -1, vcc
	v_cmp_le_u32_e32 vcc, s26, v4
	v_cndmask_b32_e64 v4, 0, -1, vcc
	v_cmp_eq_u32_e32 vcc, s27, v5
	v_cndmask_b32_e32 v4, v10, v4, vcc
	v_cmp_ne_u32_e32 vcc, 0, v4
	v_cndmask_b32_e64 v5, v11, v9, s[0:1]
	v_cndmask_b32_e32 v3, v3, v5, vcc
	v_cndmask_b32_e32 v4, v6, v8, vcc
	v_xor_b32_e32 v3, s24, v3
	v_xor_b32_e32 v4, s25, v4
	v_mov_b32_e32 v5, s30
	v_subrev_co_u32_e32 v8, vcc, s24, v3
	v_subb_co_u32_e32 v9, vcc, v4, v5, vcc
.LBB134_19:                             ;   in Loop: Header=BB134_4 Depth=1
	s_andn2_saveexec_b64 s[0:1], s[22:23]
	s_cbranch_execz .LBB134_21
; %bb.20:                               ;   in Loop: Header=BB134_4 Depth=1
	s_sub_i32 s17, 0, s29
	v_mul_lo_u32 v3, s17, v1
	v_mul_hi_u32 v3, v1, v3
	v_add_u32_e32 v3, v1, v3
	v_mul_hi_u32 v3, v2, v3
	v_mul_lo_u32 v4, v3, s29
	v_sub_u32_e32 v4, v2, v4
	v_subrev_u32_e32 v5, s29, v4
	v_cmp_le_u32_e32 vcc, s29, v4
	v_cndmask_b32_e32 v4, v4, v5, vcc
	v_add_u32_e32 v5, 1, v3
	v_cndmask_b32_e32 v3, v3, v5, vcc
	v_add_u32_e32 v5, 1, v3
	v_cmp_le_u32_e32 vcc, s29, v4
	v_cndmask_b32_e32 v6, v3, v5, vcc
	v_pk_mov_b32 v[8:9], v[6:7], v[6:7] op_sel:[0,1]
.LBB134_21:                             ;   in Loop: Header=BB134_4 Depth=1
	s_or_b64 exec, exec, s[0:1]
	v_cmp_gt_i64_e32 vcc, s[2:3], v[8:9]
	s_mov_b64 s[22:23], -1
	s_and_saveexec_b64 s[0:1], vcc
	s_cbranch_execz .LBB134_2
; %bb.22:                               ;   in Loop: Header=BB134_4 Depth=1
	v_mul_lo_u32 v3, v8, s29
	v_sub_u32_e32 v2, v2, v3
	v_lshlrev_b32_e32 v6, 2, v2
	v_mul_lo_u32 v2, v8, s28
	v_add_lshl_u32 v2, v2, v6, 2
	buffer_load_dwordx4 v[2:5], v2, s[12:15], 0 offen
	v_mul_lo_u32 v10, v6, s2
	v_lshlrev_b64 v[8:9], 2, v[8:9]
	v_ashrrev_i32_e32 v11, 31, v10
	v_mov_b32_e32 v12, s9
	v_add_co_u32_e32 v13, vcc, s8, v8
	v_addc_co_u32_e32 v12, vcc, v12, v9, vcc
	v_lshlrev_b64 v[8:9], 2, v[10:11]
	v_add_co_u32_e32 v8, vcc, v13, v8
	v_addc_co_u32_e32 v9, vcc, v12, v9, vcc
	v_cmp_gt_i32_e32 vcc, s28, v6
	s_and_saveexec_b64 s[22:23], vcc
	s_cbranch_execz .LBB134_24
; %bb.23:                               ;   in Loop: Header=BB134_4 Depth=1
	s_waitcnt vmcnt(0)
	global_store_dword v[8:9], v2, off
.LBB134_24:                             ;   in Loop: Header=BB134_4 Depth=1
	s_or_b64 exec, exec, s[22:23]
	s_waitcnt vmcnt(0)
	v_or_b32_e32 v2, 1, v6
	v_cmp_gt_i32_e32 vcc, s28, v2
	s_and_saveexec_b64 s[22:23], vcc
	s_cbranch_execz .LBB134_26
; %bb.25:                               ;   in Loop: Header=BB134_4 Depth=1
	s_lshl_b64 s[24:25], s[2:3], 2
	v_mov_b32_e32 v2, s25
	v_add_co_u32_e32 v10, vcc, s24, v8
	v_addc_co_u32_e32 v11, vcc, v9, v2, vcc
	global_store_dword v[10:11], v3, off
.LBB134_26:                             ;   in Loop: Header=BB134_4 Depth=1
	s_or_b64 exec, exec, s[22:23]
	v_or_b32_e32 v2, 2, v6
	v_cmp_gt_i32_e32 vcc, s28, v2
	s_and_saveexec_b64 s[22:23], vcc
	s_cbranch_execz .LBB134_28
; %bb.27:                               ;   in Loop: Header=BB134_4 Depth=1
	s_lshl_b64 s[24:25], s[4:5], 2
	v_mov_b32_e32 v3, s25
	v_add_co_u32_e32 v2, vcc, s24, v8
	v_addc_co_u32_e32 v3, vcc, v9, v3, vcc
	global_store_dword v[2:3], v4, off
.LBB134_28:                             ;   in Loop: Header=BB134_4 Depth=1
	s_or_b64 exec, exec, s[22:23]
	v_or_b32_e32 v2, 3, v6
	v_cmp_gt_i32_e32 vcc, s28, v2
	s_and_saveexec_b64 s[22:23], vcc
	s_cbranch_execz .LBB134_1
; %bb.29:                               ;   in Loop: Header=BB134_4 Depth=1
	s_lshl_b64 s[24:25], s[10:11], 2
	v_mov_b32_e32 v3, s25
	v_add_co_u32_e32 v2, vcc, s24, v8
	v_addc_co_u32_e32 v3, vcc, v9, v3, vcc
	global_store_dword v[2:3], v5, off
	s_branch .LBB134_1
.LBB134_30:
	s_endpgm
	.section	.rodata,"a",@progbits
	.p2align	6, 0x0
	.amdhsa_kernel _ZN5aiter24partial_transpose_kernelIfLi256ELi4ELi10000EEEvPT_S2_PKii
		.amdhsa_group_segment_fixed_size 0
		.amdhsa_private_segment_fixed_size 0
		.amdhsa_kernarg_size 288
		.amdhsa_user_sgpr_count 6
		.amdhsa_user_sgpr_private_segment_buffer 1
		.amdhsa_user_sgpr_dispatch_ptr 0
		.amdhsa_user_sgpr_queue_ptr 0
		.amdhsa_user_sgpr_kernarg_segment_ptr 1
		.amdhsa_user_sgpr_dispatch_id 0
		.amdhsa_user_sgpr_flat_scratch_init 0
		.amdhsa_user_sgpr_kernarg_preload_length 0
		.amdhsa_user_sgpr_kernarg_preload_offset 0
		.amdhsa_user_sgpr_private_segment_size 0
		.amdhsa_uses_dynamic_stack 0
		.amdhsa_system_sgpr_private_segment_wavefront_offset 0
		.amdhsa_system_sgpr_workgroup_id_x 1
		.amdhsa_system_sgpr_workgroup_id_y 0
		.amdhsa_system_sgpr_workgroup_id_z 0
		.amdhsa_system_sgpr_workgroup_info 0
		.amdhsa_system_vgpr_workitem_id 0
		.amdhsa_next_free_vgpr 14
		.amdhsa_next_free_sgpr 36
		.amdhsa_accum_offset 16
		.amdhsa_reserve_vcc 1
		.amdhsa_reserve_flat_scratch 0
		.amdhsa_float_round_mode_32 0
		.amdhsa_float_round_mode_16_64 0
		.amdhsa_float_denorm_mode_32 3
		.amdhsa_float_denorm_mode_16_64 3
		.amdhsa_dx10_clamp 1
		.amdhsa_ieee_mode 1
		.amdhsa_fp16_overflow 0
		.amdhsa_tg_split 0
		.amdhsa_exception_fp_ieee_invalid_op 0
		.amdhsa_exception_fp_denorm_src 0
		.amdhsa_exception_fp_ieee_div_zero 0
		.amdhsa_exception_fp_ieee_overflow 0
		.amdhsa_exception_fp_ieee_underflow 0
		.amdhsa_exception_fp_ieee_inexact 0
		.amdhsa_exception_int_div_zero 0
	.end_amdhsa_kernel
	.section	.text._ZN5aiter24partial_transpose_kernelIfLi256ELi4ELi10000EEEvPT_S2_PKii,"axG",@progbits,_ZN5aiter24partial_transpose_kernelIfLi256ELi4ELi10000EEEvPT_S2_PKii,comdat
.Lfunc_end134:
	.size	_ZN5aiter24partial_transpose_kernelIfLi256ELi4ELi10000EEEvPT_S2_PKii, .Lfunc_end134-_ZN5aiter24partial_transpose_kernelIfLi256ELi4ELi10000EEEvPT_S2_PKii
                                        ; -- End function
	.section	.AMDGPU.csdata,"",@progbits
; Kernel info:
; codeLenInByte = 2316
; NumSgprs: 40
; NumVgprs: 14
; NumAgprs: 0
; TotalNumVgprs: 14
; ScratchSize: 0
; MemoryBound: 0
; FloatMode: 240
; IeeeMode: 1
; LDSByteSize: 0 bytes/workgroup (compile time only)
; SGPRBlocks: 4
; VGPRBlocks: 1
; NumSGPRsForWavesPerEU: 40
; NumVGPRsForWavesPerEU: 14
; AccumOffset: 16
; Occupancy: 8
; WaveLimiterHint : 1
; COMPUTE_PGM_RSRC2:SCRATCH_EN: 0
; COMPUTE_PGM_RSRC2:USER_SGPR: 6
; COMPUTE_PGM_RSRC2:TRAP_HANDLER: 0
; COMPUTE_PGM_RSRC2:TGID_X_EN: 1
; COMPUTE_PGM_RSRC2:TGID_Y_EN: 0
; COMPUTE_PGM_RSRC2:TGID_Z_EN: 0
; COMPUTE_PGM_RSRC2:TIDIG_COMP_CNT: 0
; COMPUTE_PGM_RSRC3_GFX90A:ACCUM_OFFSET: 3
; COMPUTE_PGM_RSRC3_GFX90A:TG_SPLIT: 0
	.section	.text._ZN5aiter24partial_transpose_kernelIDF16_Li256ELi4ELi10000EEEvPT_S2_PKii,"axG",@progbits,_ZN5aiter24partial_transpose_kernelIDF16_Li256ELi4ELi10000EEEvPT_S2_PKii,comdat
	.protected	_ZN5aiter24partial_transpose_kernelIDF16_Li256ELi4ELi10000EEEvPT_S2_PKii ; -- Begin function _ZN5aiter24partial_transpose_kernelIDF16_Li256ELi4ELi10000EEEvPT_S2_PKii
	.globl	_ZN5aiter24partial_transpose_kernelIDF16_Li256ELi4ELi10000EEEvPT_S2_PKii
	.p2align	8
	.type	_ZN5aiter24partial_transpose_kernelIDF16_Li256ELi4ELi10000EEEvPT_S2_PKii,@function
_ZN5aiter24partial_transpose_kernelIDF16_Li256ELi4ELi10000EEEvPT_S2_PKii: ; @_ZN5aiter24partial_transpose_kernelIDF16_Li256ELi4ELi10000EEEvPT_S2_PKii
; %bb.0:
	s_load_dwordx2 s[0:1], s[4:5], 0x10
	s_load_dword s24, s[4:5], 0x18
	s_load_dwordx4 s[8:11], s[4:5], 0x0
	v_lshl_add_u32 v6, s6, 8, v0
	s_mov_b32 s15, 0x20000
	s_waitcnt lgkmcnt(0)
	s_load_dword s2, s[0:1], 0x0
	s_load_dword s7, s[4:5], 0x20
	s_add_i32 s0, s24, 3
	s_ashr_i32 s1, s0, 31
	s_lshr_b32 s1, s1, 30
	s_add_i32 s0, s0, s1
	s_ashr_i32 s25, s0, 2
	v_cvt_f32_u32_e32 v1, s25
	s_waitcnt lgkmcnt(0)
	s_mul_i32 s0, s2, s24
	s_add_i32 s0, s0, 1
	s_lshr_b32 s1, s0, 31
	v_rcp_iflag_f32_e32 v0, v1
	s_add_i32 s0, s0, s1
	s_lshl_b32 s0, s0, 1
	s_and_b32 s14, s0, -4
	v_mul_f32_e32 v0, 0x4f7ffffe, v0
	v_cvt_u32_f32_e32 v7, v0
	s_lshl_b32 s0, s2, 1
	s_mul_i32 s16, s2, 3
	s_and_b32 s11, s11, 0xffff
	s_ashr_i32 s26, s25, 31
	s_ashr_i32 s1, s0, 31
	;; [unrolled: 1-line block ×4, first 2 shown]
	s_mov_b64 s[12:13], s[10:11]
	s_lshl_b32 s27, s7, 8
	s_movk_i32 s28, 0x2710
	s_mov_b64 s[4:5], 0
	v_mov_b32_e32 v1, 0
	s_mov_b32 s6, 0
	s_mov_b32 s7, s26
	s_lshl_b64 s[10:11], s[0:1], 1
	s_lshl_b64 s[16:17], s[16:17], 1
	s_branch .LBB135_3
.LBB135_1:                              ;   in Loop: Header=BB135_3 Depth=1
	s_or_b64 exec, exec, s[18:19]
	s_add_i32 s28, s28, -1
	s_cmp_eq_u32 s28, 0
	s_cselect_b64 s[18:19], -1, 0
	v_add_u32_e32 v6, s27, v6
	s_orn2_b64 s[18:19], s[18:19], exec
.LBB135_2:                              ;   in Loop: Header=BB135_3 Depth=1
	s_or_b64 exec, exec, s[0:1]
	s_and_b64 s[0:1], exec, s[18:19]
	s_or_b64 s[4:5], s[0:1], s[4:5]
	s_andn2_b64 exec, exec, s[4:5]
	s_cbranch_execz .LBB135_16
.LBB135_3:                              ; =>This Inner Loop Header: Depth=1
	s_cmp_lg_u64 s[6:7], 0
	s_cselect_b64 s[0:1], -1, 0
                                        ; implicit-def: $vgpr4_vgpr5
	s_and_saveexec_b64 s[18:19], s[0:1]
	s_xor_b64 s[18:19], exec, s[18:19]
	s_cbranch_execz .LBB135_5
; %bb.4:                                ;   in Loop: Header=BB135_3 Depth=1
	s_add_u32 s0, s25, s26
	s_mov_b32 s20, s26
	s_mov_b32 s21, s26
	s_addc_u32 s1, s26, s26
	s_xor_b64 s[22:23], s[0:1], s[20:21]
	v_cvt_f32_u32_e32 v0, s22
	v_cvt_f32_u32_e32 v2, s23
	s_sub_u32 s0, 0, s22
	s_subb_u32 s1, 0, s23
	v_mac_f32_e32 v0, 0x4f800000, v2
	v_rcp_f32_e32 v0, v0
	v_mul_f32_e32 v0, 0x5f7ffffc, v0
	v_mul_f32_e32 v2, 0x2f800000, v0
	v_trunc_f32_e32 v2, v2
	v_mac_f32_e32 v0, 0xcf800000, v2
	v_cvt_u32_f32_e32 v2, v2
	v_cvt_u32_f32_e32 v0, v0
	v_mul_lo_u32 v3, s0, v2
	v_mul_hi_u32 v5, s0, v0
	v_mul_lo_u32 v4, s1, v0
	v_add_u32_e32 v3, v5, v3
	v_mul_lo_u32 v8, s0, v0
	v_add_u32_e32 v3, v3, v4
	v_mul_lo_u32 v5, v0, v3
	v_mul_hi_u32 v9, v0, v8
	v_mul_hi_u32 v4, v0, v3
	v_add_co_u32_e32 v5, vcc, v9, v5
	v_addc_co_u32_e32 v4, vcc, 0, v4, vcc
	v_mul_hi_u32 v10, v2, v8
	v_mul_lo_u32 v8, v2, v8
	v_add_co_u32_e32 v5, vcc, v5, v8
	v_mul_hi_u32 v9, v2, v3
	v_addc_co_u32_e32 v4, vcc, v4, v10, vcc
	v_addc_co_u32_e32 v5, vcc, 0, v9, vcc
	v_mul_lo_u32 v3, v2, v3
	v_add_co_u32_e32 v3, vcc, v4, v3
	v_addc_co_u32_e32 v4, vcc, 0, v5, vcc
	v_add_co_u32_e32 v0, vcc, v0, v3
	v_addc_co_u32_e32 v2, vcc, v2, v4, vcc
	v_mul_lo_u32 v3, s0, v2
	v_mul_hi_u32 v4, s0, v0
	v_add_u32_e32 v3, v4, v3
	v_mul_lo_u32 v4, s1, v0
	v_add_u32_e32 v3, v3, v4
	v_mul_lo_u32 v5, s0, v0
	v_mul_hi_u32 v8, v2, v5
	v_mul_lo_u32 v9, v2, v5
	v_mul_lo_u32 v11, v0, v3
	v_mul_hi_u32 v5, v0, v5
	v_mul_hi_u32 v10, v0, v3
	v_add_co_u32_e32 v5, vcc, v5, v11
	v_addc_co_u32_e32 v10, vcc, 0, v10, vcc
	v_add_co_u32_e32 v5, vcc, v5, v9
	v_mul_hi_u32 v4, v2, v3
	v_addc_co_u32_e32 v5, vcc, v10, v8, vcc
	v_addc_co_u32_e32 v4, vcc, 0, v4, vcc
	v_mul_lo_u32 v3, v2, v3
	v_add_co_u32_e32 v3, vcc, v5, v3
	v_addc_co_u32_e32 v4, vcc, 0, v4, vcc
	v_add_co_u32_e32 v0, vcc, v0, v3
	v_addc_co_u32_e32 v4, vcc, v2, v4, vcc
	v_mad_u64_u32 v[2:3], s[0:1], v6, v4, 0
	v_mul_hi_u32 v5, v6, v0
	v_add_co_u32_e32 v8, vcc, v5, v2
	v_addc_co_u32_e32 v9, vcc, 0, v3, vcc
	v_mad_u64_u32 v[2:3], s[0:1], 0, v4, 0
	v_mad_u64_u32 v[4:5], s[0:1], 0, v0, 0
	v_add_co_u32_e32 v0, vcc, v8, v4
	v_addc_co_u32_e32 v0, vcc, v9, v5, vcc
	v_addc_co_u32_e32 v3, vcc, 0, v3, vcc
	v_add_co_u32_e32 v0, vcc, v0, v2
	v_addc_co_u32_e32 v4, vcc, 0, v3, vcc
	v_mul_lo_u32 v5, s23, v0
	v_mul_lo_u32 v8, s22, v4
	v_mad_u64_u32 v[2:3], s[0:1], s22, v0, 0
	v_add3_u32 v3, v3, v8, v5
	v_sub_u32_e32 v5, 0, v3
	v_mov_b32_e32 v8, s23
	v_sub_co_u32_e32 v2, vcc, v6, v2
	v_subb_co_u32_e64 v5, s[0:1], v5, v8, vcc
	v_subrev_co_u32_e64 v8, s[0:1], s22, v2
	v_subbrev_co_u32_e64 v5, s[0:1], 0, v5, s[0:1]
	v_cmp_le_u32_e64 s[0:1], s23, v5
	v_cndmask_b32_e64 v9, 0, -1, s[0:1]
	v_cmp_le_u32_e64 s[0:1], s22, v8
	v_cndmask_b32_e64 v8, 0, -1, s[0:1]
	v_cmp_eq_u32_e64 s[0:1], s23, v5
	v_cndmask_b32_e64 v5, v9, v8, s[0:1]
	v_add_co_u32_e64 v8, s[0:1], 2, v0
	v_addc_co_u32_e64 v9, s[0:1], 0, v4, s[0:1]
	v_add_co_u32_e64 v10, s[0:1], 1, v0
	v_addc_co_u32_e64 v11, s[0:1], 0, v4, s[0:1]
	v_subb_co_u32_e32 v3, vcc, 0, v3, vcc
	v_cmp_ne_u32_e64 s[0:1], 0, v5
	v_cmp_le_u32_e32 vcc, s23, v3
	v_cndmask_b32_e64 v5, v11, v9, s[0:1]
	v_cndmask_b32_e64 v9, 0, -1, vcc
	v_cmp_le_u32_e32 vcc, s22, v2
	v_cndmask_b32_e64 v2, 0, -1, vcc
	v_cmp_eq_u32_e32 vcc, s23, v3
	v_cndmask_b32_e32 v2, v9, v2, vcc
	v_cmp_ne_u32_e32 vcc, 0, v2
	v_cndmask_b32_e64 v3, v10, v8, s[0:1]
	v_cndmask_b32_e32 v0, v0, v3, vcc
	v_cndmask_b32_e32 v2, v4, v5, vcc
	v_xor_b32_e32 v0, s20, v0
	v_xor_b32_e32 v2, s21, v2
	v_mov_b32_e32 v3, s26
	v_subrev_co_u32_e32 v4, vcc, s20, v0
	v_subb_co_u32_e32 v5, vcc, v2, v3, vcc
.LBB135_5:                              ;   in Loop: Header=BB135_3 Depth=1
	s_andn2_saveexec_b64 s[0:1], s[18:19]
	s_cbranch_execz .LBB135_7
; %bb.6:                                ;   in Loop: Header=BB135_3 Depth=1
	s_sub_i32 s18, 0, s25
	v_mul_lo_u32 v0, s18, v7
	v_mul_hi_u32 v0, v7, v0
	v_add_u32_e32 v0, v7, v0
	v_mul_hi_u32 v0, v6, v0
	v_mul_lo_u32 v2, v0, s25
	v_sub_u32_e32 v2, v6, v2
	v_subrev_u32_e32 v3, s25, v2
	v_cmp_le_u32_e32 vcc, s25, v2
	v_cndmask_b32_e32 v2, v2, v3, vcc
	v_add_u32_e32 v3, 1, v0
	v_cndmask_b32_e32 v0, v0, v3, vcc
	v_add_u32_e32 v3, 1, v0
	v_cmp_le_u32_e32 vcc, s25, v2
	v_cndmask_b32_e32 v0, v0, v3, vcc
	v_pk_mov_b32 v[4:5], v[0:1], v[0:1] op_sel:[0,1]
.LBB135_7:                              ;   in Loop: Header=BB135_3 Depth=1
	s_or_b64 exec, exec, s[0:1]
	v_cmp_gt_i64_e32 vcc, s[2:3], v[4:5]
	s_mov_b64 s[18:19], -1
	s_and_saveexec_b64 s[0:1], vcc
	s_cbranch_execz .LBB135_2
; %bb.8:                                ;   in Loop: Header=BB135_3 Depth=1
	v_mul_lo_u32 v0, v4, s25
	v_sub_u32_e32 v0, v6, v0
	v_lshlrev_b32_e32 v0, 2, v0
	v_mul_lo_u32 v2, v4, s24
	v_add_lshl_u32 v2, v2, v0, 1
	buffer_load_dwordx2 v[2:3], v2, s[12:15], 0 offen
	v_mul_lo_u32 v8, v0, s2
	v_lshlrev_b64 v[4:5], 1, v[4:5]
	v_ashrrev_i32_e32 v9, 31, v8
	v_mov_b32_e32 v10, s9
	v_add_co_u32_e32 v11, vcc, s8, v4
	v_addc_co_u32_e32 v10, vcc, v10, v5, vcc
	v_lshlrev_b64 v[4:5], 1, v[8:9]
	v_add_co_u32_e32 v4, vcc, v11, v4
	v_addc_co_u32_e32 v5, vcc, v10, v5, vcc
	v_cmp_gt_i32_e32 vcc, s24, v0
	s_and_saveexec_b64 s[18:19], vcc
	s_cbranch_execz .LBB135_10
; %bb.9:                                ;   in Loop: Header=BB135_3 Depth=1
	s_waitcnt vmcnt(0)
	global_store_short v[4:5], v2, off
.LBB135_10:                             ;   in Loop: Header=BB135_3 Depth=1
	s_or_b64 exec, exec, s[18:19]
	v_or_b32_e32 v8, 1, v0
	v_cmp_gt_i32_e32 vcc, s24, v8
	s_and_saveexec_b64 s[18:19], vcc
	s_cbranch_execz .LBB135_12
; %bb.11:                               ;   in Loop: Header=BB135_3 Depth=1
	s_lshl_b64 s[20:21], s[2:3], 1
	v_mov_b32_e32 v9, s21
	v_add_co_u32_e32 v8, vcc, s20, v4
	v_addc_co_u32_e32 v9, vcc, v5, v9, vcc
	s_waitcnt vmcnt(0)
	global_store_short_d16_hi v[8:9], v2, off
.LBB135_12:                             ;   in Loop: Header=BB135_3 Depth=1
	s_or_b64 exec, exec, s[18:19]
	s_waitcnt vmcnt(0)
	v_or_b32_e32 v2, 2, v0
	v_cmp_gt_i32_e32 vcc, s24, v2
	s_and_saveexec_b64 s[18:19], vcc
	s_cbranch_execz .LBB135_14
; %bb.13:                               ;   in Loop: Header=BB135_3 Depth=1
	v_mov_b32_e32 v2, s11
	v_add_co_u32_e32 v8, vcc, s10, v4
	v_addc_co_u32_e32 v9, vcc, v5, v2, vcc
	global_store_short v[8:9], v3, off
.LBB135_14:                             ;   in Loop: Header=BB135_3 Depth=1
	s_or_b64 exec, exec, s[18:19]
	v_or_b32_e32 v0, 3, v0
	v_cmp_gt_i32_e32 vcc, s24, v0
	s_and_saveexec_b64 s[18:19], vcc
	s_cbranch_execz .LBB135_1
; %bb.15:                               ;   in Loop: Header=BB135_3 Depth=1
	v_mov_b32_e32 v0, s17
	v_add_co_u32_e32 v4, vcc, s16, v4
	v_addc_co_u32_e32 v5, vcc, v5, v0, vcc
	global_store_short_d16_hi v[4:5], v3, off
	s_branch .LBB135_1
.LBB135_16:
	s_endpgm
	.section	.rodata,"a",@progbits
	.p2align	6, 0x0
	.amdhsa_kernel _ZN5aiter24partial_transpose_kernelIDF16_Li256ELi4ELi10000EEEvPT_S2_PKii
		.amdhsa_group_segment_fixed_size 0
		.amdhsa_private_segment_fixed_size 0
		.amdhsa_kernarg_size 288
		.amdhsa_user_sgpr_count 6
		.amdhsa_user_sgpr_private_segment_buffer 1
		.amdhsa_user_sgpr_dispatch_ptr 0
		.amdhsa_user_sgpr_queue_ptr 0
		.amdhsa_user_sgpr_kernarg_segment_ptr 1
		.amdhsa_user_sgpr_dispatch_id 0
		.amdhsa_user_sgpr_flat_scratch_init 0
		.amdhsa_user_sgpr_kernarg_preload_length 0
		.amdhsa_user_sgpr_kernarg_preload_offset 0
		.amdhsa_user_sgpr_private_segment_size 0
		.amdhsa_uses_dynamic_stack 0
		.amdhsa_system_sgpr_private_segment_wavefront_offset 0
		.amdhsa_system_sgpr_workgroup_id_x 1
		.amdhsa_system_sgpr_workgroup_id_y 0
		.amdhsa_system_sgpr_workgroup_id_z 0
		.amdhsa_system_sgpr_workgroup_info 0
		.amdhsa_system_vgpr_workitem_id 0
		.amdhsa_next_free_vgpr 12
		.amdhsa_next_free_sgpr 29
		.amdhsa_accum_offset 12
		.amdhsa_reserve_vcc 1
		.amdhsa_reserve_flat_scratch 0
		.amdhsa_float_round_mode_32 0
		.amdhsa_float_round_mode_16_64 0
		.amdhsa_float_denorm_mode_32 3
		.amdhsa_float_denorm_mode_16_64 3
		.amdhsa_dx10_clamp 1
		.amdhsa_ieee_mode 1
		.amdhsa_fp16_overflow 0
		.amdhsa_tg_split 0
		.amdhsa_exception_fp_ieee_invalid_op 0
		.amdhsa_exception_fp_denorm_src 0
		.amdhsa_exception_fp_ieee_div_zero 0
		.amdhsa_exception_fp_ieee_overflow 0
		.amdhsa_exception_fp_ieee_underflow 0
		.amdhsa_exception_fp_ieee_inexact 0
		.amdhsa_exception_int_div_zero 0
	.end_amdhsa_kernel
	.section	.text._ZN5aiter24partial_transpose_kernelIDF16_Li256ELi4ELi10000EEEvPT_S2_PKii,"axG",@progbits,_ZN5aiter24partial_transpose_kernelIDF16_Li256ELi4ELi10000EEEvPT_S2_PKii,comdat
.Lfunc_end135:
	.size	_ZN5aiter24partial_transpose_kernelIDF16_Li256ELi4ELi10000EEEvPT_S2_PKii, .Lfunc_end135-_ZN5aiter24partial_transpose_kernelIDF16_Li256ELi4ELi10000EEEvPT_S2_PKii
                                        ; -- End function
	.section	.AMDGPU.csdata,"",@progbits
; Kernel info:
; codeLenInByte = 1276
; NumSgprs: 33
; NumVgprs: 12
; NumAgprs: 0
; TotalNumVgprs: 12
; ScratchSize: 0
; MemoryBound: 0
; FloatMode: 240
; IeeeMode: 1
; LDSByteSize: 0 bytes/workgroup (compile time only)
; SGPRBlocks: 4
; VGPRBlocks: 1
; NumSGPRsForWavesPerEU: 33
; NumVGPRsForWavesPerEU: 12
; AccumOffset: 12
; Occupancy: 8
; WaveLimiterHint : 1
; COMPUTE_PGM_RSRC2:SCRATCH_EN: 0
; COMPUTE_PGM_RSRC2:USER_SGPR: 6
; COMPUTE_PGM_RSRC2:TRAP_HANDLER: 0
; COMPUTE_PGM_RSRC2:TGID_X_EN: 1
; COMPUTE_PGM_RSRC2:TGID_Y_EN: 0
; COMPUTE_PGM_RSRC2:TGID_Z_EN: 0
; COMPUTE_PGM_RSRC2:TIDIG_COMP_CNT: 0
; COMPUTE_PGM_RSRC3_GFX90A:ACCUM_OFFSET: 2
; COMPUTE_PGM_RSRC3_GFX90A:TG_SPLIT: 0
	.section	.text._ZN5aiter24partial_transpose_kernelItLi256ELi4ELi10000EEEvPT_S2_PKii,"axG",@progbits,_ZN5aiter24partial_transpose_kernelItLi256ELi4ELi10000EEEvPT_S2_PKii,comdat
	.protected	_ZN5aiter24partial_transpose_kernelItLi256ELi4ELi10000EEEvPT_S2_PKii ; -- Begin function _ZN5aiter24partial_transpose_kernelItLi256ELi4ELi10000EEEvPT_S2_PKii
	.globl	_ZN5aiter24partial_transpose_kernelItLi256ELi4ELi10000EEEvPT_S2_PKii
	.p2align	8
	.type	_ZN5aiter24partial_transpose_kernelItLi256ELi4ELi10000EEEvPT_S2_PKii,@function
_ZN5aiter24partial_transpose_kernelItLi256ELi4ELi10000EEEvPT_S2_PKii: ; @_ZN5aiter24partial_transpose_kernelItLi256ELi4ELi10000EEEvPT_S2_PKii
; %bb.0:
	s_load_dwordx2 s[0:1], s[4:5], 0x10
	s_load_dword s24, s[4:5], 0x18
	s_load_dwordx4 s[8:11], s[4:5], 0x0
	v_lshl_add_u32 v6, s6, 8, v0
	s_mov_b32 s15, 0x20000
	s_waitcnt lgkmcnt(0)
	s_load_dword s2, s[0:1], 0x0
	s_load_dword s7, s[4:5], 0x20
	s_add_i32 s0, s24, 3
	s_ashr_i32 s1, s0, 31
	s_lshr_b32 s1, s1, 30
	s_add_i32 s0, s0, s1
	s_ashr_i32 s25, s0, 2
	v_cvt_f32_u32_e32 v1, s25
	s_waitcnt lgkmcnt(0)
	s_mul_i32 s0, s2, s24
	s_add_i32 s0, s0, 1
	s_lshr_b32 s1, s0, 31
	v_rcp_iflag_f32_e32 v0, v1
	s_add_i32 s0, s0, s1
	s_lshl_b32 s0, s0, 1
	s_and_b32 s14, s0, -4
	v_mul_f32_e32 v0, 0x4f7ffffe, v0
	v_cvt_u32_f32_e32 v7, v0
	s_lshl_b32 s0, s2, 1
	s_mul_i32 s16, s2, 3
	s_and_b32 s11, s11, 0xffff
	s_ashr_i32 s26, s25, 31
	s_ashr_i32 s1, s0, 31
	;; [unrolled: 1-line block ×4, first 2 shown]
	s_mov_b64 s[12:13], s[10:11]
	s_lshl_b32 s27, s7, 8
	s_movk_i32 s28, 0x2710
	s_mov_b64 s[4:5], 0
	v_mov_b32_e32 v1, 0
	s_mov_b32 s6, 0
	s_mov_b32 s7, s26
	s_lshl_b64 s[10:11], s[0:1], 1
	s_lshl_b64 s[16:17], s[16:17], 1
	s_branch .LBB136_3
.LBB136_1:                              ;   in Loop: Header=BB136_3 Depth=1
	s_or_b64 exec, exec, s[18:19]
	s_add_i32 s28, s28, -1
	s_cmp_eq_u32 s28, 0
	s_cselect_b64 s[18:19], -1, 0
	v_add_u32_e32 v6, s27, v6
	s_orn2_b64 s[18:19], s[18:19], exec
.LBB136_2:                              ;   in Loop: Header=BB136_3 Depth=1
	s_or_b64 exec, exec, s[0:1]
	s_and_b64 s[0:1], exec, s[18:19]
	s_or_b64 s[4:5], s[0:1], s[4:5]
	s_andn2_b64 exec, exec, s[4:5]
	s_cbranch_execz .LBB136_16
.LBB136_3:                              ; =>This Inner Loop Header: Depth=1
	s_cmp_lg_u64 s[6:7], 0
	s_cselect_b64 s[0:1], -1, 0
                                        ; implicit-def: $vgpr4_vgpr5
	s_and_saveexec_b64 s[18:19], s[0:1]
	s_xor_b64 s[18:19], exec, s[18:19]
	s_cbranch_execz .LBB136_5
; %bb.4:                                ;   in Loop: Header=BB136_3 Depth=1
	s_add_u32 s0, s25, s26
	s_mov_b32 s20, s26
	s_mov_b32 s21, s26
	s_addc_u32 s1, s26, s26
	s_xor_b64 s[22:23], s[0:1], s[20:21]
	v_cvt_f32_u32_e32 v0, s22
	v_cvt_f32_u32_e32 v2, s23
	s_sub_u32 s0, 0, s22
	s_subb_u32 s1, 0, s23
	v_mac_f32_e32 v0, 0x4f800000, v2
	v_rcp_f32_e32 v0, v0
	v_mul_f32_e32 v0, 0x5f7ffffc, v0
	v_mul_f32_e32 v2, 0x2f800000, v0
	v_trunc_f32_e32 v2, v2
	v_mac_f32_e32 v0, 0xcf800000, v2
	v_cvt_u32_f32_e32 v2, v2
	v_cvt_u32_f32_e32 v0, v0
	v_mul_lo_u32 v3, s0, v2
	v_mul_hi_u32 v5, s0, v0
	v_mul_lo_u32 v4, s1, v0
	v_add_u32_e32 v3, v5, v3
	v_mul_lo_u32 v8, s0, v0
	v_add_u32_e32 v3, v3, v4
	v_mul_lo_u32 v5, v0, v3
	v_mul_hi_u32 v9, v0, v8
	v_mul_hi_u32 v4, v0, v3
	v_add_co_u32_e32 v5, vcc, v9, v5
	v_addc_co_u32_e32 v4, vcc, 0, v4, vcc
	v_mul_hi_u32 v10, v2, v8
	v_mul_lo_u32 v8, v2, v8
	v_add_co_u32_e32 v5, vcc, v5, v8
	v_mul_hi_u32 v9, v2, v3
	v_addc_co_u32_e32 v4, vcc, v4, v10, vcc
	v_addc_co_u32_e32 v5, vcc, 0, v9, vcc
	v_mul_lo_u32 v3, v2, v3
	v_add_co_u32_e32 v3, vcc, v4, v3
	v_addc_co_u32_e32 v4, vcc, 0, v5, vcc
	v_add_co_u32_e32 v0, vcc, v0, v3
	v_addc_co_u32_e32 v2, vcc, v2, v4, vcc
	v_mul_lo_u32 v3, s0, v2
	v_mul_hi_u32 v4, s0, v0
	v_add_u32_e32 v3, v4, v3
	v_mul_lo_u32 v4, s1, v0
	v_add_u32_e32 v3, v3, v4
	v_mul_lo_u32 v5, s0, v0
	v_mul_hi_u32 v8, v2, v5
	v_mul_lo_u32 v9, v2, v5
	v_mul_lo_u32 v11, v0, v3
	v_mul_hi_u32 v5, v0, v5
	v_mul_hi_u32 v10, v0, v3
	v_add_co_u32_e32 v5, vcc, v5, v11
	v_addc_co_u32_e32 v10, vcc, 0, v10, vcc
	v_add_co_u32_e32 v5, vcc, v5, v9
	v_mul_hi_u32 v4, v2, v3
	v_addc_co_u32_e32 v5, vcc, v10, v8, vcc
	v_addc_co_u32_e32 v4, vcc, 0, v4, vcc
	v_mul_lo_u32 v3, v2, v3
	v_add_co_u32_e32 v3, vcc, v5, v3
	v_addc_co_u32_e32 v4, vcc, 0, v4, vcc
	v_add_co_u32_e32 v0, vcc, v0, v3
	v_addc_co_u32_e32 v4, vcc, v2, v4, vcc
	v_mad_u64_u32 v[2:3], s[0:1], v6, v4, 0
	v_mul_hi_u32 v5, v6, v0
	v_add_co_u32_e32 v8, vcc, v5, v2
	v_addc_co_u32_e32 v9, vcc, 0, v3, vcc
	v_mad_u64_u32 v[2:3], s[0:1], 0, v4, 0
	v_mad_u64_u32 v[4:5], s[0:1], 0, v0, 0
	v_add_co_u32_e32 v0, vcc, v8, v4
	v_addc_co_u32_e32 v0, vcc, v9, v5, vcc
	v_addc_co_u32_e32 v3, vcc, 0, v3, vcc
	v_add_co_u32_e32 v0, vcc, v0, v2
	v_addc_co_u32_e32 v4, vcc, 0, v3, vcc
	v_mul_lo_u32 v5, s23, v0
	v_mul_lo_u32 v8, s22, v4
	v_mad_u64_u32 v[2:3], s[0:1], s22, v0, 0
	v_add3_u32 v3, v3, v8, v5
	v_sub_u32_e32 v5, 0, v3
	v_mov_b32_e32 v8, s23
	v_sub_co_u32_e32 v2, vcc, v6, v2
	v_subb_co_u32_e64 v5, s[0:1], v5, v8, vcc
	v_subrev_co_u32_e64 v8, s[0:1], s22, v2
	v_subbrev_co_u32_e64 v5, s[0:1], 0, v5, s[0:1]
	v_cmp_le_u32_e64 s[0:1], s23, v5
	v_cndmask_b32_e64 v9, 0, -1, s[0:1]
	v_cmp_le_u32_e64 s[0:1], s22, v8
	v_cndmask_b32_e64 v8, 0, -1, s[0:1]
	v_cmp_eq_u32_e64 s[0:1], s23, v5
	v_cndmask_b32_e64 v5, v9, v8, s[0:1]
	v_add_co_u32_e64 v8, s[0:1], 2, v0
	v_addc_co_u32_e64 v9, s[0:1], 0, v4, s[0:1]
	v_add_co_u32_e64 v10, s[0:1], 1, v0
	v_addc_co_u32_e64 v11, s[0:1], 0, v4, s[0:1]
	v_subb_co_u32_e32 v3, vcc, 0, v3, vcc
	v_cmp_ne_u32_e64 s[0:1], 0, v5
	v_cmp_le_u32_e32 vcc, s23, v3
	v_cndmask_b32_e64 v5, v11, v9, s[0:1]
	v_cndmask_b32_e64 v9, 0, -1, vcc
	v_cmp_le_u32_e32 vcc, s22, v2
	v_cndmask_b32_e64 v2, 0, -1, vcc
	v_cmp_eq_u32_e32 vcc, s23, v3
	v_cndmask_b32_e32 v2, v9, v2, vcc
	v_cmp_ne_u32_e32 vcc, 0, v2
	v_cndmask_b32_e64 v3, v10, v8, s[0:1]
	v_cndmask_b32_e32 v0, v0, v3, vcc
	v_cndmask_b32_e32 v2, v4, v5, vcc
	v_xor_b32_e32 v0, s20, v0
	v_xor_b32_e32 v2, s21, v2
	v_mov_b32_e32 v3, s26
	v_subrev_co_u32_e32 v4, vcc, s20, v0
	v_subb_co_u32_e32 v5, vcc, v2, v3, vcc
.LBB136_5:                              ;   in Loop: Header=BB136_3 Depth=1
	s_andn2_saveexec_b64 s[0:1], s[18:19]
	s_cbranch_execz .LBB136_7
; %bb.6:                                ;   in Loop: Header=BB136_3 Depth=1
	s_sub_i32 s18, 0, s25
	v_mul_lo_u32 v0, s18, v7
	v_mul_hi_u32 v0, v7, v0
	v_add_u32_e32 v0, v7, v0
	v_mul_hi_u32 v0, v6, v0
	v_mul_lo_u32 v2, v0, s25
	v_sub_u32_e32 v2, v6, v2
	v_subrev_u32_e32 v3, s25, v2
	v_cmp_le_u32_e32 vcc, s25, v2
	v_cndmask_b32_e32 v2, v2, v3, vcc
	v_add_u32_e32 v3, 1, v0
	v_cndmask_b32_e32 v0, v0, v3, vcc
	v_add_u32_e32 v3, 1, v0
	v_cmp_le_u32_e32 vcc, s25, v2
	v_cndmask_b32_e32 v0, v0, v3, vcc
	v_pk_mov_b32 v[4:5], v[0:1], v[0:1] op_sel:[0,1]
.LBB136_7:                              ;   in Loop: Header=BB136_3 Depth=1
	s_or_b64 exec, exec, s[0:1]
	v_cmp_gt_i64_e32 vcc, s[2:3], v[4:5]
	s_mov_b64 s[18:19], -1
	s_and_saveexec_b64 s[0:1], vcc
	s_cbranch_execz .LBB136_2
; %bb.8:                                ;   in Loop: Header=BB136_3 Depth=1
	v_mul_lo_u32 v0, v4, s25
	v_sub_u32_e32 v0, v6, v0
	v_lshlrev_b32_e32 v0, 2, v0
	v_mul_lo_u32 v2, v4, s24
	v_add_lshl_u32 v2, v2, v0, 1
	buffer_load_dwordx2 v[2:3], v2, s[12:15], 0 offen
	v_mul_lo_u32 v8, v0, s2
	v_lshlrev_b64 v[4:5], 1, v[4:5]
	v_ashrrev_i32_e32 v9, 31, v8
	v_mov_b32_e32 v10, s9
	v_add_co_u32_e32 v11, vcc, s8, v4
	v_addc_co_u32_e32 v10, vcc, v10, v5, vcc
	v_lshlrev_b64 v[4:5], 1, v[8:9]
	v_add_co_u32_e32 v4, vcc, v11, v4
	v_addc_co_u32_e32 v5, vcc, v10, v5, vcc
	v_cmp_gt_i32_e32 vcc, s24, v0
	s_and_saveexec_b64 s[18:19], vcc
	s_cbranch_execz .LBB136_10
; %bb.9:                                ;   in Loop: Header=BB136_3 Depth=1
	s_waitcnt vmcnt(0)
	global_store_short v[4:5], v2, off
.LBB136_10:                             ;   in Loop: Header=BB136_3 Depth=1
	s_or_b64 exec, exec, s[18:19]
	v_or_b32_e32 v8, 1, v0
	v_cmp_gt_i32_e32 vcc, s24, v8
	s_and_saveexec_b64 s[18:19], vcc
	s_cbranch_execz .LBB136_12
; %bb.11:                               ;   in Loop: Header=BB136_3 Depth=1
	s_lshl_b64 s[20:21], s[2:3], 1
	v_mov_b32_e32 v9, s21
	v_add_co_u32_e32 v8, vcc, s20, v4
	v_addc_co_u32_e32 v9, vcc, v5, v9, vcc
	s_waitcnt vmcnt(0)
	global_store_short_d16_hi v[8:9], v2, off
.LBB136_12:                             ;   in Loop: Header=BB136_3 Depth=1
	s_or_b64 exec, exec, s[18:19]
	s_waitcnt vmcnt(0)
	v_or_b32_e32 v2, 2, v0
	v_cmp_gt_i32_e32 vcc, s24, v2
	s_and_saveexec_b64 s[18:19], vcc
	s_cbranch_execz .LBB136_14
; %bb.13:                               ;   in Loop: Header=BB136_3 Depth=1
	v_mov_b32_e32 v2, s11
	v_add_co_u32_e32 v8, vcc, s10, v4
	v_addc_co_u32_e32 v9, vcc, v5, v2, vcc
	global_store_short v[8:9], v3, off
.LBB136_14:                             ;   in Loop: Header=BB136_3 Depth=1
	s_or_b64 exec, exec, s[18:19]
	v_or_b32_e32 v0, 3, v0
	v_cmp_gt_i32_e32 vcc, s24, v0
	s_and_saveexec_b64 s[18:19], vcc
	s_cbranch_execz .LBB136_1
; %bb.15:                               ;   in Loop: Header=BB136_3 Depth=1
	v_mov_b32_e32 v0, s17
	v_add_co_u32_e32 v4, vcc, s16, v4
	v_addc_co_u32_e32 v5, vcc, v5, v0, vcc
	global_store_short_d16_hi v[4:5], v3, off
	s_branch .LBB136_1
.LBB136_16:
	s_endpgm
	.section	.rodata,"a",@progbits
	.p2align	6, 0x0
	.amdhsa_kernel _ZN5aiter24partial_transpose_kernelItLi256ELi4ELi10000EEEvPT_S2_PKii
		.amdhsa_group_segment_fixed_size 0
		.amdhsa_private_segment_fixed_size 0
		.amdhsa_kernarg_size 288
		.amdhsa_user_sgpr_count 6
		.amdhsa_user_sgpr_private_segment_buffer 1
		.amdhsa_user_sgpr_dispatch_ptr 0
		.amdhsa_user_sgpr_queue_ptr 0
		.amdhsa_user_sgpr_kernarg_segment_ptr 1
		.amdhsa_user_sgpr_dispatch_id 0
		.amdhsa_user_sgpr_flat_scratch_init 0
		.amdhsa_user_sgpr_kernarg_preload_length 0
		.amdhsa_user_sgpr_kernarg_preload_offset 0
		.amdhsa_user_sgpr_private_segment_size 0
		.amdhsa_uses_dynamic_stack 0
		.amdhsa_system_sgpr_private_segment_wavefront_offset 0
		.amdhsa_system_sgpr_workgroup_id_x 1
		.amdhsa_system_sgpr_workgroup_id_y 0
		.amdhsa_system_sgpr_workgroup_id_z 0
		.amdhsa_system_sgpr_workgroup_info 0
		.amdhsa_system_vgpr_workitem_id 0
		.amdhsa_next_free_vgpr 12
		.amdhsa_next_free_sgpr 29
		.amdhsa_accum_offset 12
		.amdhsa_reserve_vcc 1
		.amdhsa_reserve_flat_scratch 0
		.amdhsa_float_round_mode_32 0
		.amdhsa_float_round_mode_16_64 0
		.amdhsa_float_denorm_mode_32 3
		.amdhsa_float_denorm_mode_16_64 3
		.amdhsa_dx10_clamp 1
		.amdhsa_ieee_mode 1
		.amdhsa_fp16_overflow 0
		.amdhsa_tg_split 0
		.amdhsa_exception_fp_ieee_invalid_op 0
		.amdhsa_exception_fp_denorm_src 0
		.amdhsa_exception_fp_ieee_div_zero 0
		.amdhsa_exception_fp_ieee_overflow 0
		.amdhsa_exception_fp_ieee_underflow 0
		.amdhsa_exception_fp_ieee_inexact 0
		.amdhsa_exception_int_div_zero 0
	.end_amdhsa_kernel
	.section	.text._ZN5aiter24partial_transpose_kernelItLi256ELi4ELi10000EEEvPT_S2_PKii,"axG",@progbits,_ZN5aiter24partial_transpose_kernelItLi256ELi4ELi10000EEEvPT_S2_PKii,comdat
.Lfunc_end136:
	.size	_ZN5aiter24partial_transpose_kernelItLi256ELi4ELi10000EEEvPT_S2_PKii, .Lfunc_end136-_ZN5aiter24partial_transpose_kernelItLi256ELi4ELi10000EEEvPT_S2_PKii
                                        ; -- End function
	.section	.AMDGPU.csdata,"",@progbits
; Kernel info:
; codeLenInByte = 1276
; NumSgprs: 33
; NumVgprs: 12
; NumAgprs: 0
; TotalNumVgprs: 12
; ScratchSize: 0
; MemoryBound: 0
; FloatMode: 240
; IeeeMode: 1
; LDSByteSize: 0 bytes/workgroup (compile time only)
; SGPRBlocks: 4
; VGPRBlocks: 1
; NumSGPRsForWavesPerEU: 33
; NumVGPRsForWavesPerEU: 12
; AccumOffset: 12
; Occupancy: 8
; WaveLimiterHint : 1
; COMPUTE_PGM_RSRC2:SCRATCH_EN: 0
; COMPUTE_PGM_RSRC2:USER_SGPR: 6
; COMPUTE_PGM_RSRC2:TRAP_HANDLER: 0
; COMPUTE_PGM_RSRC2:TGID_X_EN: 1
; COMPUTE_PGM_RSRC2:TGID_Y_EN: 0
; COMPUTE_PGM_RSRC2:TGID_Z_EN: 0
; COMPUTE_PGM_RSRC2:TIDIG_COMP_CNT: 0
; COMPUTE_PGM_RSRC3_GFX90A:ACCUM_OFFSET: 2
; COMPUTE_PGM_RSRC3_GFX90A:TG_SPLIT: 0
	.section	.text._ZN5aiter24partial_transpose_kernelIfLi256ELi8ELi10000EEEvPT_S2_PKii,"axG",@progbits,_ZN5aiter24partial_transpose_kernelIfLi256ELi8ELi10000EEEvPT_S2_PKii,comdat
	.protected	_ZN5aiter24partial_transpose_kernelIfLi256ELi8ELi10000EEEvPT_S2_PKii ; -- Begin function _ZN5aiter24partial_transpose_kernelIfLi256ELi8ELi10000EEEvPT_S2_PKii
	.globl	_ZN5aiter24partial_transpose_kernelIfLi256ELi8ELi10000EEEvPT_S2_PKii
	.p2align	8
	.type	_ZN5aiter24partial_transpose_kernelIfLi256ELi8ELi10000EEEvPT_S2_PKii,@function
_ZN5aiter24partial_transpose_kernelIfLi256ELi8ELi10000EEEvPT_S2_PKii: ; @_ZN5aiter24partial_transpose_kernelIfLi256ELi8ELi10000EEEvPT_S2_PKii
; %bb.0:
	s_load_dwordx2 s[0:1], s[4:5], 0x10
	s_load_dword s33, s[4:5], 0x18
	s_load_dwordx4 s[8:11], s[4:5], 0x0
	v_lshl_add_u32 v12, s6, 8, v0
	s_mov_b32 s15, 0x20000
	s_waitcnt lgkmcnt(0)
	s_load_dword s2, s[0:1], 0x0
	s_load_dword s7, s[4:5], 0x20
	s_add_i32 s0, s33, 7
	s_ashr_i32 s1, s0, 31
	s_lshr_b32 s1, s1, 29
	s_add_i32 s0, s0, s1
	s_ashr_i32 s34, s0, 3
	v_cvt_f32_u32_e32 v0, s34
	s_waitcnt lgkmcnt(0)
	s_mul_i32 s0, s33, s2
	s_lshl_b32 s14, s0, 2
	s_lshl_b32 s0, s2, 1
	v_rcp_iflag_f32_e32 v0, v0
	s_mul_i32 s16, s2, 3
	s_lshl_b32 s18, s2, 2
	s_mul_i32 s20, s2, 5
	v_mul_f32_e32 v0, 0x4f7ffffe, v0
	v_cvt_u32_f32_e32 v13, v0
	s_mul_i32 s22, s2, 6
	s_mul_i32 s24, s2, 7
	s_and_b32 s11, s11, 0xffff
	s_ashr_i32 s35, s34, 31
	s_ashr_i32 s1, s0, 31
	s_ashr_i32 s17, s16, 31
	s_ashr_i32 s19, s18, 31
	s_ashr_i32 s21, s20, 31
	s_ashr_i32 s23, s22, 31
	s_ashr_i32 s25, s24, 31
	s_ashr_i32 s3, s2, 31
	s_mov_b64 s[12:13], s[10:11]
	s_lshl_b32 s36, s7, 8
	s_movk_i32 s37, 0x2710
	s_mov_b64 s[4:5], 0
	v_mov_b32_e32 v9, 0
	s_mov_b32 s6, 0
	s_mov_b32 s7, s35
	s_lshl_b64 s[10:11], s[0:1], 2
	s_lshl_b64 s[16:17], s[16:17], 2
	;; [unrolled: 1-line block ×6, first 2 shown]
	s_branch .LBB137_3
.LBB137_1:                              ;   in Loop: Header=BB137_3 Depth=1
	s_or_b64 exec, exec, s[26:27]
	s_add_i32 s37, s37, -1
	s_cmp_eq_u32 s37, 0
	s_cselect_b64 s[26:27], -1, 0
	v_add_u32_e32 v12, s36, v12
	s_orn2_b64 s[26:27], s[26:27], exec
.LBB137_2:                              ;   in Loop: Header=BB137_3 Depth=1
	s_or_b64 exec, exec, s[0:1]
	s_and_b64 s[0:1], exec, s[26:27]
	s_or_b64 s[4:5], s[0:1], s[4:5]
	s_andn2_b64 exec, exec, s[4:5]
	s_cbranch_execz .LBB137_24
.LBB137_3:                              ; =>This Inner Loop Header: Depth=1
	s_cmp_lg_u64 s[6:7], 0
	s_cselect_b64 s[0:1], -1, 0
                                        ; implicit-def: $vgpr10_vgpr11
	s_and_saveexec_b64 s[26:27], s[0:1]
	s_xor_b64 s[26:27], exec, s[26:27]
	s_cbranch_execz .LBB137_5
; %bb.4:                                ;   in Loop: Header=BB137_3 Depth=1
	s_add_u32 s0, s34, s35
	s_mov_b32 s28, s35
	s_mov_b32 s29, s35
	s_addc_u32 s1, s35, s35
	s_xor_b64 s[30:31], s[0:1], s[28:29]
	v_cvt_f32_u32_e32 v0, s30
	v_cvt_f32_u32_e32 v1, s31
	s_sub_u32 s0, 0, s30
	s_subb_u32 s1, 0, s31
	v_mac_f32_e32 v0, 0x4f800000, v1
	v_rcp_f32_e32 v0, v0
	v_mul_f32_e32 v0, 0x5f7ffffc, v0
	v_mul_f32_e32 v1, 0x2f800000, v0
	v_trunc_f32_e32 v1, v1
	v_mac_f32_e32 v0, 0xcf800000, v1
	v_cvt_u32_f32_e32 v1, v1
	v_cvt_u32_f32_e32 v0, v0
	v_mul_lo_u32 v2, s0, v1
	v_mul_hi_u32 v4, s0, v0
	v_mul_lo_u32 v3, s1, v0
	v_add_u32_e32 v2, v4, v2
	v_mul_lo_u32 v5, s0, v0
	v_add_u32_e32 v2, v2, v3
	v_mul_lo_u32 v4, v0, v2
	v_mul_hi_u32 v6, v0, v5
	v_mul_hi_u32 v3, v0, v2
	v_add_co_u32_e32 v4, vcc, v6, v4
	v_addc_co_u32_e32 v3, vcc, 0, v3, vcc
	v_mul_hi_u32 v7, v1, v5
	v_mul_lo_u32 v5, v1, v5
	v_add_co_u32_e32 v4, vcc, v4, v5
	v_mul_hi_u32 v6, v1, v2
	v_addc_co_u32_e32 v3, vcc, v3, v7, vcc
	v_addc_co_u32_e32 v4, vcc, 0, v6, vcc
	v_mul_lo_u32 v2, v1, v2
	v_add_co_u32_e32 v2, vcc, v3, v2
	v_addc_co_u32_e32 v3, vcc, 0, v4, vcc
	v_add_co_u32_e32 v0, vcc, v0, v2
	v_addc_co_u32_e32 v1, vcc, v1, v3, vcc
	v_mul_lo_u32 v2, s0, v1
	v_mul_hi_u32 v3, s0, v0
	v_add_u32_e32 v2, v3, v2
	v_mul_lo_u32 v3, s1, v0
	v_add_u32_e32 v2, v2, v3
	v_mul_lo_u32 v4, s0, v0
	v_mul_hi_u32 v5, v1, v4
	v_mul_lo_u32 v6, v1, v4
	v_mul_lo_u32 v8, v0, v2
	v_mul_hi_u32 v4, v0, v4
	v_mul_hi_u32 v7, v0, v2
	v_add_co_u32_e32 v4, vcc, v4, v8
	v_addc_co_u32_e32 v7, vcc, 0, v7, vcc
	v_add_co_u32_e32 v4, vcc, v4, v6
	v_mul_hi_u32 v3, v1, v2
	v_addc_co_u32_e32 v4, vcc, v7, v5, vcc
	v_addc_co_u32_e32 v3, vcc, 0, v3, vcc
	v_mul_lo_u32 v2, v1, v2
	v_add_co_u32_e32 v2, vcc, v4, v2
	v_addc_co_u32_e32 v3, vcc, 0, v3, vcc
	v_add_co_u32_e32 v2, vcc, v0, v2
	v_addc_co_u32_e32 v3, vcc, v1, v3, vcc
	v_mad_u64_u32 v[0:1], s[0:1], v12, v3, 0
	v_mul_hi_u32 v4, v12, v2
	v_add_co_u32_e32 v4, vcc, v4, v0
	v_addc_co_u32_e32 v5, vcc, 0, v1, vcc
	v_mad_u64_u32 v[0:1], s[0:1], 0, v3, 0
	v_mad_u64_u32 v[2:3], s[0:1], 0, v2, 0
	v_add_co_u32_e32 v2, vcc, v4, v2
	v_addc_co_u32_e32 v2, vcc, v5, v3, vcc
	v_addc_co_u32_e32 v1, vcc, 0, v1, vcc
	v_add_co_u32_e32 v2, vcc, v2, v0
	v_addc_co_u32_e32 v3, vcc, 0, v1, vcc
	v_mul_lo_u32 v4, s31, v2
	v_mul_lo_u32 v5, s30, v3
	v_mad_u64_u32 v[0:1], s[0:1], s30, v2, 0
	v_add3_u32 v1, v1, v5, v4
	v_sub_u32_e32 v4, 0, v1
	v_mov_b32_e32 v5, s31
	v_sub_co_u32_e32 v0, vcc, v12, v0
	v_subb_co_u32_e64 v4, s[0:1], v4, v5, vcc
	v_subrev_co_u32_e64 v5, s[0:1], s30, v0
	v_subbrev_co_u32_e64 v4, s[0:1], 0, v4, s[0:1]
	v_cmp_le_u32_e64 s[0:1], s31, v4
	v_cndmask_b32_e64 v6, 0, -1, s[0:1]
	v_cmp_le_u32_e64 s[0:1], s30, v5
	v_cndmask_b32_e64 v5, 0, -1, s[0:1]
	v_cmp_eq_u32_e64 s[0:1], s31, v4
	v_cndmask_b32_e64 v4, v6, v5, s[0:1]
	v_add_co_u32_e64 v5, s[0:1], 2, v2
	v_addc_co_u32_e64 v6, s[0:1], 0, v3, s[0:1]
	v_add_co_u32_e64 v7, s[0:1], 1, v2
	v_addc_co_u32_e64 v8, s[0:1], 0, v3, s[0:1]
	v_subb_co_u32_e32 v1, vcc, 0, v1, vcc
	v_cmp_ne_u32_e64 s[0:1], 0, v4
	v_cmp_le_u32_e32 vcc, s31, v1
	v_cndmask_b32_e64 v4, v8, v6, s[0:1]
	v_cndmask_b32_e64 v6, 0, -1, vcc
	v_cmp_le_u32_e32 vcc, s30, v0
	v_cndmask_b32_e64 v0, 0, -1, vcc
	v_cmp_eq_u32_e32 vcc, s31, v1
	v_cndmask_b32_e32 v0, v6, v0, vcc
	v_cmp_ne_u32_e32 vcc, 0, v0
	v_cndmask_b32_e64 v1, v7, v5, s[0:1]
	v_cndmask_b32_e32 v1, v2, v1, vcc
	v_cndmask_b32_e32 v0, v3, v4, vcc
	v_xor_b32_e32 v1, s28, v1
	v_xor_b32_e32 v0, s29, v0
	v_mov_b32_e32 v2, s35
	v_subrev_co_u32_e32 v10, vcc, s28, v1
	v_subb_co_u32_e32 v11, vcc, v0, v2, vcc
.LBB137_5:                              ;   in Loop: Header=BB137_3 Depth=1
	s_andn2_saveexec_b64 s[0:1], s[26:27]
	s_cbranch_execz .LBB137_7
; %bb.6:                                ;   in Loop: Header=BB137_3 Depth=1
	s_sub_i32 s26, 0, s34
	v_mul_lo_u32 v0, s26, v13
	v_mul_hi_u32 v0, v13, v0
	v_add_u32_e32 v0, v13, v0
	v_mul_hi_u32 v0, v12, v0
	v_mul_lo_u32 v1, v0, s34
	v_sub_u32_e32 v1, v12, v1
	v_subrev_u32_e32 v2, s34, v1
	v_cmp_le_u32_e32 vcc, s34, v1
	v_cndmask_b32_e32 v1, v1, v2, vcc
	v_add_u32_e32 v2, 1, v0
	v_cndmask_b32_e32 v0, v0, v2, vcc
	v_add_u32_e32 v2, 1, v0
	v_cmp_le_u32_e32 vcc, s34, v1
	v_cndmask_b32_e32 v8, v0, v2, vcc
	v_pk_mov_b32 v[10:11], v[8:9], v[8:9] op_sel:[0,1]
.LBB137_7:                              ;   in Loop: Header=BB137_3 Depth=1
	s_or_b64 exec, exec, s[0:1]
	v_cmp_gt_i64_e32 vcc, s[2:3], v[10:11]
	s_mov_b64 s[26:27], -1
	s_and_saveexec_b64 s[0:1], vcc
	s_cbranch_execz .LBB137_2
; %bb.8:                                ;   in Loop: Header=BB137_3 Depth=1
	v_mul_lo_u32 v0, v10, s34
	v_sub_u32_e32 v0, v12, v0
	v_lshlrev_b32_e32 v8, 3, v0
	v_mul_lo_u32 v0, v10, s33
	v_add_lshl_u32 v14, v0, v8, 2
	buffer_load_dwordx4 v[4:7], v14, s[12:15], 0 offen
	buffer_load_dwordx4 v[0:3], v14, s[12:15], 16 offen
	v_mul_lo_u32 v14, v8, s2
	v_lshlrev_b64 v[10:11], 2, v[10:11]
	v_ashrrev_i32_e32 v15, 31, v14
	v_mov_b32_e32 v16, s9
	v_add_co_u32_e32 v17, vcc, s8, v10
	v_addc_co_u32_e32 v16, vcc, v16, v11, vcc
	v_lshlrev_b64 v[10:11], 2, v[14:15]
	v_add_co_u32_e32 v10, vcc, v17, v10
	v_addc_co_u32_e32 v11, vcc, v16, v11, vcc
	v_cmp_gt_i32_e32 vcc, s33, v8
	s_and_saveexec_b64 s[26:27], vcc
	s_cbranch_execz .LBB137_10
; %bb.9:                                ;   in Loop: Header=BB137_3 Depth=1
	s_waitcnt vmcnt(1)
	global_store_dword v[10:11], v4, off
.LBB137_10:                             ;   in Loop: Header=BB137_3 Depth=1
	s_or_b64 exec, exec, s[26:27]
	s_waitcnt vmcnt(1)
	v_or_b32_e32 v4, 1, v8
	v_cmp_gt_i32_e32 vcc, s33, v4
	s_and_saveexec_b64 s[26:27], vcc
	s_cbranch_execz .LBB137_12
; %bb.11:                               ;   in Loop: Header=BB137_3 Depth=1
	s_lshl_b64 s[28:29], s[2:3], 2
	v_mov_b32_e32 v4, s29
	v_add_co_u32_e32 v14, vcc, s28, v10
	v_addc_co_u32_e32 v15, vcc, v11, v4, vcc
	global_store_dword v[14:15], v5, off
.LBB137_12:                             ;   in Loop: Header=BB137_3 Depth=1
	s_or_b64 exec, exec, s[26:27]
	v_or_b32_e32 v4, 2, v8
	v_cmp_gt_i32_e32 vcc, s33, v4
	s_and_saveexec_b64 s[26:27], vcc
	s_cbranch_execz .LBB137_14
; %bb.13:                               ;   in Loop: Header=BB137_3 Depth=1
	v_mov_b32_e32 v5, s11
	v_add_co_u32_e32 v4, vcc, s10, v10
	v_addc_co_u32_e32 v5, vcc, v11, v5, vcc
	global_store_dword v[4:5], v6, off
.LBB137_14:                             ;   in Loop: Header=BB137_3 Depth=1
	s_or_b64 exec, exec, s[26:27]
	v_or_b32_e32 v4, 3, v8
	v_cmp_gt_i32_e32 vcc, s33, v4
	s_and_saveexec_b64 s[26:27], vcc
	s_cbranch_execz .LBB137_16
; %bb.15:                               ;   in Loop: Header=BB137_3 Depth=1
	v_mov_b32_e32 v5, s17
	v_add_co_u32_e32 v4, vcc, s16, v10
	v_addc_co_u32_e32 v5, vcc, v11, v5, vcc
	global_store_dword v[4:5], v7, off
.LBB137_16:                             ;   in Loop: Header=BB137_3 Depth=1
	s_or_b64 exec, exec, s[26:27]
	v_or_b32_e32 v4, 4, v8
	v_cmp_gt_i32_e32 vcc, s33, v4
	s_and_saveexec_b64 s[26:27], vcc
	s_cbranch_execz .LBB137_18
; %bb.17:                               ;   in Loop: Header=BB137_3 Depth=1
	v_mov_b32_e32 v5, s19
	v_add_co_u32_e32 v4, vcc, s18, v10
	v_addc_co_u32_e32 v5, vcc, v11, v5, vcc
	s_waitcnt vmcnt(0)
	global_store_dword v[4:5], v0, off
.LBB137_18:                             ;   in Loop: Header=BB137_3 Depth=1
	s_or_b64 exec, exec, s[26:27]
	s_waitcnt vmcnt(0)
	v_or_b32_e32 v0, 5, v8
	v_cmp_gt_i32_e32 vcc, s33, v0
	s_and_saveexec_b64 s[26:27], vcc
	s_cbranch_execz .LBB137_20
; %bb.19:                               ;   in Loop: Header=BB137_3 Depth=1
	v_mov_b32_e32 v0, s21
	v_add_co_u32_e32 v4, vcc, s20, v10
	v_addc_co_u32_e32 v5, vcc, v11, v0, vcc
	global_store_dword v[4:5], v1, off
.LBB137_20:                             ;   in Loop: Header=BB137_3 Depth=1
	s_or_b64 exec, exec, s[26:27]
	v_or_b32_e32 v0, 6, v8
	v_cmp_gt_i32_e32 vcc, s33, v0
	s_and_saveexec_b64 s[26:27], vcc
	s_cbranch_execz .LBB137_22
; %bb.21:                               ;   in Loop: Header=BB137_3 Depth=1
	v_mov_b32_e32 v1, s23
	v_add_co_u32_e32 v0, vcc, s22, v10
	v_addc_co_u32_e32 v1, vcc, v11, v1, vcc
	global_store_dword v[0:1], v2, off
.LBB137_22:                             ;   in Loop: Header=BB137_3 Depth=1
	s_or_b64 exec, exec, s[26:27]
	v_or_b32_e32 v0, 7, v8
	v_cmp_gt_i32_e32 vcc, s33, v0
	s_and_saveexec_b64 s[26:27], vcc
	s_cbranch_execz .LBB137_1
; %bb.23:                               ;   in Loop: Header=BB137_3 Depth=1
	v_mov_b32_e32 v1, s25
	v_add_co_u32_e32 v0, vcc, s24, v10
	v_addc_co_u32_e32 v1, vcc, v11, v1, vcc
	global_store_dword v[0:1], v3, off
	s_branch .LBB137_1
.LBB137_24:
	s_endpgm
	.section	.rodata,"a",@progbits
	.p2align	6, 0x0
	.amdhsa_kernel _ZN5aiter24partial_transpose_kernelIfLi256ELi8ELi10000EEEvPT_S2_PKii
		.amdhsa_group_segment_fixed_size 0
		.amdhsa_private_segment_fixed_size 0
		.amdhsa_kernarg_size 288
		.amdhsa_user_sgpr_count 6
		.amdhsa_user_sgpr_private_segment_buffer 1
		.amdhsa_user_sgpr_dispatch_ptr 0
		.amdhsa_user_sgpr_queue_ptr 0
		.amdhsa_user_sgpr_kernarg_segment_ptr 1
		.amdhsa_user_sgpr_dispatch_id 0
		.amdhsa_user_sgpr_flat_scratch_init 0
		.amdhsa_user_sgpr_kernarg_preload_length 0
		.amdhsa_user_sgpr_kernarg_preload_offset 0
		.amdhsa_user_sgpr_private_segment_size 0
		.amdhsa_uses_dynamic_stack 0
		.amdhsa_system_sgpr_private_segment_wavefront_offset 0
		.amdhsa_system_sgpr_workgroup_id_x 1
		.amdhsa_system_sgpr_workgroup_id_y 0
		.amdhsa_system_sgpr_workgroup_id_z 0
		.amdhsa_system_sgpr_workgroup_info 0
		.amdhsa_system_vgpr_workitem_id 0
		.amdhsa_next_free_vgpr 18
		.amdhsa_next_free_sgpr 38
		.amdhsa_accum_offset 20
		.amdhsa_reserve_vcc 1
		.amdhsa_reserve_flat_scratch 0
		.amdhsa_float_round_mode_32 0
		.amdhsa_float_round_mode_16_64 0
		.amdhsa_float_denorm_mode_32 3
		.amdhsa_float_denorm_mode_16_64 3
		.amdhsa_dx10_clamp 1
		.amdhsa_ieee_mode 1
		.amdhsa_fp16_overflow 0
		.amdhsa_tg_split 0
		.amdhsa_exception_fp_ieee_invalid_op 0
		.amdhsa_exception_fp_denorm_src 0
		.amdhsa_exception_fp_ieee_div_zero 0
		.amdhsa_exception_fp_ieee_overflow 0
		.amdhsa_exception_fp_ieee_underflow 0
		.amdhsa_exception_fp_ieee_inexact 0
		.amdhsa_exception_int_div_zero 0
	.end_amdhsa_kernel
	.section	.text._ZN5aiter24partial_transpose_kernelIfLi256ELi8ELi10000EEEvPT_S2_PKii,"axG",@progbits,_ZN5aiter24partial_transpose_kernelIfLi256ELi8ELi10000EEEvPT_S2_PKii,comdat
.Lfunc_end137:
	.size	_ZN5aiter24partial_transpose_kernelIfLi256ELi8ELi10000EEEvPT_S2_PKii, .Lfunc_end137-_ZN5aiter24partial_transpose_kernelIfLi256ELi8ELi10000EEEvPT_S2_PKii
                                        ; -- End function
	.section	.AMDGPU.csdata,"",@progbits
; Kernel info:
; codeLenInByte = 1480
; NumSgprs: 42
; NumVgprs: 18
; NumAgprs: 0
; TotalNumVgprs: 18
; ScratchSize: 0
; MemoryBound: 0
; FloatMode: 240
; IeeeMode: 1
; LDSByteSize: 0 bytes/workgroup (compile time only)
; SGPRBlocks: 5
; VGPRBlocks: 2
; NumSGPRsForWavesPerEU: 42
; NumVGPRsForWavesPerEU: 18
; AccumOffset: 20
; Occupancy: 8
; WaveLimiterHint : 1
; COMPUTE_PGM_RSRC2:SCRATCH_EN: 0
; COMPUTE_PGM_RSRC2:USER_SGPR: 6
; COMPUTE_PGM_RSRC2:TRAP_HANDLER: 0
; COMPUTE_PGM_RSRC2:TGID_X_EN: 1
; COMPUTE_PGM_RSRC2:TGID_Y_EN: 0
; COMPUTE_PGM_RSRC2:TGID_Z_EN: 0
; COMPUTE_PGM_RSRC2:TIDIG_COMP_CNT: 0
; COMPUTE_PGM_RSRC3_GFX90A:ACCUM_OFFSET: 4
; COMPUTE_PGM_RSRC3_GFX90A:TG_SPLIT: 0
	.section	.text._ZN5aiter24partial_transpose_kernelIDF16_Li256ELi8ELi10000EEEvPT_S2_PKii,"axG",@progbits,_ZN5aiter24partial_transpose_kernelIDF16_Li256ELi8ELi10000EEEvPT_S2_PKii,comdat
	.protected	_ZN5aiter24partial_transpose_kernelIDF16_Li256ELi8ELi10000EEEvPT_S2_PKii ; -- Begin function _ZN5aiter24partial_transpose_kernelIDF16_Li256ELi8ELi10000EEEvPT_S2_PKii
	.globl	_ZN5aiter24partial_transpose_kernelIDF16_Li256ELi8ELi10000EEEvPT_S2_PKii
	.p2align	8
	.type	_ZN5aiter24partial_transpose_kernelIDF16_Li256ELi8ELi10000EEEvPT_S2_PKii,@function
_ZN5aiter24partial_transpose_kernelIDF16_Li256ELi8ELi10000EEEvPT_S2_PKii: ; @_ZN5aiter24partial_transpose_kernelIDF16_Li256ELi8ELi10000EEEvPT_S2_PKii
; %bb.0:
	s_load_dwordx2 s[0:1], s[4:5], 0x10
	s_load_dword s33, s[4:5], 0x18
	s_load_dwordx4 s[8:11], s[4:5], 0x0
	v_lshl_add_u32 v8, s6, 8, v0
	s_mov_b32 s15, 0x20000
	s_waitcnt lgkmcnt(0)
	s_load_dword s2, s[0:1], 0x0
	s_load_dword s7, s[4:5], 0x20
	s_add_i32 s0, s33, 7
	s_ashr_i32 s1, s0, 31
	s_lshr_b32 s1, s1, 29
	s_add_i32 s0, s0, s1
	s_ashr_i32 s34, s0, 3
	v_cvt_f32_u32_e32 v0, s34
	s_waitcnt lgkmcnt(0)
	s_mul_i32 s0, s2, s33
	s_add_i32 s0, s0, 1
	s_lshr_b32 s1, s0, 31
	v_rcp_iflag_f32_e32 v0, v0
	s_add_i32 s0, s0, s1
	s_lshl_b32 s0, s0, 1
	s_and_b32 s14, s0, -4
	v_mul_f32_e32 v0, 0x4f7ffffe, v0
	v_cvt_u32_f32_e32 v9, v0
	s_lshl_b32 s0, s2, 1
	s_mul_i32 s16, s2, 3
	s_lshl_b32 s18, s2, 2
	s_mul_i32 s20, s2, 5
	s_mul_i32 s22, s2, 6
	;; [unrolled: 1-line block ×3, first 2 shown]
	s_and_b32 s11, s11, 0xffff
	s_ashr_i32 s35, s34, 31
	s_ashr_i32 s1, s0, 31
	;; [unrolled: 1-line block ×8, first 2 shown]
	s_mov_b64 s[12:13], s[10:11]
	s_lshl_b32 s36, s7, 8
	s_movk_i32 s37, 0x2710
	s_mov_b64 s[4:5], 0
	v_mov_b32_e32 v5, 0
	s_mov_b32 s6, 0
	s_mov_b32 s7, s35
	s_lshl_b64 s[10:11], s[0:1], 1
	s_lshl_b64 s[16:17], s[16:17], 1
	;; [unrolled: 1-line block ×6, first 2 shown]
	s_branch .LBB138_3
.LBB138_1:                              ;   in Loop: Header=BB138_3 Depth=1
	s_or_b64 exec, exec, s[26:27]
	s_add_i32 s37, s37, -1
	s_cmp_eq_u32 s37, 0
	s_cselect_b64 s[26:27], -1, 0
	v_add_u32_e32 v8, s36, v8
	s_orn2_b64 s[26:27], s[26:27], exec
.LBB138_2:                              ;   in Loop: Header=BB138_3 Depth=1
	s_or_b64 exec, exec, s[0:1]
	s_and_b64 s[0:1], exec, s[26:27]
	s_or_b64 s[4:5], s[0:1], s[4:5]
	s_andn2_b64 exec, exec, s[4:5]
	s_cbranch_execz .LBB138_24
.LBB138_3:                              ; =>This Inner Loop Header: Depth=1
	s_cmp_lg_u64 s[6:7], 0
	s_cselect_b64 s[0:1], -1, 0
                                        ; implicit-def: $vgpr6_vgpr7
	s_and_saveexec_b64 s[26:27], s[0:1]
	s_xor_b64 s[26:27], exec, s[26:27]
	s_cbranch_execz .LBB138_5
; %bb.4:                                ;   in Loop: Header=BB138_3 Depth=1
	s_add_u32 s0, s34, s35
	s_mov_b32 s28, s35
	s_mov_b32 s29, s35
	s_addc_u32 s1, s35, s35
	s_xor_b64 s[30:31], s[0:1], s[28:29]
	v_cvt_f32_u32_e32 v0, s30
	v_cvt_f32_u32_e32 v1, s31
	s_sub_u32 s0, 0, s30
	s_subb_u32 s1, 0, s31
	v_mac_f32_e32 v0, 0x4f800000, v1
	v_rcp_f32_e32 v0, v0
	v_mul_f32_e32 v0, 0x5f7ffffc, v0
	v_mul_f32_e32 v1, 0x2f800000, v0
	v_trunc_f32_e32 v1, v1
	v_mac_f32_e32 v0, 0xcf800000, v1
	v_cvt_u32_f32_e32 v1, v1
	v_cvt_u32_f32_e32 v0, v0
	v_mul_lo_u32 v2, s0, v1
	v_mul_hi_u32 v4, s0, v0
	v_mul_lo_u32 v3, s1, v0
	v_add_u32_e32 v2, v4, v2
	v_mul_lo_u32 v6, s0, v0
	v_add_u32_e32 v2, v2, v3
	v_mul_lo_u32 v4, v0, v2
	v_mul_hi_u32 v7, v0, v6
	v_mul_hi_u32 v3, v0, v2
	v_add_co_u32_e32 v4, vcc, v7, v4
	v_addc_co_u32_e32 v3, vcc, 0, v3, vcc
	v_mul_hi_u32 v10, v1, v6
	v_mul_lo_u32 v6, v1, v6
	v_add_co_u32_e32 v4, vcc, v4, v6
	v_mul_hi_u32 v7, v1, v2
	v_addc_co_u32_e32 v3, vcc, v3, v10, vcc
	v_addc_co_u32_e32 v4, vcc, 0, v7, vcc
	v_mul_lo_u32 v2, v1, v2
	v_add_co_u32_e32 v2, vcc, v3, v2
	v_addc_co_u32_e32 v3, vcc, 0, v4, vcc
	v_add_co_u32_e32 v0, vcc, v0, v2
	v_addc_co_u32_e32 v1, vcc, v1, v3, vcc
	v_mul_lo_u32 v2, s0, v1
	v_mul_hi_u32 v3, s0, v0
	v_add_u32_e32 v2, v3, v2
	v_mul_lo_u32 v3, s1, v0
	v_add_u32_e32 v2, v2, v3
	v_mul_lo_u32 v4, s0, v0
	v_mul_hi_u32 v6, v1, v4
	v_mul_lo_u32 v7, v1, v4
	v_mul_lo_u32 v11, v0, v2
	v_mul_hi_u32 v4, v0, v4
	v_mul_hi_u32 v10, v0, v2
	v_add_co_u32_e32 v4, vcc, v4, v11
	v_addc_co_u32_e32 v10, vcc, 0, v10, vcc
	v_add_co_u32_e32 v4, vcc, v4, v7
	v_mul_hi_u32 v3, v1, v2
	v_addc_co_u32_e32 v4, vcc, v10, v6, vcc
	v_addc_co_u32_e32 v3, vcc, 0, v3, vcc
	v_mul_lo_u32 v2, v1, v2
	v_add_co_u32_e32 v2, vcc, v4, v2
	v_addc_co_u32_e32 v3, vcc, 0, v3, vcc
	v_add_co_u32_e32 v2, vcc, v0, v2
	v_addc_co_u32_e32 v3, vcc, v1, v3, vcc
	v_mad_u64_u32 v[0:1], s[0:1], v8, v3, 0
	v_mul_hi_u32 v4, v8, v2
	v_add_co_u32_e32 v4, vcc, v4, v0
	v_addc_co_u32_e32 v6, vcc, 0, v1, vcc
	v_mad_u64_u32 v[0:1], s[0:1], 0, v3, 0
	v_mad_u64_u32 v[2:3], s[0:1], 0, v2, 0
	v_add_co_u32_e32 v2, vcc, v4, v2
	v_addc_co_u32_e32 v2, vcc, v6, v3, vcc
	v_addc_co_u32_e32 v1, vcc, 0, v1, vcc
	v_add_co_u32_e32 v2, vcc, v2, v0
	v_addc_co_u32_e32 v3, vcc, 0, v1, vcc
	v_mul_lo_u32 v4, s31, v2
	v_mul_lo_u32 v6, s30, v3
	v_mad_u64_u32 v[0:1], s[0:1], s30, v2, 0
	v_add3_u32 v1, v1, v6, v4
	v_sub_u32_e32 v4, 0, v1
	v_mov_b32_e32 v6, s31
	v_sub_co_u32_e32 v0, vcc, v8, v0
	v_subb_co_u32_e64 v4, s[0:1], v4, v6, vcc
	v_subrev_co_u32_e64 v6, s[0:1], s30, v0
	v_subbrev_co_u32_e64 v4, s[0:1], 0, v4, s[0:1]
	v_cmp_le_u32_e64 s[0:1], s31, v4
	v_cndmask_b32_e64 v7, 0, -1, s[0:1]
	v_cmp_le_u32_e64 s[0:1], s30, v6
	v_cndmask_b32_e64 v6, 0, -1, s[0:1]
	v_cmp_eq_u32_e64 s[0:1], s31, v4
	v_cndmask_b32_e64 v4, v7, v6, s[0:1]
	v_add_co_u32_e64 v6, s[0:1], 2, v2
	v_addc_co_u32_e64 v7, s[0:1], 0, v3, s[0:1]
	v_add_co_u32_e64 v10, s[0:1], 1, v2
	v_addc_co_u32_e64 v11, s[0:1], 0, v3, s[0:1]
	v_subb_co_u32_e32 v1, vcc, 0, v1, vcc
	v_cmp_ne_u32_e64 s[0:1], 0, v4
	v_cmp_le_u32_e32 vcc, s31, v1
	v_cndmask_b32_e64 v4, v11, v7, s[0:1]
	v_cndmask_b32_e64 v7, 0, -1, vcc
	v_cmp_le_u32_e32 vcc, s30, v0
	v_cndmask_b32_e64 v0, 0, -1, vcc
	v_cmp_eq_u32_e32 vcc, s31, v1
	v_cndmask_b32_e32 v0, v7, v0, vcc
	v_cmp_ne_u32_e32 vcc, 0, v0
	v_cndmask_b32_e64 v1, v10, v6, s[0:1]
	v_cndmask_b32_e32 v1, v2, v1, vcc
	v_cndmask_b32_e32 v0, v3, v4, vcc
	v_xor_b32_e32 v1, s28, v1
	v_xor_b32_e32 v0, s29, v0
	v_mov_b32_e32 v2, s35
	v_subrev_co_u32_e32 v6, vcc, s28, v1
	v_subb_co_u32_e32 v7, vcc, v0, v2, vcc
.LBB138_5:                              ;   in Loop: Header=BB138_3 Depth=1
	s_andn2_saveexec_b64 s[0:1], s[26:27]
	s_cbranch_execz .LBB138_7
; %bb.6:                                ;   in Loop: Header=BB138_3 Depth=1
	s_sub_i32 s26, 0, s34
	v_mul_lo_u32 v0, s26, v9
	v_mul_hi_u32 v0, v9, v0
	v_add_u32_e32 v0, v9, v0
	v_mul_hi_u32 v0, v8, v0
	v_mul_lo_u32 v1, v0, s34
	v_sub_u32_e32 v1, v8, v1
	v_subrev_u32_e32 v2, s34, v1
	v_cmp_le_u32_e32 vcc, s34, v1
	v_cndmask_b32_e32 v1, v1, v2, vcc
	v_add_u32_e32 v2, 1, v0
	v_cndmask_b32_e32 v0, v0, v2, vcc
	v_add_u32_e32 v2, 1, v0
	v_cmp_le_u32_e32 vcc, s34, v1
	v_cndmask_b32_e32 v4, v0, v2, vcc
	v_pk_mov_b32 v[6:7], v[4:5], v[4:5] op_sel:[0,1]
.LBB138_7:                              ;   in Loop: Header=BB138_3 Depth=1
	s_or_b64 exec, exec, s[0:1]
	v_cmp_gt_i64_e32 vcc, s[2:3], v[6:7]
	s_mov_b64 s[26:27], -1
	s_and_saveexec_b64 s[0:1], vcc
	s_cbranch_execz .LBB138_2
; %bb.8:                                ;   in Loop: Header=BB138_3 Depth=1
	v_mul_lo_u32 v0, v6, s34
	v_sub_u32_e32 v0, v8, v0
	v_lshlrev_b32_e32 v4, 3, v0
	v_mul_lo_u32 v0, v6, s33
	v_add_lshl_u32 v0, v0, v4, 1
	buffer_load_dwordx4 v[0:3], v0, s[12:15], 0 offen
	v_mul_lo_u32 v10, v4, s2
	v_lshlrev_b64 v[6:7], 1, v[6:7]
	v_ashrrev_i32_e32 v11, 31, v10
	v_mov_b32_e32 v12, s9
	v_add_co_u32_e32 v13, vcc, s8, v6
	v_addc_co_u32_e32 v12, vcc, v12, v7, vcc
	v_lshlrev_b64 v[6:7], 1, v[10:11]
	v_add_co_u32_e32 v6, vcc, v13, v6
	v_addc_co_u32_e32 v7, vcc, v12, v7, vcc
	v_cmp_gt_i32_e32 vcc, s33, v4
	s_and_saveexec_b64 s[26:27], vcc
	s_cbranch_execz .LBB138_10
; %bb.9:                                ;   in Loop: Header=BB138_3 Depth=1
	s_waitcnt vmcnt(0)
	global_store_short v[6:7], v0, off
.LBB138_10:                             ;   in Loop: Header=BB138_3 Depth=1
	s_or_b64 exec, exec, s[26:27]
	v_or_b32_e32 v10, 1, v4
	v_cmp_gt_i32_e32 vcc, s33, v10
	s_and_saveexec_b64 s[26:27], vcc
	s_cbranch_execz .LBB138_12
; %bb.11:                               ;   in Loop: Header=BB138_3 Depth=1
	s_lshl_b64 s[28:29], s[2:3], 1
	v_mov_b32_e32 v11, s29
	v_add_co_u32_e32 v10, vcc, s28, v6
	v_addc_co_u32_e32 v11, vcc, v7, v11, vcc
	s_waitcnt vmcnt(0)
	global_store_short_d16_hi v[10:11], v0, off
.LBB138_12:                             ;   in Loop: Header=BB138_3 Depth=1
	s_or_b64 exec, exec, s[26:27]
	s_waitcnt vmcnt(0)
	v_or_b32_e32 v0, 2, v4
	v_cmp_gt_i32_e32 vcc, s33, v0
	s_and_saveexec_b64 s[26:27], vcc
	s_cbranch_execz .LBB138_14
; %bb.13:                               ;   in Loop: Header=BB138_3 Depth=1
	v_mov_b32_e32 v0, s11
	v_add_co_u32_e32 v10, vcc, s10, v6
	v_addc_co_u32_e32 v11, vcc, v7, v0, vcc
	global_store_short v[10:11], v1, off
.LBB138_14:                             ;   in Loop: Header=BB138_3 Depth=1
	s_or_b64 exec, exec, s[26:27]
	v_or_b32_e32 v0, 3, v4
	v_cmp_gt_i32_e32 vcc, s33, v0
	s_and_saveexec_b64 s[26:27], vcc
	s_cbranch_execz .LBB138_16
; %bb.15:                               ;   in Loop: Header=BB138_3 Depth=1
	v_mov_b32_e32 v0, s17
	v_add_co_u32_e32 v10, vcc, s16, v6
	v_addc_co_u32_e32 v11, vcc, v7, v0, vcc
	global_store_short_d16_hi v[10:11], v1, off
.LBB138_16:                             ;   in Loop: Header=BB138_3 Depth=1
	s_or_b64 exec, exec, s[26:27]
	v_or_b32_e32 v0, 4, v4
	v_cmp_gt_i32_e32 vcc, s33, v0
	s_and_saveexec_b64 s[26:27], vcc
	s_cbranch_execz .LBB138_18
; %bb.17:                               ;   in Loop: Header=BB138_3 Depth=1
	v_mov_b32_e32 v1, s19
	v_add_co_u32_e32 v0, vcc, s18, v6
	v_addc_co_u32_e32 v1, vcc, v7, v1, vcc
	global_store_short v[0:1], v2, off
.LBB138_18:                             ;   in Loop: Header=BB138_3 Depth=1
	s_or_b64 exec, exec, s[26:27]
	v_or_b32_e32 v0, 5, v4
	v_cmp_gt_i32_e32 vcc, s33, v0
	s_and_saveexec_b64 s[26:27], vcc
	s_cbranch_execz .LBB138_20
; %bb.19:                               ;   in Loop: Header=BB138_3 Depth=1
	v_mov_b32_e32 v1, s21
	v_add_co_u32_e32 v0, vcc, s20, v6
	v_addc_co_u32_e32 v1, vcc, v7, v1, vcc
	global_store_short_d16_hi v[0:1], v2, off
.LBB138_20:                             ;   in Loop: Header=BB138_3 Depth=1
	s_or_b64 exec, exec, s[26:27]
	v_or_b32_e32 v0, 6, v4
	v_cmp_gt_i32_e32 vcc, s33, v0
	s_and_saveexec_b64 s[26:27], vcc
	s_cbranch_execz .LBB138_22
; %bb.21:                               ;   in Loop: Header=BB138_3 Depth=1
	v_mov_b32_e32 v1, s23
	v_add_co_u32_e32 v0, vcc, s22, v6
	v_addc_co_u32_e32 v1, vcc, v7, v1, vcc
	global_store_short v[0:1], v3, off
.LBB138_22:                             ;   in Loop: Header=BB138_3 Depth=1
	s_or_b64 exec, exec, s[26:27]
	v_or_b32_e32 v0, 7, v4
	v_cmp_gt_i32_e32 vcc, s33, v0
	s_and_saveexec_b64 s[26:27], vcc
	s_cbranch_execz .LBB138_1
; %bb.23:                               ;   in Loop: Header=BB138_3 Depth=1
	v_mov_b32_e32 v1, s25
	v_add_co_u32_e32 v0, vcc, s24, v6
	v_addc_co_u32_e32 v1, vcc, v7, v1, vcc
	global_store_short_d16_hi v[0:1], v3, off
	s_branch .LBB138_1
.LBB138_24:
	s_endpgm
	.section	.rodata,"a",@progbits
	.p2align	6, 0x0
	.amdhsa_kernel _ZN5aiter24partial_transpose_kernelIDF16_Li256ELi8ELi10000EEEvPT_S2_PKii
		.amdhsa_group_segment_fixed_size 0
		.amdhsa_private_segment_fixed_size 0
		.amdhsa_kernarg_size 288
		.amdhsa_user_sgpr_count 6
		.amdhsa_user_sgpr_private_segment_buffer 1
		.amdhsa_user_sgpr_dispatch_ptr 0
		.amdhsa_user_sgpr_queue_ptr 0
		.amdhsa_user_sgpr_kernarg_segment_ptr 1
		.amdhsa_user_sgpr_dispatch_id 0
		.amdhsa_user_sgpr_flat_scratch_init 0
		.amdhsa_user_sgpr_kernarg_preload_length 0
		.amdhsa_user_sgpr_kernarg_preload_offset 0
		.amdhsa_user_sgpr_private_segment_size 0
		.amdhsa_uses_dynamic_stack 0
		.amdhsa_system_sgpr_private_segment_wavefront_offset 0
		.amdhsa_system_sgpr_workgroup_id_x 1
		.amdhsa_system_sgpr_workgroup_id_y 0
		.amdhsa_system_sgpr_workgroup_id_z 0
		.amdhsa_system_sgpr_workgroup_info 0
		.amdhsa_system_vgpr_workitem_id 0
		.amdhsa_next_free_vgpr 14
		.amdhsa_next_free_sgpr 38
		.amdhsa_accum_offset 16
		.amdhsa_reserve_vcc 1
		.amdhsa_reserve_flat_scratch 0
		.amdhsa_float_round_mode_32 0
		.amdhsa_float_round_mode_16_64 0
		.amdhsa_float_denorm_mode_32 3
		.amdhsa_float_denorm_mode_16_64 3
		.amdhsa_dx10_clamp 1
		.amdhsa_ieee_mode 1
		.amdhsa_fp16_overflow 0
		.amdhsa_tg_split 0
		.amdhsa_exception_fp_ieee_invalid_op 0
		.amdhsa_exception_fp_denorm_src 0
		.amdhsa_exception_fp_ieee_div_zero 0
		.amdhsa_exception_fp_ieee_overflow 0
		.amdhsa_exception_fp_ieee_underflow 0
		.amdhsa_exception_fp_ieee_inexact 0
		.amdhsa_exception_int_div_zero 0
	.end_amdhsa_kernel
	.section	.text._ZN5aiter24partial_transpose_kernelIDF16_Li256ELi8ELi10000EEEvPT_S2_PKii,"axG",@progbits,_ZN5aiter24partial_transpose_kernelIDF16_Li256ELi8ELi10000EEEvPT_S2_PKii,comdat
.Lfunc_end138:
	.size	_ZN5aiter24partial_transpose_kernelIDF16_Li256ELi8ELi10000EEEvPT_S2_PKii, .Lfunc_end138-_ZN5aiter24partial_transpose_kernelIDF16_Li256ELi8ELi10000EEEvPT_S2_PKii
                                        ; -- End function
	.section	.AMDGPU.csdata,"",@progbits
; Kernel info:
; codeLenInByte = 1484
; NumSgprs: 42
; NumVgprs: 14
; NumAgprs: 0
; TotalNumVgprs: 14
; ScratchSize: 0
; MemoryBound: 0
; FloatMode: 240
; IeeeMode: 1
; LDSByteSize: 0 bytes/workgroup (compile time only)
; SGPRBlocks: 5
; VGPRBlocks: 1
; NumSGPRsForWavesPerEU: 42
; NumVGPRsForWavesPerEU: 14
; AccumOffset: 16
; Occupancy: 8
; WaveLimiterHint : 1
; COMPUTE_PGM_RSRC2:SCRATCH_EN: 0
; COMPUTE_PGM_RSRC2:USER_SGPR: 6
; COMPUTE_PGM_RSRC2:TRAP_HANDLER: 0
; COMPUTE_PGM_RSRC2:TGID_X_EN: 1
; COMPUTE_PGM_RSRC2:TGID_Y_EN: 0
; COMPUTE_PGM_RSRC2:TGID_Z_EN: 0
; COMPUTE_PGM_RSRC2:TIDIG_COMP_CNT: 0
; COMPUTE_PGM_RSRC3_GFX90A:ACCUM_OFFSET: 3
; COMPUTE_PGM_RSRC3_GFX90A:TG_SPLIT: 0
	.section	.text._ZN5aiter24partial_transpose_kernelItLi256ELi8ELi10000EEEvPT_S2_PKii,"axG",@progbits,_ZN5aiter24partial_transpose_kernelItLi256ELi8ELi10000EEEvPT_S2_PKii,comdat
	.protected	_ZN5aiter24partial_transpose_kernelItLi256ELi8ELi10000EEEvPT_S2_PKii ; -- Begin function _ZN5aiter24partial_transpose_kernelItLi256ELi8ELi10000EEEvPT_S2_PKii
	.globl	_ZN5aiter24partial_transpose_kernelItLi256ELi8ELi10000EEEvPT_S2_PKii
	.p2align	8
	.type	_ZN5aiter24partial_transpose_kernelItLi256ELi8ELi10000EEEvPT_S2_PKii,@function
_ZN5aiter24partial_transpose_kernelItLi256ELi8ELi10000EEEvPT_S2_PKii: ; @_ZN5aiter24partial_transpose_kernelItLi256ELi8ELi10000EEEvPT_S2_PKii
; %bb.0:
	s_load_dwordx2 s[0:1], s[4:5], 0x10
	s_load_dword s33, s[4:5], 0x18
	s_load_dwordx4 s[8:11], s[4:5], 0x0
	v_lshl_add_u32 v8, s6, 8, v0
	s_mov_b32 s15, 0x20000
	s_waitcnt lgkmcnt(0)
	s_load_dword s2, s[0:1], 0x0
	s_load_dword s7, s[4:5], 0x20
	s_add_i32 s0, s33, 7
	s_ashr_i32 s1, s0, 31
	s_lshr_b32 s1, s1, 29
	s_add_i32 s0, s0, s1
	s_ashr_i32 s34, s0, 3
	v_cvt_f32_u32_e32 v0, s34
	s_waitcnt lgkmcnt(0)
	s_mul_i32 s0, s2, s33
	s_add_i32 s0, s0, 1
	s_lshr_b32 s1, s0, 31
	v_rcp_iflag_f32_e32 v0, v0
	s_add_i32 s0, s0, s1
	s_lshl_b32 s0, s0, 1
	s_and_b32 s14, s0, -4
	v_mul_f32_e32 v0, 0x4f7ffffe, v0
	v_cvt_u32_f32_e32 v9, v0
	s_lshl_b32 s0, s2, 1
	s_mul_i32 s16, s2, 3
	s_lshl_b32 s18, s2, 2
	s_mul_i32 s20, s2, 5
	s_mul_i32 s22, s2, 6
	;; [unrolled: 1-line block ×3, first 2 shown]
	s_and_b32 s11, s11, 0xffff
	s_ashr_i32 s35, s34, 31
	s_ashr_i32 s1, s0, 31
	;; [unrolled: 1-line block ×8, first 2 shown]
	s_mov_b64 s[12:13], s[10:11]
	s_lshl_b32 s36, s7, 8
	s_movk_i32 s37, 0x2710
	s_mov_b64 s[4:5], 0
	v_mov_b32_e32 v5, 0
	s_mov_b32 s6, 0
	s_mov_b32 s7, s35
	s_lshl_b64 s[10:11], s[0:1], 1
	s_lshl_b64 s[16:17], s[16:17], 1
	;; [unrolled: 1-line block ×6, first 2 shown]
	s_branch .LBB139_3
.LBB139_1:                              ;   in Loop: Header=BB139_3 Depth=1
	s_or_b64 exec, exec, s[26:27]
	s_add_i32 s37, s37, -1
	s_cmp_eq_u32 s37, 0
	s_cselect_b64 s[26:27], -1, 0
	v_add_u32_e32 v8, s36, v8
	s_orn2_b64 s[26:27], s[26:27], exec
.LBB139_2:                              ;   in Loop: Header=BB139_3 Depth=1
	s_or_b64 exec, exec, s[0:1]
	s_and_b64 s[0:1], exec, s[26:27]
	s_or_b64 s[4:5], s[0:1], s[4:5]
	s_andn2_b64 exec, exec, s[4:5]
	s_cbranch_execz .LBB139_24
.LBB139_3:                              ; =>This Inner Loop Header: Depth=1
	s_cmp_lg_u64 s[6:7], 0
	s_cselect_b64 s[0:1], -1, 0
                                        ; implicit-def: $vgpr6_vgpr7
	s_and_saveexec_b64 s[26:27], s[0:1]
	s_xor_b64 s[26:27], exec, s[26:27]
	s_cbranch_execz .LBB139_5
; %bb.4:                                ;   in Loop: Header=BB139_3 Depth=1
	s_add_u32 s0, s34, s35
	s_mov_b32 s28, s35
	s_mov_b32 s29, s35
	s_addc_u32 s1, s35, s35
	s_xor_b64 s[30:31], s[0:1], s[28:29]
	v_cvt_f32_u32_e32 v0, s30
	v_cvt_f32_u32_e32 v1, s31
	s_sub_u32 s0, 0, s30
	s_subb_u32 s1, 0, s31
	v_mac_f32_e32 v0, 0x4f800000, v1
	v_rcp_f32_e32 v0, v0
	v_mul_f32_e32 v0, 0x5f7ffffc, v0
	v_mul_f32_e32 v1, 0x2f800000, v0
	v_trunc_f32_e32 v1, v1
	v_mac_f32_e32 v0, 0xcf800000, v1
	v_cvt_u32_f32_e32 v1, v1
	v_cvt_u32_f32_e32 v0, v0
	v_mul_lo_u32 v2, s0, v1
	v_mul_hi_u32 v4, s0, v0
	v_mul_lo_u32 v3, s1, v0
	v_add_u32_e32 v2, v4, v2
	v_mul_lo_u32 v6, s0, v0
	v_add_u32_e32 v2, v2, v3
	v_mul_lo_u32 v4, v0, v2
	v_mul_hi_u32 v7, v0, v6
	v_mul_hi_u32 v3, v0, v2
	v_add_co_u32_e32 v4, vcc, v7, v4
	v_addc_co_u32_e32 v3, vcc, 0, v3, vcc
	v_mul_hi_u32 v10, v1, v6
	v_mul_lo_u32 v6, v1, v6
	v_add_co_u32_e32 v4, vcc, v4, v6
	v_mul_hi_u32 v7, v1, v2
	v_addc_co_u32_e32 v3, vcc, v3, v10, vcc
	v_addc_co_u32_e32 v4, vcc, 0, v7, vcc
	v_mul_lo_u32 v2, v1, v2
	v_add_co_u32_e32 v2, vcc, v3, v2
	v_addc_co_u32_e32 v3, vcc, 0, v4, vcc
	v_add_co_u32_e32 v0, vcc, v0, v2
	v_addc_co_u32_e32 v1, vcc, v1, v3, vcc
	v_mul_lo_u32 v2, s0, v1
	v_mul_hi_u32 v3, s0, v0
	v_add_u32_e32 v2, v3, v2
	v_mul_lo_u32 v3, s1, v0
	v_add_u32_e32 v2, v2, v3
	v_mul_lo_u32 v4, s0, v0
	v_mul_hi_u32 v6, v1, v4
	v_mul_lo_u32 v7, v1, v4
	v_mul_lo_u32 v11, v0, v2
	v_mul_hi_u32 v4, v0, v4
	v_mul_hi_u32 v10, v0, v2
	v_add_co_u32_e32 v4, vcc, v4, v11
	v_addc_co_u32_e32 v10, vcc, 0, v10, vcc
	v_add_co_u32_e32 v4, vcc, v4, v7
	v_mul_hi_u32 v3, v1, v2
	v_addc_co_u32_e32 v4, vcc, v10, v6, vcc
	v_addc_co_u32_e32 v3, vcc, 0, v3, vcc
	v_mul_lo_u32 v2, v1, v2
	v_add_co_u32_e32 v2, vcc, v4, v2
	v_addc_co_u32_e32 v3, vcc, 0, v3, vcc
	v_add_co_u32_e32 v2, vcc, v0, v2
	v_addc_co_u32_e32 v3, vcc, v1, v3, vcc
	v_mad_u64_u32 v[0:1], s[0:1], v8, v3, 0
	v_mul_hi_u32 v4, v8, v2
	v_add_co_u32_e32 v4, vcc, v4, v0
	v_addc_co_u32_e32 v6, vcc, 0, v1, vcc
	v_mad_u64_u32 v[0:1], s[0:1], 0, v3, 0
	v_mad_u64_u32 v[2:3], s[0:1], 0, v2, 0
	v_add_co_u32_e32 v2, vcc, v4, v2
	v_addc_co_u32_e32 v2, vcc, v6, v3, vcc
	v_addc_co_u32_e32 v1, vcc, 0, v1, vcc
	v_add_co_u32_e32 v2, vcc, v2, v0
	v_addc_co_u32_e32 v3, vcc, 0, v1, vcc
	v_mul_lo_u32 v4, s31, v2
	v_mul_lo_u32 v6, s30, v3
	v_mad_u64_u32 v[0:1], s[0:1], s30, v2, 0
	v_add3_u32 v1, v1, v6, v4
	v_sub_u32_e32 v4, 0, v1
	v_mov_b32_e32 v6, s31
	v_sub_co_u32_e32 v0, vcc, v8, v0
	v_subb_co_u32_e64 v4, s[0:1], v4, v6, vcc
	v_subrev_co_u32_e64 v6, s[0:1], s30, v0
	v_subbrev_co_u32_e64 v4, s[0:1], 0, v4, s[0:1]
	v_cmp_le_u32_e64 s[0:1], s31, v4
	v_cndmask_b32_e64 v7, 0, -1, s[0:1]
	v_cmp_le_u32_e64 s[0:1], s30, v6
	v_cndmask_b32_e64 v6, 0, -1, s[0:1]
	v_cmp_eq_u32_e64 s[0:1], s31, v4
	v_cndmask_b32_e64 v4, v7, v6, s[0:1]
	v_add_co_u32_e64 v6, s[0:1], 2, v2
	v_addc_co_u32_e64 v7, s[0:1], 0, v3, s[0:1]
	v_add_co_u32_e64 v10, s[0:1], 1, v2
	v_addc_co_u32_e64 v11, s[0:1], 0, v3, s[0:1]
	v_subb_co_u32_e32 v1, vcc, 0, v1, vcc
	v_cmp_ne_u32_e64 s[0:1], 0, v4
	v_cmp_le_u32_e32 vcc, s31, v1
	v_cndmask_b32_e64 v4, v11, v7, s[0:1]
	v_cndmask_b32_e64 v7, 0, -1, vcc
	v_cmp_le_u32_e32 vcc, s30, v0
	v_cndmask_b32_e64 v0, 0, -1, vcc
	v_cmp_eq_u32_e32 vcc, s31, v1
	v_cndmask_b32_e32 v0, v7, v0, vcc
	v_cmp_ne_u32_e32 vcc, 0, v0
	v_cndmask_b32_e64 v1, v10, v6, s[0:1]
	v_cndmask_b32_e32 v1, v2, v1, vcc
	v_cndmask_b32_e32 v0, v3, v4, vcc
	v_xor_b32_e32 v1, s28, v1
	v_xor_b32_e32 v0, s29, v0
	v_mov_b32_e32 v2, s35
	v_subrev_co_u32_e32 v6, vcc, s28, v1
	v_subb_co_u32_e32 v7, vcc, v0, v2, vcc
.LBB139_5:                              ;   in Loop: Header=BB139_3 Depth=1
	s_andn2_saveexec_b64 s[0:1], s[26:27]
	s_cbranch_execz .LBB139_7
; %bb.6:                                ;   in Loop: Header=BB139_3 Depth=1
	s_sub_i32 s26, 0, s34
	v_mul_lo_u32 v0, s26, v9
	v_mul_hi_u32 v0, v9, v0
	v_add_u32_e32 v0, v9, v0
	v_mul_hi_u32 v0, v8, v0
	v_mul_lo_u32 v1, v0, s34
	v_sub_u32_e32 v1, v8, v1
	v_subrev_u32_e32 v2, s34, v1
	v_cmp_le_u32_e32 vcc, s34, v1
	v_cndmask_b32_e32 v1, v1, v2, vcc
	v_add_u32_e32 v2, 1, v0
	v_cndmask_b32_e32 v0, v0, v2, vcc
	v_add_u32_e32 v2, 1, v0
	v_cmp_le_u32_e32 vcc, s34, v1
	v_cndmask_b32_e32 v4, v0, v2, vcc
	v_pk_mov_b32 v[6:7], v[4:5], v[4:5] op_sel:[0,1]
.LBB139_7:                              ;   in Loop: Header=BB139_3 Depth=1
	s_or_b64 exec, exec, s[0:1]
	v_cmp_gt_i64_e32 vcc, s[2:3], v[6:7]
	s_mov_b64 s[26:27], -1
	s_and_saveexec_b64 s[0:1], vcc
	s_cbranch_execz .LBB139_2
; %bb.8:                                ;   in Loop: Header=BB139_3 Depth=1
	v_mul_lo_u32 v0, v6, s34
	v_sub_u32_e32 v0, v8, v0
	v_lshlrev_b32_e32 v4, 3, v0
	v_mul_lo_u32 v0, v6, s33
	v_add_lshl_u32 v0, v0, v4, 1
	buffer_load_dwordx4 v[0:3], v0, s[12:15], 0 offen
	v_mul_lo_u32 v10, v4, s2
	v_lshlrev_b64 v[6:7], 1, v[6:7]
	v_ashrrev_i32_e32 v11, 31, v10
	v_mov_b32_e32 v12, s9
	v_add_co_u32_e32 v13, vcc, s8, v6
	v_addc_co_u32_e32 v12, vcc, v12, v7, vcc
	v_lshlrev_b64 v[6:7], 1, v[10:11]
	v_add_co_u32_e32 v6, vcc, v13, v6
	v_addc_co_u32_e32 v7, vcc, v12, v7, vcc
	v_cmp_gt_i32_e32 vcc, s33, v4
	s_and_saveexec_b64 s[26:27], vcc
	s_cbranch_execz .LBB139_10
; %bb.9:                                ;   in Loop: Header=BB139_3 Depth=1
	s_waitcnt vmcnt(0)
	global_store_short v[6:7], v0, off
.LBB139_10:                             ;   in Loop: Header=BB139_3 Depth=1
	s_or_b64 exec, exec, s[26:27]
	v_or_b32_e32 v10, 1, v4
	v_cmp_gt_i32_e32 vcc, s33, v10
	s_and_saveexec_b64 s[26:27], vcc
	s_cbranch_execz .LBB139_12
; %bb.11:                               ;   in Loop: Header=BB139_3 Depth=1
	s_lshl_b64 s[28:29], s[2:3], 1
	v_mov_b32_e32 v11, s29
	v_add_co_u32_e32 v10, vcc, s28, v6
	v_addc_co_u32_e32 v11, vcc, v7, v11, vcc
	s_waitcnt vmcnt(0)
	global_store_short_d16_hi v[10:11], v0, off
.LBB139_12:                             ;   in Loop: Header=BB139_3 Depth=1
	s_or_b64 exec, exec, s[26:27]
	s_waitcnt vmcnt(0)
	v_or_b32_e32 v0, 2, v4
	v_cmp_gt_i32_e32 vcc, s33, v0
	s_and_saveexec_b64 s[26:27], vcc
	s_cbranch_execz .LBB139_14
; %bb.13:                               ;   in Loop: Header=BB139_3 Depth=1
	v_mov_b32_e32 v0, s11
	v_add_co_u32_e32 v10, vcc, s10, v6
	v_addc_co_u32_e32 v11, vcc, v7, v0, vcc
	global_store_short v[10:11], v1, off
.LBB139_14:                             ;   in Loop: Header=BB139_3 Depth=1
	s_or_b64 exec, exec, s[26:27]
	v_or_b32_e32 v0, 3, v4
	v_cmp_gt_i32_e32 vcc, s33, v0
	s_and_saveexec_b64 s[26:27], vcc
	s_cbranch_execz .LBB139_16
; %bb.15:                               ;   in Loop: Header=BB139_3 Depth=1
	v_mov_b32_e32 v0, s17
	v_add_co_u32_e32 v10, vcc, s16, v6
	v_addc_co_u32_e32 v11, vcc, v7, v0, vcc
	global_store_short_d16_hi v[10:11], v1, off
.LBB139_16:                             ;   in Loop: Header=BB139_3 Depth=1
	s_or_b64 exec, exec, s[26:27]
	v_or_b32_e32 v0, 4, v4
	v_cmp_gt_i32_e32 vcc, s33, v0
	s_and_saveexec_b64 s[26:27], vcc
	s_cbranch_execz .LBB139_18
; %bb.17:                               ;   in Loop: Header=BB139_3 Depth=1
	v_mov_b32_e32 v1, s19
	v_add_co_u32_e32 v0, vcc, s18, v6
	v_addc_co_u32_e32 v1, vcc, v7, v1, vcc
	global_store_short v[0:1], v2, off
.LBB139_18:                             ;   in Loop: Header=BB139_3 Depth=1
	s_or_b64 exec, exec, s[26:27]
	v_or_b32_e32 v0, 5, v4
	v_cmp_gt_i32_e32 vcc, s33, v0
	s_and_saveexec_b64 s[26:27], vcc
	s_cbranch_execz .LBB139_20
; %bb.19:                               ;   in Loop: Header=BB139_3 Depth=1
	v_mov_b32_e32 v1, s21
	v_add_co_u32_e32 v0, vcc, s20, v6
	v_addc_co_u32_e32 v1, vcc, v7, v1, vcc
	global_store_short_d16_hi v[0:1], v2, off
.LBB139_20:                             ;   in Loop: Header=BB139_3 Depth=1
	s_or_b64 exec, exec, s[26:27]
	v_or_b32_e32 v0, 6, v4
	v_cmp_gt_i32_e32 vcc, s33, v0
	s_and_saveexec_b64 s[26:27], vcc
	s_cbranch_execz .LBB139_22
; %bb.21:                               ;   in Loop: Header=BB139_3 Depth=1
	v_mov_b32_e32 v1, s23
	v_add_co_u32_e32 v0, vcc, s22, v6
	v_addc_co_u32_e32 v1, vcc, v7, v1, vcc
	global_store_short v[0:1], v3, off
.LBB139_22:                             ;   in Loop: Header=BB139_3 Depth=1
	s_or_b64 exec, exec, s[26:27]
	v_or_b32_e32 v0, 7, v4
	v_cmp_gt_i32_e32 vcc, s33, v0
	s_and_saveexec_b64 s[26:27], vcc
	s_cbranch_execz .LBB139_1
; %bb.23:                               ;   in Loop: Header=BB139_3 Depth=1
	v_mov_b32_e32 v1, s25
	v_add_co_u32_e32 v0, vcc, s24, v6
	v_addc_co_u32_e32 v1, vcc, v7, v1, vcc
	global_store_short_d16_hi v[0:1], v3, off
	s_branch .LBB139_1
.LBB139_24:
	s_endpgm
	.section	.rodata,"a",@progbits
	.p2align	6, 0x0
	.amdhsa_kernel _ZN5aiter24partial_transpose_kernelItLi256ELi8ELi10000EEEvPT_S2_PKii
		.amdhsa_group_segment_fixed_size 0
		.amdhsa_private_segment_fixed_size 0
		.amdhsa_kernarg_size 288
		.amdhsa_user_sgpr_count 6
		.amdhsa_user_sgpr_private_segment_buffer 1
		.amdhsa_user_sgpr_dispatch_ptr 0
		.amdhsa_user_sgpr_queue_ptr 0
		.amdhsa_user_sgpr_kernarg_segment_ptr 1
		.amdhsa_user_sgpr_dispatch_id 0
		.amdhsa_user_sgpr_flat_scratch_init 0
		.amdhsa_user_sgpr_kernarg_preload_length 0
		.amdhsa_user_sgpr_kernarg_preload_offset 0
		.amdhsa_user_sgpr_private_segment_size 0
		.amdhsa_uses_dynamic_stack 0
		.amdhsa_system_sgpr_private_segment_wavefront_offset 0
		.amdhsa_system_sgpr_workgroup_id_x 1
		.amdhsa_system_sgpr_workgroup_id_y 0
		.amdhsa_system_sgpr_workgroup_id_z 0
		.amdhsa_system_sgpr_workgroup_info 0
		.amdhsa_system_vgpr_workitem_id 0
		.amdhsa_next_free_vgpr 14
		.amdhsa_next_free_sgpr 38
		.amdhsa_accum_offset 16
		.amdhsa_reserve_vcc 1
		.amdhsa_reserve_flat_scratch 0
		.amdhsa_float_round_mode_32 0
		.amdhsa_float_round_mode_16_64 0
		.amdhsa_float_denorm_mode_32 3
		.amdhsa_float_denorm_mode_16_64 3
		.amdhsa_dx10_clamp 1
		.amdhsa_ieee_mode 1
		.amdhsa_fp16_overflow 0
		.amdhsa_tg_split 0
		.amdhsa_exception_fp_ieee_invalid_op 0
		.amdhsa_exception_fp_denorm_src 0
		.amdhsa_exception_fp_ieee_div_zero 0
		.amdhsa_exception_fp_ieee_overflow 0
		.amdhsa_exception_fp_ieee_underflow 0
		.amdhsa_exception_fp_ieee_inexact 0
		.amdhsa_exception_int_div_zero 0
	.end_amdhsa_kernel
	.section	.text._ZN5aiter24partial_transpose_kernelItLi256ELi8ELi10000EEEvPT_S2_PKii,"axG",@progbits,_ZN5aiter24partial_transpose_kernelItLi256ELi8ELi10000EEEvPT_S2_PKii,comdat
.Lfunc_end139:
	.size	_ZN5aiter24partial_transpose_kernelItLi256ELi8ELi10000EEEvPT_S2_PKii, .Lfunc_end139-_ZN5aiter24partial_transpose_kernelItLi256ELi8ELi10000EEEvPT_S2_PKii
                                        ; -- End function
	.section	.AMDGPU.csdata,"",@progbits
; Kernel info:
; codeLenInByte = 1484
; NumSgprs: 42
; NumVgprs: 14
; NumAgprs: 0
; TotalNumVgprs: 14
; ScratchSize: 0
; MemoryBound: 0
; FloatMode: 240
; IeeeMode: 1
; LDSByteSize: 0 bytes/workgroup (compile time only)
; SGPRBlocks: 5
; VGPRBlocks: 1
; NumSGPRsForWavesPerEU: 42
; NumVGPRsForWavesPerEU: 14
; AccumOffset: 16
; Occupancy: 8
; WaveLimiterHint : 1
; COMPUTE_PGM_RSRC2:SCRATCH_EN: 0
; COMPUTE_PGM_RSRC2:USER_SGPR: 6
; COMPUTE_PGM_RSRC2:TRAP_HANDLER: 0
; COMPUTE_PGM_RSRC2:TGID_X_EN: 1
; COMPUTE_PGM_RSRC2:TGID_Y_EN: 0
; COMPUTE_PGM_RSRC2:TGID_Z_EN: 0
; COMPUTE_PGM_RSRC2:TIDIG_COMP_CNT: 0
; COMPUTE_PGM_RSRC3_GFX90A:ACCUM_OFFSET: 3
; COMPUTE_PGM_RSRC3_GFX90A:TG_SPLIT: 0
	.section	.text._ZN5aiter24partial_transpose_kernelIfLi256ELi16ELi10000EEEvPT_S2_PKii,"axG",@progbits,_ZN5aiter24partial_transpose_kernelIfLi256ELi16ELi10000EEEvPT_S2_PKii,comdat
	.protected	_ZN5aiter24partial_transpose_kernelIfLi256ELi16ELi10000EEEvPT_S2_PKii ; -- Begin function _ZN5aiter24partial_transpose_kernelIfLi256ELi16ELi10000EEEvPT_S2_PKii
	.globl	_ZN5aiter24partial_transpose_kernelIfLi256ELi16ELi10000EEEvPT_S2_PKii
	.p2align	8
	.type	_ZN5aiter24partial_transpose_kernelIfLi256ELi16ELi10000EEEvPT_S2_PKii,@function
_ZN5aiter24partial_transpose_kernelIfLi256ELi16ELi10000EEEvPT_S2_PKii: ; @_ZN5aiter24partial_transpose_kernelIfLi256ELi16ELi10000EEEvPT_S2_PKii
; %bb.0:
	s_load_dwordx2 s[0:1], s[4:5], 0x10
	s_load_dword s33, s[4:5], 0x18
	s_load_dwordx4 s[8:11], s[4:5], 0x0
	v_lshl_add_u32 v20, s6, 8, v0
	s_mov_b32 s15, 0x20000
	s_waitcnt lgkmcnt(0)
	s_load_dword s2, s[0:1], 0x0
	s_load_dword s7, s[4:5], 0x20
	s_add_i32 s0, s33, 15
	s_ashr_i32 s1, s0, 31
	s_lshr_b32 s1, s1, 28
	s_add_i32 s0, s0, s1
	s_ashr_i32 s50, s0, 4
	v_cvt_f32_u32_e32 v0, s50
	s_waitcnt lgkmcnt(0)
	s_mul_i32 s0, s33, s2
	s_lshl_b32 s14, s0, 2
	s_lshl_b32 s0, s2, 1
	v_rcp_iflag_f32_e32 v0, v0
	s_mul_i32 s16, s2, 3
	s_lshl_b32 s18, s2, 2
	s_mul_i32 s20, s2, 5
	v_mul_f32_e32 v0, 0x4f7ffffe, v0
	v_cvt_u32_f32_e32 v21, v0
	s_mul_i32 s22, s2, 6
	s_mul_i32 s24, s2, 7
	s_lshl_b32 s26, s2, 3
	s_mul_i32 s28, s2, 9
	s_mul_i32 s30, s2, 10
	;; [unrolled: 1-line block ×7, first 2 shown]
	s_and_b32 s11, s11, 0xffff
	s_ashr_i32 s1, s0, 31
	s_ashr_i32 s17, s16, 31
	;; [unrolled: 1-line block ×15, first 2 shown]
	s_mov_b64 s[12:13], s[10:11]
	s_ashr_i32 s51, s50, 31
	s_lshl_b32 s52, s7, 8
	s_movk_i32 s53, 0x2710
	s_mov_b64 s[4:5], 0
	v_mov_b32_e32 v17, 0
	s_mov_b32 s6, 0
	s_lshl_b64 s[10:11], s[0:1], 2
	s_lshl_b64 s[16:17], s[16:17], 2
	;; [unrolled: 1-line block ×14, first 2 shown]
	s_branch .LBB140_3
.LBB140_1:                              ;   in Loop: Header=BB140_3 Depth=1
	s_or_b64 exec, exec, s[44:45]
	s_add_i32 s53, s53, -1
	s_cmp_eq_u32 s53, 0
	s_cselect_b64 s[44:45], -1, 0
	v_add_u32_e32 v20, s52, v20
	s_orn2_b64 s[44:45], s[44:45], exec
.LBB140_2:                              ;   in Loop: Header=BB140_3 Depth=1
	s_or_b64 exec, exec, s[0:1]
	s_and_b64 s[0:1], exec, s[44:45]
	s_or_b64 s[4:5], s[0:1], s[4:5]
	s_andn2_b64 exec, exec, s[4:5]
	s_cbranch_execz .LBB140_40
.LBB140_3:                              ; =>This Inner Loop Header: Depth=1
	s_mov_b32 s7, s51
	s_cmp_lg_u64 s[6:7], 0
	s_cselect_b64 s[0:1], -1, 0
                                        ; implicit-def: $vgpr18_vgpr19
	s_and_saveexec_b64 s[44:45], s[0:1]
	s_xor_b64 s[44:45], exec, s[44:45]
	s_cbranch_execz .LBB140_5
; %bb.4:                                ;   in Loop: Header=BB140_3 Depth=1
	s_add_u32 s0, s50, s51
	s_mov_b32 s46, s51
	s_mov_b32 s47, s51
	s_addc_u32 s1, s51, s51
	s_xor_b64 s[48:49], s[0:1], s[46:47]
	v_cvt_f32_u32_e32 v0, s48
	v_cvt_f32_u32_e32 v1, s49
	s_sub_u32 s0, 0, s48
	s_subb_u32 s1, 0, s49
	v_mac_f32_e32 v0, 0x4f800000, v1
	v_rcp_f32_e32 v0, v0
	v_mul_f32_e32 v0, 0x5f7ffffc, v0
	v_mul_f32_e32 v1, 0x2f800000, v0
	v_trunc_f32_e32 v1, v1
	v_mac_f32_e32 v0, 0xcf800000, v1
	v_cvt_u32_f32_e32 v1, v1
	v_cvt_u32_f32_e32 v0, v0
	v_mul_lo_u32 v2, s0, v1
	v_mul_hi_u32 v4, s0, v0
	v_mul_lo_u32 v3, s1, v0
	v_add_u32_e32 v2, v4, v2
	v_mul_lo_u32 v5, s0, v0
	v_add_u32_e32 v2, v2, v3
	v_mul_lo_u32 v4, v0, v2
	v_mul_hi_u32 v6, v0, v5
	v_mul_hi_u32 v3, v0, v2
	v_add_co_u32_e32 v4, vcc, v6, v4
	v_addc_co_u32_e32 v3, vcc, 0, v3, vcc
	v_mul_hi_u32 v7, v1, v5
	v_mul_lo_u32 v5, v1, v5
	v_add_co_u32_e32 v4, vcc, v4, v5
	v_mul_hi_u32 v6, v1, v2
	v_addc_co_u32_e32 v3, vcc, v3, v7, vcc
	v_addc_co_u32_e32 v4, vcc, 0, v6, vcc
	v_mul_lo_u32 v2, v1, v2
	v_add_co_u32_e32 v2, vcc, v3, v2
	v_addc_co_u32_e32 v3, vcc, 0, v4, vcc
	v_add_co_u32_e32 v0, vcc, v0, v2
	v_addc_co_u32_e32 v1, vcc, v1, v3, vcc
	v_mul_lo_u32 v2, s0, v1
	v_mul_hi_u32 v3, s0, v0
	v_add_u32_e32 v2, v3, v2
	v_mul_lo_u32 v3, s1, v0
	v_add_u32_e32 v2, v2, v3
	v_mul_lo_u32 v4, s0, v0
	v_mul_hi_u32 v5, v1, v4
	v_mul_lo_u32 v6, v1, v4
	v_mul_lo_u32 v8, v0, v2
	v_mul_hi_u32 v4, v0, v4
	v_mul_hi_u32 v7, v0, v2
	v_add_co_u32_e32 v4, vcc, v4, v8
	v_addc_co_u32_e32 v7, vcc, 0, v7, vcc
	v_add_co_u32_e32 v4, vcc, v4, v6
	v_mul_hi_u32 v3, v1, v2
	v_addc_co_u32_e32 v4, vcc, v7, v5, vcc
	v_addc_co_u32_e32 v3, vcc, 0, v3, vcc
	v_mul_lo_u32 v2, v1, v2
	v_add_co_u32_e32 v2, vcc, v4, v2
	v_addc_co_u32_e32 v3, vcc, 0, v3, vcc
	v_add_co_u32_e32 v2, vcc, v0, v2
	v_addc_co_u32_e32 v3, vcc, v1, v3, vcc
	v_mad_u64_u32 v[0:1], s[0:1], v20, v3, 0
	v_mul_hi_u32 v4, v20, v2
	v_add_co_u32_e32 v4, vcc, v4, v0
	v_addc_co_u32_e32 v5, vcc, 0, v1, vcc
	v_mad_u64_u32 v[0:1], s[0:1], 0, v3, 0
	v_mad_u64_u32 v[2:3], s[0:1], 0, v2, 0
	v_add_co_u32_e32 v2, vcc, v4, v2
	v_addc_co_u32_e32 v2, vcc, v5, v3, vcc
	v_addc_co_u32_e32 v1, vcc, 0, v1, vcc
	v_add_co_u32_e32 v2, vcc, v2, v0
	v_addc_co_u32_e32 v3, vcc, 0, v1, vcc
	v_mul_lo_u32 v4, s49, v2
	v_mul_lo_u32 v5, s48, v3
	v_mad_u64_u32 v[0:1], s[0:1], s48, v2, 0
	v_add3_u32 v1, v1, v5, v4
	v_sub_u32_e32 v4, 0, v1
	v_mov_b32_e32 v5, s49
	v_sub_co_u32_e32 v0, vcc, v20, v0
	v_subb_co_u32_e64 v4, s[0:1], v4, v5, vcc
	v_subrev_co_u32_e64 v5, s[0:1], s48, v0
	v_subbrev_co_u32_e64 v4, s[0:1], 0, v4, s[0:1]
	v_cmp_le_u32_e64 s[0:1], s49, v4
	v_cndmask_b32_e64 v6, 0, -1, s[0:1]
	v_cmp_le_u32_e64 s[0:1], s48, v5
	v_cndmask_b32_e64 v5, 0, -1, s[0:1]
	v_cmp_eq_u32_e64 s[0:1], s49, v4
	v_cndmask_b32_e64 v4, v6, v5, s[0:1]
	v_add_co_u32_e64 v5, s[0:1], 2, v2
	v_addc_co_u32_e64 v6, s[0:1], 0, v3, s[0:1]
	v_add_co_u32_e64 v7, s[0:1], 1, v2
	v_addc_co_u32_e64 v8, s[0:1], 0, v3, s[0:1]
	v_subb_co_u32_e32 v1, vcc, 0, v1, vcc
	v_cmp_ne_u32_e64 s[0:1], 0, v4
	v_cmp_le_u32_e32 vcc, s49, v1
	v_cndmask_b32_e64 v4, v8, v6, s[0:1]
	v_cndmask_b32_e64 v6, 0, -1, vcc
	v_cmp_le_u32_e32 vcc, s48, v0
	v_cndmask_b32_e64 v0, 0, -1, vcc
	v_cmp_eq_u32_e32 vcc, s49, v1
	v_cndmask_b32_e32 v0, v6, v0, vcc
	v_cmp_ne_u32_e32 vcc, 0, v0
	v_cndmask_b32_e64 v1, v7, v5, s[0:1]
	v_cndmask_b32_e32 v1, v2, v1, vcc
	v_cndmask_b32_e32 v0, v3, v4, vcc
	v_xor_b32_e32 v1, s46, v1
	v_xor_b32_e32 v0, s47, v0
	v_mov_b32_e32 v2, s51
	v_subrev_co_u32_e32 v18, vcc, s46, v1
	v_subb_co_u32_e32 v19, vcc, v0, v2, vcc
.LBB140_5:                              ;   in Loop: Header=BB140_3 Depth=1
	s_andn2_saveexec_b64 s[0:1], s[44:45]
	s_cbranch_execz .LBB140_7
; %bb.6:                                ;   in Loop: Header=BB140_3 Depth=1
	s_sub_i32 s7, 0, s50
	v_mul_lo_u32 v0, s7, v21
	v_mul_hi_u32 v0, v21, v0
	v_add_u32_e32 v0, v21, v0
	v_mul_hi_u32 v0, v20, v0
	v_mul_lo_u32 v1, v0, s50
	v_sub_u32_e32 v1, v20, v1
	v_subrev_u32_e32 v2, s50, v1
	v_cmp_le_u32_e32 vcc, s50, v1
	v_cndmask_b32_e32 v1, v1, v2, vcc
	v_add_u32_e32 v2, 1, v0
	v_cndmask_b32_e32 v0, v0, v2, vcc
	v_add_u32_e32 v2, 1, v0
	v_cmp_le_u32_e32 vcc, s50, v1
	v_cndmask_b32_e32 v16, v0, v2, vcc
	v_pk_mov_b32 v[18:19], v[16:17], v[16:17] op_sel:[0,1]
.LBB140_7:                              ;   in Loop: Header=BB140_3 Depth=1
	s_or_b64 exec, exec, s[0:1]
	v_cmp_gt_i64_e32 vcc, s[2:3], v[18:19]
	s_mov_b64 s[44:45], -1
	s_and_saveexec_b64 s[0:1], vcc
	s_cbranch_execz .LBB140_2
; %bb.8:                                ;   in Loop: Header=BB140_3 Depth=1
	v_mul_lo_u32 v0, v18, s50
	v_sub_u32_e32 v0, v20, v0
	v_lshlrev_b32_e32 v16, 4, v0
	v_mul_lo_u32 v0, v18, s33
	v_add_lshl_u32 v22, v0, v16, 2
	buffer_load_dwordx4 v[12:15], v22, s[12:15], 0 offen
	buffer_load_dwordx4 v[8:11], v22, s[12:15], 16 offen
	;; [unrolled: 1-line block ×4, first 2 shown]
	v_mul_lo_u32 v22, v16, s2
	v_lshlrev_b64 v[18:19], 2, v[18:19]
	v_ashrrev_i32_e32 v23, 31, v22
	v_mov_b32_e32 v24, s9
	v_add_co_u32_e32 v25, vcc, s8, v18
	v_addc_co_u32_e32 v24, vcc, v24, v19, vcc
	v_lshlrev_b64 v[18:19], 2, v[22:23]
	v_add_co_u32_e32 v18, vcc, v25, v18
	v_addc_co_u32_e32 v19, vcc, v24, v19, vcc
	v_cmp_gt_i32_e32 vcc, s33, v16
	s_and_saveexec_b64 s[44:45], vcc
	s_cbranch_execz .LBB140_10
; %bb.9:                                ;   in Loop: Header=BB140_3 Depth=1
	s_waitcnt vmcnt(3)
	global_store_dword v[18:19], v12, off
.LBB140_10:                             ;   in Loop: Header=BB140_3 Depth=1
	s_or_b64 exec, exec, s[44:45]
	s_waitcnt vmcnt(3)
	v_or_b32_e32 v12, 1, v16
	v_cmp_gt_i32_e32 vcc, s33, v12
	s_and_saveexec_b64 s[44:45], vcc
	s_cbranch_execz .LBB140_12
; %bb.11:                               ;   in Loop: Header=BB140_3 Depth=1
	s_lshl_b64 s[46:47], s[2:3], 2
	v_mov_b32_e32 v12, s47
	v_add_co_u32_e32 v22, vcc, s46, v18
	v_addc_co_u32_e32 v23, vcc, v19, v12, vcc
	global_store_dword v[22:23], v13, off
.LBB140_12:                             ;   in Loop: Header=BB140_3 Depth=1
	s_or_b64 exec, exec, s[44:45]
	v_or_b32_e32 v12, 2, v16
	v_cmp_gt_i32_e32 vcc, s33, v12
	s_and_saveexec_b64 s[44:45], vcc
	s_cbranch_execz .LBB140_14
; %bb.13:                               ;   in Loop: Header=BB140_3 Depth=1
	v_mov_b32_e32 v13, s11
	v_add_co_u32_e32 v12, vcc, s10, v18
	v_addc_co_u32_e32 v13, vcc, v19, v13, vcc
	global_store_dword v[12:13], v14, off
.LBB140_14:                             ;   in Loop: Header=BB140_3 Depth=1
	s_or_b64 exec, exec, s[44:45]
	v_or_b32_e32 v12, 3, v16
	v_cmp_gt_i32_e32 vcc, s33, v12
	s_and_saveexec_b64 s[44:45], vcc
	s_cbranch_execz .LBB140_16
; %bb.15:                               ;   in Loop: Header=BB140_3 Depth=1
	v_mov_b32_e32 v13, s17
	v_add_co_u32_e32 v12, vcc, s16, v18
	v_addc_co_u32_e32 v13, vcc, v19, v13, vcc
	global_store_dword v[12:13], v15, off
.LBB140_16:                             ;   in Loop: Header=BB140_3 Depth=1
	s_or_b64 exec, exec, s[44:45]
	v_or_b32_e32 v12, 4, v16
	v_cmp_gt_i32_e32 vcc, s33, v12
	s_and_saveexec_b64 s[44:45], vcc
	s_cbranch_execz .LBB140_18
; %bb.17:                               ;   in Loop: Header=BB140_3 Depth=1
	v_mov_b32_e32 v13, s19
	v_add_co_u32_e32 v12, vcc, s18, v18
	v_addc_co_u32_e32 v13, vcc, v19, v13, vcc
	s_waitcnt vmcnt(2)
	global_store_dword v[12:13], v8, off
.LBB140_18:                             ;   in Loop: Header=BB140_3 Depth=1
	s_or_b64 exec, exec, s[44:45]
	s_waitcnt vmcnt(2)
	v_or_b32_e32 v8, 5, v16
	v_cmp_gt_i32_e32 vcc, s33, v8
	s_and_saveexec_b64 s[44:45], vcc
	s_cbranch_execz .LBB140_20
; %bb.19:                               ;   in Loop: Header=BB140_3 Depth=1
	v_mov_b32_e32 v8, s21
	v_add_co_u32_e32 v12, vcc, s20, v18
	v_addc_co_u32_e32 v13, vcc, v19, v8, vcc
	global_store_dword v[12:13], v9, off
.LBB140_20:                             ;   in Loop: Header=BB140_3 Depth=1
	s_or_b64 exec, exec, s[44:45]
	v_or_b32_e32 v8, 6, v16
	v_cmp_gt_i32_e32 vcc, s33, v8
	s_and_saveexec_b64 s[44:45], vcc
	s_cbranch_execz .LBB140_22
; %bb.21:                               ;   in Loop: Header=BB140_3 Depth=1
	v_mov_b32_e32 v9, s23
	v_add_co_u32_e32 v8, vcc, s22, v18
	v_addc_co_u32_e32 v9, vcc, v19, v9, vcc
	global_store_dword v[8:9], v10, off
.LBB140_22:                             ;   in Loop: Header=BB140_3 Depth=1
	s_or_b64 exec, exec, s[44:45]
	v_or_b32_e32 v8, 7, v16
	v_cmp_gt_i32_e32 vcc, s33, v8
	s_and_saveexec_b64 s[44:45], vcc
	s_cbranch_execz .LBB140_24
; %bb.23:                               ;   in Loop: Header=BB140_3 Depth=1
	v_mov_b32_e32 v9, s25
	v_add_co_u32_e32 v8, vcc, s24, v18
	v_addc_co_u32_e32 v9, vcc, v19, v9, vcc
	global_store_dword v[8:9], v11, off
.LBB140_24:                             ;   in Loop: Header=BB140_3 Depth=1
	s_or_b64 exec, exec, s[44:45]
	v_or_b32_e32 v8, 8, v16
	v_cmp_gt_i32_e32 vcc, s33, v8
	s_and_saveexec_b64 s[44:45], vcc
	s_cbranch_execz .LBB140_26
; %bb.25:                               ;   in Loop: Header=BB140_3 Depth=1
	v_mov_b32_e32 v9, s27
	v_add_co_u32_e32 v8, vcc, s26, v18
	v_addc_co_u32_e32 v9, vcc, v19, v9, vcc
	s_waitcnt vmcnt(1)
	global_store_dword v[8:9], v4, off
.LBB140_26:                             ;   in Loop: Header=BB140_3 Depth=1
	s_or_b64 exec, exec, s[44:45]
	s_waitcnt vmcnt(1)
	v_or_b32_e32 v4, 9, v16
	v_cmp_gt_i32_e32 vcc, s33, v4
	s_and_saveexec_b64 s[44:45], vcc
	s_cbranch_execz .LBB140_28
; %bb.27:                               ;   in Loop: Header=BB140_3 Depth=1
	v_mov_b32_e32 v4, s29
	v_add_co_u32_e32 v8, vcc, s28, v18
	v_addc_co_u32_e32 v9, vcc, v19, v4, vcc
	global_store_dword v[8:9], v5, off
.LBB140_28:                             ;   in Loop: Header=BB140_3 Depth=1
	;; [unrolled: 46-line block ×3, first 2 shown]
	s_or_b64 exec, exec, s[44:45]
	v_or_b32_e32 v0, 14, v16
	v_cmp_gt_i32_e32 vcc, s33, v0
	s_and_saveexec_b64 s[44:45], vcc
	s_cbranch_execz .LBB140_38
; %bb.37:                               ;   in Loop: Header=BB140_3 Depth=1
	v_mov_b32_e32 v1, s41
	v_add_co_u32_e32 v0, vcc, s40, v18
	v_addc_co_u32_e32 v1, vcc, v19, v1, vcc
	global_store_dword v[0:1], v2, off
.LBB140_38:                             ;   in Loop: Header=BB140_3 Depth=1
	s_or_b64 exec, exec, s[44:45]
	v_or_b32_e32 v0, 15, v16
	v_cmp_gt_i32_e32 vcc, s33, v0
	s_and_saveexec_b64 s[44:45], vcc
	s_cbranch_execz .LBB140_1
; %bb.39:                               ;   in Loop: Header=BB140_3 Depth=1
	v_mov_b32_e32 v1, s43
	v_add_co_u32_e32 v0, vcc, s42, v18
	v_addc_co_u32_e32 v1, vcc, v19, v1, vcc
	global_store_dword v[0:1], v3, off
	s_branch .LBB140_1
.LBB140_40:
	s_endpgm
	.section	.rodata,"a",@progbits
	.p2align	6, 0x0
	.amdhsa_kernel _ZN5aiter24partial_transpose_kernelIfLi256ELi16ELi10000EEEvPT_S2_PKii
		.amdhsa_group_segment_fixed_size 0
		.amdhsa_private_segment_fixed_size 0
		.amdhsa_kernarg_size 288
		.amdhsa_user_sgpr_count 6
		.amdhsa_user_sgpr_private_segment_buffer 1
		.amdhsa_user_sgpr_dispatch_ptr 0
		.amdhsa_user_sgpr_queue_ptr 0
		.amdhsa_user_sgpr_kernarg_segment_ptr 1
		.amdhsa_user_sgpr_dispatch_id 0
		.amdhsa_user_sgpr_flat_scratch_init 0
		.amdhsa_user_sgpr_kernarg_preload_length 0
		.amdhsa_user_sgpr_kernarg_preload_offset 0
		.amdhsa_user_sgpr_private_segment_size 0
		.amdhsa_uses_dynamic_stack 0
		.amdhsa_system_sgpr_private_segment_wavefront_offset 0
		.amdhsa_system_sgpr_workgroup_id_x 1
		.amdhsa_system_sgpr_workgroup_id_y 0
		.amdhsa_system_sgpr_workgroup_id_z 0
		.amdhsa_system_sgpr_workgroup_info 0
		.amdhsa_system_vgpr_workitem_id 0
		.amdhsa_next_free_vgpr 26
		.amdhsa_next_free_sgpr 54
		.amdhsa_accum_offset 28
		.amdhsa_reserve_vcc 1
		.amdhsa_reserve_flat_scratch 0
		.amdhsa_float_round_mode_32 0
		.amdhsa_float_round_mode_16_64 0
		.amdhsa_float_denorm_mode_32 3
		.amdhsa_float_denorm_mode_16_64 3
		.amdhsa_dx10_clamp 1
		.amdhsa_ieee_mode 1
		.amdhsa_fp16_overflow 0
		.amdhsa_tg_split 0
		.amdhsa_exception_fp_ieee_invalid_op 0
		.amdhsa_exception_fp_denorm_src 0
		.amdhsa_exception_fp_ieee_div_zero 0
		.amdhsa_exception_fp_ieee_overflow 0
		.amdhsa_exception_fp_ieee_underflow 0
		.amdhsa_exception_fp_ieee_inexact 0
		.amdhsa_exception_int_div_zero 0
	.end_amdhsa_kernel
	.section	.text._ZN5aiter24partial_transpose_kernelIfLi256ELi16ELi10000EEEvPT_S2_PKii,"axG",@progbits,_ZN5aiter24partial_transpose_kernelIfLi256ELi16ELi10000EEEvPT_S2_PKii,comdat
.Lfunc_end140:
	.size	_ZN5aiter24partial_transpose_kernelIfLi256ELi16ELi10000EEEvPT_S2_PKii, .Lfunc_end140-_ZN5aiter24partial_transpose_kernelIfLi256ELi16ELi10000EEEvPT_S2_PKii
                                        ; -- End function
	.section	.AMDGPU.csdata,"",@progbits
; Kernel info:
; codeLenInByte = 1928
; NumSgprs: 58
; NumVgprs: 26
; NumAgprs: 0
; TotalNumVgprs: 26
; ScratchSize: 0
; MemoryBound: 0
; FloatMode: 240
; IeeeMode: 1
; LDSByteSize: 0 bytes/workgroup (compile time only)
; SGPRBlocks: 7
; VGPRBlocks: 3
; NumSGPRsForWavesPerEU: 58
; NumVGPRsForWavesPerEU: 26
; AccumOffset: 28
; Occupancy: 8
; WaveLimiterHint : 1
; COMPUTE_PGM_RSRC2:SCRATCH_EN: 0
; COMPUTE_PGM_RSRC2:USER_SGPR: 6
; COMPUTE_PGM_RSRC2:TRAP_HANDLER: 0
; COMPUTE_PGM_RSRC2:TGID_X_EN: 1
; COMPUTE_PGM_RSRC2:TGID_Y_EN: 0
; COMPUTE_PGM_RSRC2:TGID_Z_EN: 0
; COMPUTE_PGM_RSRC2:TIDIG_COMP_CNT: 0
; COMPUTE_PGM_RSRC3_GFX90A:ACCUM_OFFSET: 6
; COMPUTE_PGM_RSRC3_GFX90A:TG_SPLIT: 0
	.section	.text._ZN5aiter24partial_transpose_kernelIDF16_Li256ELi16ELi10000EEEvPT_S2_PKii,"axG",@progbits,_ZN5aiter24partial_transpose_kernelIDF16_Li256ELi16ELi10000EEEvPT_S2_PKii,comdat
	.protected	_ZN5aiter24partial_transpose_kernelIDF16_Li256ELi16ELi10000EEEvPT_S2_PKii ; -- Begin function _ZN5aiter24partial_transpose_kernelIDF16_Li256ELi16ELi10000EEEvPT_S2_PKii
	.globl	_ZN5aiter24partial_transpose_kernelIDF16_Li256ELi16ELi10000EEEvPT_S2_PKii
	.p2align	8
	.type	_ZN5aiter24partial_transpose_kernelIDF16_Li256ELi16ELi10000EEEvPT_S2_PKii,@function
_ZN5aiter24partial_transpose_kernelIDF16_Li256ELi16ELi10000EEEvPT_S2_PKii: ; @_ZN5aiter24partial_transpose_kernelIDF16_Li256ELi16ELi10000EEEvPT_S2_PKii
; %bb.0:
	s_load_dwordx2 s[0:1], s[4:5], 0x10
	s_load_dword s33, s[4:5], 0x18
	s_load_dwordx4 s[8:11], s[4:5], 0x0
	v_lshl_add_u32 v12, s6, 8, v0
	s_mov_b32 s15, 0x20000
	s_waitcnt lgkmcnt(0)
	s_load_dword s2, s[0:1], 0x0
	s_load_dword s7, s[4:5], 0x20
	s_add_i32 s0, s33, 15
	s_ashr_i32 s1, s0, 31
	s_lshr_b32 s1, s1, 28
	s_add_i32 s0, s0, s1
	s_ashr_i32 s50, s0, 4
	v_cvt_f32_u32_e32 v0, s50
	s_waitcnt lgkmcnt(0)
	s_mul_i32 s0, s2, s33
	s_add_i32 s0, s0, 1
	s_lshr_b32 s1, s0, 31
	v_rcp_iflag_f32_e32 v0, v0
	s_add_i32 s0, s0, s1
	s_lshl_b32 s0, s0, 1
	s_and_b32 s14, s0, -4
	v_mul_f32_e32 v0, 0x4f7ffffe, v0
	v_cvt_u32_f32_e32 v13, v0
	s_lshl_b32 s0, s2, 1
	s_mul_i32 s16, s2, 3
	s_lshl_b32 s18, s2, 2
	s_mul_i32 s20, s2, 5
	s_mul_i32 s22, s2, 6
	s_mul_i32 s24, s2, 7
	s_lshl_b32 s26, s2, 3
	s_mul_i32 s28, s2, 9
	s_mul_i32 s30, s2, 10
	;; [unrolled: 1-line block ×7, first 2 shown]
	s_and_b32 s11, s11, 0xffff
	s_ashr_i32 s1, s0, 31
	s_ashr_i32 s17, s16, 31
	;; [unrolled: 1-line block ×15, first 2 shown]
	s_mov_b64 s[12:13], s[10:11]
	s_ashr_i32 s51, s50, 31
	s_lshl_b32 s52, s7, 8
	s_movk_i32 s53, 0x2710
	s_mov_b64 s[4:5], 0
	v_mov_b32_e32 v9, 0
	s_mov_b32 s6, 0
	s_lshl_b64 s[10:11], s[0:1], 1
	s_lshl_b64 s[16:17], s[16:17], 1
	;; [unrolled: 1-line block ×14, first 2 shown]
	s_branch .LBB141_3
.LBB141_1:                              ;   in Loop: Header=BB141_3 Depth=1
	s_or_b64 exec, exec, s[44:45]
	s_add_i32 s53, s53, -1
	s_cmp_eq_u32 s53, 0
	s_cselect_b64 s[44:45], -1, 0
	v_add_u32_e32 v12, s52, v12
	s_orn2_b64 s[44:45], s[44:45], exec
.LBB141_2:                              ;   in Loop: Header=BB141_3 Depth=1
	s_or_b64 exec, exec, s[0:1]
	s_and_b64 s[0:1], exec, s[44:45]
	s_or_b64 s[4:5], s[0:1], s[4:5]
	s_andn2_b64 exec, exec, s[4:5]
	s_cbranch_execz .LBB141_40
.LBB141_3:                              ; =>This Inner Loop Header: Depth=1
	s_mov_b32 s7, s51
	s_cmp_lg_u64 s[6:7], 0
	s_cselect_b64 s[0:1], -1, 0
                                        ; implicit-def: $vgpr10_vgpr11
	s_and_saveexec_b64 s[44:45], s[0:1]
	s_xor_b64 s[44:45], exec, s[44:45]
	s_cbranch_execz .LBB141_5
; %bb.4:                                ;   in Loop: Header=BB141_3 Depth=1
	s_add_u32 s0, s50, s51
	s_mov_b32 s46, s51
	s_mov_b32 s47, s51
	s_addc_u32 s1, s51, s51
	s_xor_b64 s[48:49], s[0:1], s[46:47]
	v_cvt_f32_u32_e32 v0, s48
	v_cvt_f32_u32_e32 v1, s49
	s_sub_u32 s0, 0, s48
	s_subb_u32 s1, 0, s49
	v_mac_f32_e32 v0, 0x4f800000, v1
	v_rcp_f32_e32 v0, v0
	v_mul_f32_e32 v0, 0x5f7ffffc, v0
	v_mul_f32_e32 v1, 0x2f800000, v0
	v_trunc_f32_e32 v1, v1
	v_mac_f32_e32 v0, 0xcf800000, v1
	v_cvt_u32_f32_e32 v1, v1
	v_cvt_u32_f32_e32 v0, v0
	v_mul_lo_u32 v2, s0, v1
	v_mul_hi_u32 v4, s0, v0
	v_mul_lo_u32 v3, s1, v0
	v_add_u32_e32 v2, v4, v2
	v_mul_lo_u32 v5, s0, v0
	v_add_u32_e32 v2, v2, v3
	v_mul_lo_u32 v4, v0, v2
	v_mul_hi_u32 v6, v0, v5
	v_mul_hi_u32 v3, v0, v2
	v_add_co_u32_e32 v4, vcc, v6, v4
	v_addc_co_u32_e32 v3, vcc, 0, v3, vcc
	v_mul_hi_u32 v7, v1, v5
	v_mul_lo_u32 v5, v1, v5
	v_add_co_u32_e32 v4, vcc, v4, v5
	v_mul_hi_u32 v6, v1, v2
	v_addc_co_u32_e32 v3, vcc, v3, v7, vcc
	v_addc_co_u32_e32 v4, vcc, 0, v6, vcc
	v_mul_lo_u32 v2, v1, v2
	v_add_co_u32_e32 v2, vcc, v3, v2
	v_addc_co_u32_e32 v3, vcc, 0, v4, vcc
	v_add_co_u32_e32 v0, vcc, v0, v2
	v_addc_co_u32_e32 v1, vcc, v1, v3, vcc
	v_mul_lo_u32 v2, s0, v1
	v_mul_hi_u32 v3, s0, v0
	v_add_u32_e32 v2, v3, v2
	v_mul_lo_u32 v3, s1, v0
	v_add_u32_e32 v2, v2, v3
	v_mul_lo_u32 v4, s0, v0
	v_mul_hi_u32 v5, v1, v4
	v_mul_lo_u32 v6, v1, v4
	v_mul_lo_u32 v8, v0, v2
	v_mul_hi_u32 v4, v0, v4
	v_mul_hi_u32 v7, v0, v2
	v_add_co_u32_e32 v4, vcc, v4, v8
	v_addc_co_u32_e32 v7, vcc, 0, v7, vcc
	v_add_co_u32_e32 v4, vcc, v4, v6
	v_mul_hi_u32 v3, v1, v2
	v_addc_co_u32_e32 v4, vcc, v7, v5, vcc
	v_addc_co_u32_e32 v3, vcc, 0, v3, vcc
	v_mul_lo_u32 v2, v1, v2
	v_add_co_u32_e32 v2, vcc, v4, v2
	v_addc_co_u32_e32 v3, vcc, 0, v3, vcc
	v_add_co_u32_e32 v2, vcc, v0, v2
	v_addc_co_u32_e32 v3, vcc, v1, v3, vcc
	v_mad_u64_u32 v[0:1], s[0:1], v12, v3, 0
	v_mul_hi_u32 v4, v12, v2
	v_add_co_u32_e32 v4, vcc, v4, v0
	v_addc_co_u32_e32 v5, vcc, 0, v1, vcc
	v_mad_u64_u32 v[0:1], s[0:1], 0, v3, 0
	v_mad_u64_u32 v[2:3], s[0:1], 0, v2, 0
	v_add_co_u32_e32 v2, vcc, v4, v2
	v_addc_co_u32_e32 v2, vcc, v5, v3, vcc
	v_addc_co_u32_e32 v1, vcc, 0, v1, vcc
	v_add_co_u32_e32 v2, vcc, v2, v0
	v_addc_co_u32_e32 v3, vcc, 0, v1, vcc
	v_mul_lo_u32 v4, s49, v2
	v_mul_lo_u32 v5, s48, v3
	v_mad_u64_u32 v[0:1], s[0:1], s48, v2, 0
	v_add3_u32 v1, v1, v5, v4
	v_sub_u32_e32 v4, 0, v1
	v_mov_b32_e32 v5, s49
	v_sub_co_u32_e32 v0, vcc, v12, v0
	v_subb_co_u32_e64 v4, s[0:1], v4, v5, vcc
	v_subrev_co_u32_e64 v5, s[0:1], s48, v0
	v_subbrev_co_u32_e64 v4, s[0:1], 0, v4, s[0:1]
	v_cmp_le_u32_e64 s[0:1], s49, v4
	v_cndmask_b32_e64 v6, 0, -1, s[0:1]
	v_cmp_le_u32_e64 s[0:1], s48, v5
	v_cndmask_b32_e64 v5, 0, -1, s[0:1]
	v_cmp_eq_u32_e64 s[0:1], s49, v4
	v_cndmask_b32_e64 v4, v6, v5, s[0:1]
	v_add_co_u32_e64 v5, s[0:1], 2, v2
	v_addc_co_u32_e64 v6, s[0:1], 0, v3, s[0:1]
	v_add_co_u32_e64 v7, s[0:1], 1, v2
	v_addc_co_u32_e64 v8, s[0:1], 0, v3, s[0:1]
	v_subb_co_u32_e32 v1, vcc, 0, v1, vcc
	v_cmp_ne_u32_e64 s[0:1], 0, v4
	v_cmp_le_u32_e32 vcc, s49, v1
	v_cndmask_b32_e64 v4, v8, v6, s[0:1]
	v_cndmask_b32_e64 v6, 0, -1, vcc
	v_cmp_le_u32_e32 vcc, s48, v0
	v_cndmask_b32_e64 v0, 0, -1, vcc
	v_cmp_eq_u32_e32 vcc, s49, v1
	v_cndmask_b32_e32 v0, v6, v0, vcc
	v_cmp_ne_u32_e32 vcc, 0, v0
	v_cndmask_b32_e64 v1, v7, v5, s[0:1]
	v_cndmask_b32_e32 v1, v2, v1, vcc
	v_cndmask_b32_e32 v0, v3, v4, vcc
	v_xor_b32_e32 v1, s46, v1
	v_xor_b32_e32 v0, s47, v0
	v_mov_b32_e32 v2, s51
	v_subrev_co_u32_e32 v10, vcc, s46, v1
	v_subb_co_u32_e32 v11, vcc, v0, v2, vcc
.LBB141_5:                              ;   in Loop: Header=BB141_3 Depth=1
	s_andn2_saveexec_b64 s[0:1], s[44:45]
	s_cbranch_execz .LBB141_7
; %bb.6:                                ;   in Loop: Header=BB141_3 Depth=1
	s_sub_i32 s7, 0, s50
	v_mul_lo_u32 v0, s7, v13
	v_mul_hi_u32 v0, v13, v0
	v_add_u32_e32 v0, v13, v0
	v_mul_hi_u32 v0, v12, v0
	v_mul_lo_u32 v1, v0, s50
	v_sub_u32_e32 v1, v12, v1
	v_subrev_u32_e32 v2, s50, v1
	v_cmp_le_u32_e32 vcc, s50, v1
	v_cndmask_b32_e32 v1, v1, v2, vcc
	v_add_u32_e32 v2, 1, v0
	v_cndmask_b32_e32 v0, v0, v2, vcc
	v_add_u32_e32 v2, 1, v0
	v_cmp_le_u32_e32 vcc, s50, v1
	v_cndmask_b32_e32 v8, v0, v2, vcc
	v_pk_mov_b32 v[10:11], v[8:9], v[8:9] op_sel:[0,1]
.LBB141_7:                              ;   in Loop: Header=BB141_3 Depth=1
	s_or_b64 exec, exec, s[0:1]
	v_cmp_gt_i64_e32 vcc, s[2:3], v[10:11]
	s_mov_b64 s[44:45], -1
	s_and_saveexec_b64 s[0:1], vcc
	s_cbranch_execz .LBB141_2
; %bb.8:                                ;   in Loop: Header=BB141_3 Depth=1
	v_mul_lo_u32 v0, v10, s50
	v_sub_u32_e32 v0, v12, v0
	v_lshlrev_b32_e32 v8, 4, v0
	v_mul_lo_u32 v0, v10, s33
	v_add_lshl_u32 v14, v0, v8, 1
	buffer_load_dwordx4 v[4:7], v14, s[12:15], 0 offen
	buffer_load_dwordx4 v[0:3], v14, s[12:15], 16 offen
	v_mul_lo_u32 v14, v8, s2
	v_lshlrev_b64 v[10:11], 1, v[10:11]
	v_ashrrev_i32_e32 v15, 31, v14
	v_mov_b32_e32 v16, s9
	v_add_co_u32_e32 v17, vcc, s8, v10
	v_addc_co_u32_e32 v16, vcc, v16, v11, vcc
	v_lshlrev_b64 v[10:11], 1, v[14:15]
	v_add_co_u32_e32 v10, vcc, v17, v10
	v_addc_co_u32_e32 v11, vcc, v16, v11, vcc
	v_cmp_gt_i32_e32 vcc, s33, v8
	s_and_saveexec_b64 s[44:45], vcc
	s_cbranch_execz .LBB141_10
; %bb.9:                                ;   in Loop: Header=BB141_3 Depth=1
	s_waitcnt vmcnt(1)
	global_store_short v[10:11], v4, off
.LBB141_10:                             ;   in Loop: Header=BB141_3 Depth=1
	s_or_b64 exec, exec, s[44:45]
	v_or_b32_e32 v14, 1, v8
	v_cmp_gt_i32_e32 vcc, s33, v14
	s_and_saveexec_b64 s[44:45], vcc
	s_cbranch_execz .LBB141_12
; %bb.11:                               ;   in Loop: Header=BB141_3 Depth=1
	s_lshl_b64 s[46:47], s[2:3], 1
	v_mov_b32_e32 v15, s47
	v_add_co_u32_e32 v14, vcc, s46, v10
	v_addc_co_u32_e32 v15, vcc, v11, v15, vcc
	s_waitcnt vmcnt(1)
	global_store_short_d16_hi v[14:15], v4, off
.LBB141_12:                             ;   in Loop: Header=BB141_3 Depth=1
	s_or_b64 exec, exec, s[44:45]
	s_waitcnt vmcnt(1)
	v_or_b32_e32 v4, 2, v8
	v_cmp_gt_i32_e32 vcc, s33, v4
	s_and_saveexec_b64 s[44:45], vcc
	s_cbranch_execz .LBB141_14
; %bb.13:                               ;   in Loop: Header=BB141_3 Depth=1
	v_mov_b32_e32 v4, s11
	v_add_co_u32_e32 v14, vcc, s10, v10
	v_addc_co_u32_e32 v15, vcc, v11, v4, vcc
	global_store_short v[14:15], v5, off
.LBB141_14:                             ;   in Loop: Header=BB141_3 Depth=1
	s_or_b64 exec, exec, s[44:45]
	v_or_b32_e32 v4, 3, v8
	v_cmp_gt_i32_e32 vcc, s33, v4
	s_and_saveexec_b64 s[44:45], vcc
	s_cbranch_execz .LBB141_16
; %bb.15:                               ;   in Loop: Header=BB141_3 Depth=1
	v_mov_b32_e32 v4, s17
	v_add_co_u32_e32 v14, vcc, s16, v10
	v_addc_co_u32_e32 v15, vcc, v11, v4, vcc
	global_store_short_d16_hi v[14:15], v5, off
.LBB141_16:                             ;   in Loop: Header=BB141_3 Depth=1
	s_or_b64 exec, exec, s[44:45]
	v_or_b32_e32 v4, 4, v8
	v_cmp_gt_i32_e32 vcc, s33, v4
	s_and_saveexec_b64 s[44:45], vcc
	s_cbranch_execz .LBB141_18
; %bb.17:                               ;   in Loop: Header=BB141_3 Depth=1
	v_mov_b32_e32 v5, s19
	v_add_co_u32_e32 v4, vcc, s18, v10
	v_addc_co_u32_e32 v5, vcc, v11, v5, vcc
	global_store_short v[4:5], v6, off
.LBB141_18:                             ;   in Loop: Header=BB141_3 Depth=1
	s_or_b64 exec, exec, s[44:45]
	v_or_b32_e32 v4, 5, v8
	v_cmp_gt_i32_e32 vcc, s33, v4
	s_and_saveexec_b64 s[44:45], vcc
	s_cbranch_execz .LBB141_20
; %bb.19:                               ;   in Loop: Header=BB141_3 Depth=1
	v_mov_b32_e32 v5, s21
	v_add_co_u32_e32 v4, vcc, s20, v10
	v_addc_co_u32_e32 v5, vcc, v11, v5, vcc
	global_store_short_d16_hi v[4:5], v6, off
.LBB141_20:                             ;   in Loop: Header=BB141_3 Depth=1
	s_or_b64 exec, exec, s[44:45]
	;; [unrolled: 22-line block ×3, first 2 shown]
	v_or_b32_e32 v4, 8, v8
	v_cmp_gt_i32_e32 vcc, s33, v4
	s_and_saveexec_b64 s[44:45], vcc
	s_cbranch_execz .LBB141_26
; %bb.25:                               ;   in Loop: Header=BB141_3 Depth=1
	v_mov_b32_e32 v5, s27
	v_add_co_u32_e32 v4, vcc, s26, v10
	v_addc_co_u32_e32 v5, vcc, v11, v5, vcc
	s_waitcnt vmcnt(0)
	global_store_short v[4:5], v0, off
.LBB141_26:                             ;   in Loop: Header=BB141_3 Depth=1
	s_or_b64 exec, exec, s[44:45]
	v_or_b32_e32 v4, 9, v8
	v_cmp_gt_i32_e32 vcc, s33, v4
	s_and_saveexec_b64 s[44:45], vcc
	s_cbranch_execz .LBB141_28
; %bb.27:                               ;   in Loop: Header=BB141_3 Depth=1
	v_mov_b32_e32 v5, s29
	v_add_co_u32_e32 v4, vcc, s28, v10
	v_addc_co_u32_e32 v5, vcc, v11, v5, vcc
	s_waitcnt vmcnt(0)
	global_store_short_d16_hi v[4:5], v0, off
.LBB141_28:                             ;   in Loop: Header=BB141_3 Depth=1
	s_or_b64 exec, exec, s[44:45]
	s_waitcnt vmcnt(0)
	v_or_b32_e32 v0, 10, v8
	v_cmp_gt_i32_e32 vcc, s33, v0
	s_and_saveexec_b64 s[44:45], vcc
	s_cbranch_execz .LBB141_30
; %bb.29:                               ;   in Loop: Header=BB141_3 Depth=1
	v_mov_b32_e32 v0, s31
	v_add_co_u32_e32 v4, vcc, s30, v10
	v_addc_co_u32_e32 v5, vcc, v11, v0, vcc
	global_store_short v[4:5], v1, off
.LBB141_30:                             ;   in Loop: Header=BB141_3 Depth=1
	s_or_b64 exec, exec, s[44:45]
	v_or_b32_e32 v0, 11, v8
	v_cmp_gt_i32_e32 vcc, s33, v0
	s_and_saveexec_b64 s[44:45], vcc
	s_cbranch_execz .LBB141_32
; %bb.31:                               ;   in Loop: Header=BB141_3 Depth=1
	v_mov_b32_e32 v0, s35
	v_add_co_u32_e32 v4, vcc, s34, v10
	v_addc_co_u32_e32 v5, vcc, v11, v0, vcc
	global_store_short_d16_hi v[4:5], v1, off
.LBB141_32:                             ;   in Loop: Header=BB141_3 Depth=1
	s_or_b64 exec, exec, s[44:45]
	v_or_b32_e32 v0, 12, v8
	v_cmp_gt_i32_e32 vcc, s33, v0
	s_and_saveexec_b64 s[44:45], vcc
	s_cbranch_execz .LBB141_34
; %bb.33:                               ;   in Loop: Header=BB141_3 Depth=1
	v_mov_b32_e32 v1, s37
	v_add_co_u32_e32 v0, vcc, s36, v10
	v_addc_co_u32_e32 v1, vcc, v11, v1, vcc
	global_store_short v[0:1], v2, off
.LBB141_34:                             ;   in Loop: Header=BB141_3 Depth=1
	s_or_b64 exec, exec, s[44:45]
	v_or_b32_e32 v0, 13, v8
	v_cmp_gt_i32_e32 vcc, s33, v0
	s_and_saveexec_b64 s[44:45], vcc
	s_cbranch_execz .LBB141_36
; %bb.35:                               ;   in Loop: Header=BB141_3 Depth=1
	v_mov_b32_e32 v1, s39
	v_add_co_u32_e32 v0, vcc, s38, v10
	v_addc_co_u32_e32 v1, vcc, v11, v1, vcc
	global_store_short_d16_hi v[0:1], v2, off
.LBB141_36:                             ;   in Loop: Header=BB141_3 Depth=1
	s_or_b64 exec, exec, s[44:45]
	v_or_b32_e32 v0, 14, v8
	v_cmp_gt_i32_e32 vcc, s33, v0
	s_and_saveexec_b64 s[44:45], vcc
	s_cbranch_execz .LBB141_38
; %bb.37:                               ;   in Loop: Header=BB141_3 Depth=1
	v_mov_b32_e32 v1, s41
	v_add_co_u32_e32 v0, vcc, s40, v10
	v_addc_co_u32_e32 v1, vcc, v11, v1, vcc
	global_store_short v[0:1], v3, off
.LBB141_38:                             ;   in Loop: Header=BB141_3 Depth=1
	s_or_b64 exec, exec, s[44:45]
	v_or_b32_e32 v0, 15, v8
	v_cmp_gt_i32_e32 vcc, s33, v0
	s_and_saveexec_b64 s[44:45], vcc
	s_cbranch_execz .LBB141_1
; %bb.39:                               ;   in Loop: Header=BB141_3 Depth=1
	v_mov_b32_e32 v1, s43
	v_add_co_u32_e32 v0, vcc, s42, v10
	v_addc_co_u32_e32 v1, vcc, v11, v1, vcc
	global_store_short_d16_hi v[0:1], v3, off
	s_branch .LBB141_1
.LBB141_40:
	s_endpgm
	.section	.rodata,"a",@progbits
	.p2align	6, 0x0
	.amdhsa_kernel _ZN5aiter24partial_transpose_kernelIDF16_Li256ELi16ELi10000EEEvPT_S2_PKii
		.amdhsa_group_segment_fixed_size 0
		.amdhsa_private_segment_fixed_size 0
		.amdhsa_kernarg_size 288
		.amdhsa_user_sgpr_count 6
		.amdhsa_user_sgpr_private_segment_buffer 1
		.amdhsa_user_sgpr_dispatch_ptr 0
		.amdhsa_user_sgpr_queue_ptr 0
		.amdhsa_user_sgpr_kernarg_segment_ptr 1
		.amdhsa_user_sgpr_dispatch_id 0
		.amdhsa_user_sgpr_flat_scratch_init 0
		.amdhsa_user_sgpr_kernarg_preload_length 0
		.amdhsa_user_sgpr_kernarg_preload_offset 0
		.amdhsa_user_sgpr_private_segment_size 0
		.amdhsa_uses_dynamic_stack 0
		.amdhsa_system_sgpr_private_segment_wavefront_offset 0
		.amdhsa_system_sgpr_workgroup_id_x 1
		.amdhsa_system_sgpr_workgroup_id_y 0
		.amdhsa_system_sgpr_workgroup_id_z 0
		.amdhsa_system_sgpr_workgroup_info 0
		.amdhsa_system_vgpr_workitem_id 0
		.amdhsa_next_free_vgpr 18
		.amdhsa_next_free_sgpr 54
		.amdhsa_accum_offset 20
		.amdhsa_reserve_vcc 1
		.amdhsa_reserve_flat_scratch 0
		.amdhsa_float_round_mode_32 0
		.amdhsa_float_round_mode_16_64 0
		.amdhsa_float_denorm_mode_32 3
		.amdhsa_float_denorm_mode_16_64 3
		.amdhsa_dx10_clamp 1
		.amdhsa_ieee_mode 1
		.amdhsa_fp16_overflow 0
		.amdhsa_tg_split 0
		.amdhsa_exception_fp_ieee_invalid_op 0
		.amdhsa_exception_fp_denorm_src 0
		.amdhsa_exception_fp_ieee_div_zero 0
		.amdhsa_exception_fp_ieee_overflow 0
		.amdhsa_exception_fp_ieee_underflow 0
		.amdhsa_exception_fp_ieee_inexact 0
		.amdhsa_exception_int_div_zero 0
	.end_amdhsa_kernel
	.section	.text._ZN5aiter24partial_transpose_kernelIDF16_Li256ELi16ELi10000EEEvPT_S2_PKii,"axG",@progbits,_ZN5aiter24partial_transpose_kernelIDF16_Li256ELi16ELi10000EEEvPT_S2_PKii,comdat
.Lfunc_end141:
	.size	_ZN5aiter24partial_transpose_kernelIDF16_Li256ELi16ELi10000EEEvPT_S2_PKii, .Lfunc_end141-_ZN5aiter24partial_transpose_kernelIDF16_Li256ELi16ELi10000EEEvPT_S2_PKii
                                        ; -- End function
	.section	.AMDGPU.csdata,"",@progbits
; Kernel info:
; codeLenInByte = 1920
; NumSgprs: 58
; NumVgprs: 18
; NumAgprs: 0
; TotalNumVgprs: 18
; ScratchSize: 0
; MemoryBound: 0
; FloatMode: 240
; IeeeMode: 1
; LDSByteSize: 0 bytes/workgroup (compile time only)
; SGPRBlocks: 7
; VGPRBlocks: 2
; NumSGPRsForWavesPerEU: 58
; NumVGPRsForWavesPerEU: 18
; AccumOffset: 20
; Occupancy: 8
; WaveLimiterHint : 1
; COMPUTE_PGM_RSRC2:SCRATCH_EN: 0
; COMPUTE_PGM_RSRC2:USER_SGPR: 6
; COMPUTE_PGM_RSRC2:TRAP_HANDLER: 0
; COMPUTE_PGM_RSRC2:TGID_X_EN: 1
; COMPUTE_PGM_RSRC2:TGID_Y_EN: 0
; COMPUTE_PGM_RSRC2:TGID_Z_EN: 0
; COMPUTE_PGM_RSRC2:TIDIG_COMP_CNT: 0
; COMPUTE_PGM_RSRC3_GFX90A:ACCUM_OFFSET: 4
; COMPUTE_PGM_RSRC3_GFX90A:TG_SPLIT: 0
	.section	.text._ZN5aiter24partial_transpose_kernelItLi256ELi16ELi10000EEEvPT_S2_PKii,"axG",@progbits,_ZN5aiter24partial_transpose_kernelItLi256ELi16ELi10000EEEvPT_S2_PKii,comdat
	.protected	_ZN5aiter24partial_transpose_kernelItLi256ELi16ELi10000EEEvPT_S2_PKii ; -- Begin function _ZN5aiter24partial_transpose_kernelItLi256ELi16ELi10000EEEvPT_S2_PKii
	.globl	_ZN5aiter24partial_transpose_kernelItLi256ELi16ELi10000EEEvPT_S2_PKii
	.p2align	8
	.type	_ZN5aiter24partial_transpose_kernelItLi256ELi16ELi10000EEEvPT_S2_PKii,@function
_ZN5aiter24partial_transpose_kernelItLi256ELi16ELi10000EEEvPT_S2_PKii: ; @_ZN5aiter24partial_transpose_kernelItLi256ELi16ELi10000EEEvPT_S2_PKii
; %bb.0:
	s_load_dwordx2 s[0:1], s[4:5], 0x10
	s_load_dword s33, s[4:5], 0x18
	s_load_dwordx4 s[8:11], s[4:5], 0x0
	v_lshl_add_u32 v12, s6, 8, v0
	s_mov_b32 s15, 0x20000
	s_waitcnt lgkmcnt(0)
	s_load_dword s2, s[0:1], 0x0
	s_load_dword s7, s[4:5], 0x20
	s_add_i32 s0, s33, 15
	s_ashr_i32 s1, s0, 31
	s_lshr_b32 s1, s1, 28
	s_add_i32 s0, s0, s1
	s_ashr_i32 s50, s0, 4
	v_cvt_f32_u32_e32 v0, s50
	s_waitcnt lgkmcnt(0)
	s_mul_i32 s0, s2, s33
	s_add_i32 s0, s0, 1
	s_lshr_b32 s1, s0, 31
	v_rcp_iflag_f32_e32 v0, v0
	s_add_i32 s0, s0, s1
	s_lshl_b32 s0, s0, 1
	s_and_b32 s14, s0, -4
	v_mul_f32_e32 v0, 0x4f7ffffe, v0
	v_cvt_u32_f32_e32 v13, v0
	s_lshl_b32 s0, s2, 1
	s_mul_i32 s16, s2, 3
	s_lshl_b32 s18, s2, 2
	s_mul_i32 s20, s2, 5
	s_mul_i32 s22, s2, 6
	;; [unrolled: 1-line block ×3, first 2 shown]
	s_lshl_b32 s26, s2, 3
	s_mul_i32 s28, s2, 9
	s_mul_i32 s30, s2, 10
	;; [unrolled: 1-line block ×7, first 2 shown]
	s_and_b32 s11, s11, 0xffff
	s_ashr_i32 s1, s0, 31
	s_ashr_i32 s17, s16, 31
	s_ashr_i32 s19, s18, 31
	s_ashr_i32 s21, s20, 31
	s_ashr_i32 s23, s22, 31
	s_ashr_i32 s25, s24, 31
	s_ashr_i32 s27, s26, 31
	s_ashr_i32 s29, s28, 31
	s_ashr_i32 s31, s30, 31
	s_ashr_i32 s35, s34, 31
	s_ashr_i32 s37, s36, 31
	s_ashr_i32 s39, s38, 31
	s_ashr_i32 s41, s40, 31
	s_ashr_i32 s43, s42, 31
	s_ashr_i32 s3, s2, 31
	s_mov_b64 s[12:13], s[10:11]
	s_ashr_i32 s51, s50, 31
	s_lshl_b32 s52, s7, 8
	s_movk_i32 s53, 0x2710
	s_mov_b64 s[4:5], 0
	v_mov_b32_e32 v9, 0
	s_mov_b32 s6, 0
	s_lshl_b64 s[10:11], s[0:1], 1
	s_lshl_b64 s[16:17], s[16:17], 1
	;; [unrolled: 1-line block ×14, first 2 shown]
	s_branch .LBB142_3
.LBB142_1:                              ;   in Loop: Header=BB142_3 Depth=1
	s_or_b64 exec, exec, s[44:45]
	s_add_i32 s53, s53, -1
	s_cmp_eq_u32 s53, 0
	s_cselect_b64 s[44:45], -1, 0
	v_add_u32_e32 v12, s52, v12
	s_orn2_b64 s[44:45], s[44:45], exec
.LBB142_2:                              ;   in Loop: Header=BB142_3 Depth=1
	s_or_b64 exec, exec, s[0:1]
	s_and_b64 s[0:1], exec, s[44:45]
	s_or_b64 s[4:5], s[0:1], s[4:5]
	s_andn2_b64 exec, exec, s[4:5]
	s_cbranch_execz .LBB142_40
.LBB142_3:                              ; =>This Inner Loop Header: Depth=1
	s_mov_b32 s7, s51
	s_cmp_lg_u64 s[6:7], 0
	s_cselect_b64 s[0:1], -1, 0
                                        ; implicit-def: $vgpr10_vgpr11
	s_and_saveexec_b64 s[44:45], s[0:1]
	s_xor_b64 s[44:45], exec, s[44:45]
	s_cbranch_execz .LBB142_5
; %bb.4:                                ;   in Loop: Header=BB142_3 Depth=1
	s_add_u32 s0, s50, s51
	s_mov_b32 s46, s51
	s_mov_b32 s47, s51
	s_addc_u32 s1, s51, s51
	s_xor_b64 s[48:49], s[0:1], s[46:47]
	v_cvt_f32_u32_e32 v0, s48
	v_cvt_f32_u32_e32 v1, s49
	s_sub_u32 s0, 0, s48
	s_subb_u32 s1, 0, s49
	v_mac_f32_e32 v0, 0x4f800000, v1
	v_rcp_f32_e32 v0, v0
	v_mul_f32_e32 v0, 0x5f7ffffc, v0
	v_mul_f32_e32 v1, 0x2f800000, v0
	v_trunc_f32_e32 v1, v1
	v_mac_f32_e32 v0, 0xcf800000, v1
	v_cvt_u32_f32_e32 v1, v1
	v_cvt_u32_f32_e32 v0, v0
	v_mul_lo_u32 v2, s0, v1
	v_mul_hi_u32 v4, s0, v0
	v_mul_lo_u32 v3, s1, v0
	v_add_u32_e32 v2, v4, v2
	v_mul_lo_u32 v5, s0, v0
	v_add_u32_e32 v2, v2, v3
	v_mul_lo_u32 v4, v0, v2
	v_mul_hi_u32 v6, v0, v5
	v_mul_hi_u32 v3, v0, v2
	v_add_co_u32_e32 v4, vcc, v6, v4
	v_addc_co_u32_e32 v3, vcc, 0, v3, vcc
	v_mul_hi_u32 v7, v1, v5
	v_mul_lo_u32 v5, v1, v5
	v_add_co_u32_e32 v4, vcc, v4, v5
	v_mul_hi_u32 v6, v1, v2
	v_addc_co_u32_e32 v3, vcc, v3, v7, vcc
	v_addc_co_u32_e32 v4, vcc, 0, v6, vcc
	v_mul_lo_u32 v2, v1, v2
	v_add_co_u32_e32 v2, vcc, v3, v2
	v_addc_co_u32_e32 v3, vcc, 0, v4, vcc
	v_add_co_u32_e32 v0, vcc, v0, v2
	v_addc_co_u32_e32 v1, vcc, v1, v3, vcc
	v_mul_lo_u32 v2, s0, v1
	v_mul_hi_u32 v3, s0, v0
	v_add_u32_e32 v2, v3, v2
	v_mul_lo_u32 v3, s1, v0
	v_add_u32_e32 v2, v2, v3
	v_mul_lo_u32 v4, s0, v0
	v_mul_hi_u32 v5, v1, v4
	v_mul_lo_u32 v6, v1, v4
	v_mul_lo_u32 v8, v0, v2
	v_mul_hi_u32 v4, v0, v4
	v_mul_hi_u32 v7, v0, v2
	v_add_co_u32_e32 v4, vcc, v4, v8
	v_addc_co_u32_e32 v7, vcc, 0, v7, vcc
	v_add_co_u32_e32 v4, vcc, v4, v6
	v_mul_hi_u32 v3, v1, v2
	v_addc_co_u32_e32 v4, vcc, v7, v5, vcc
	v_addc_co_u32_e32 v3, vcc, 0, v3, vcc
	v_mul_lo_u32 v2, v1, v2
	v_add_co_u32_e32 v2, vcc, v4, v2
	v_addc_co_u32_e32 v3, vcc, 0, v3, vcc
	v_add_co_u32_e32 v2, vcc, v0, v2
	v_addc_co_u32_e32 v3, vcc, v1, v3, vcc
	v_mad_u64_u32 v[0:1], s[0:1], v12, v3, 0
	v_mul_hi_u32 v4, v12, v2
	v_add_co_u32_e32 v4, vcc, v4, v0
	v_addc_co_u32_e32 v5, vcc, 0, v1, vcc
	v_mad_u64_u32 v[0:1], s[0:1], 0, v3, 0
	v_mad_u64_u32 v[2:3], s[0:1], 0, v2, 0
	v_add_co_u32_e32 v2, vcc, v4, v2
	v_addc_co_u32_e32 v2, vcc, v5, v3, vcc
	v_addc_co_u32_e32 v1, vcc, 0, v1, vcc
	v_add_co_u32_e32 v2, vcc, v2, v0
	v_addc_co_u32_e32 v3, vcc, 0, v1, vcc
	v_mul_lo_u32 v4, s49, v2
	v_mul_lo_u32 v5, s48, v3
	v_mad_u64_u32 v[0:1], s[0:1], s48, v2, 0
	v_add3_u32 v1, v1, v5, v4
	v_sub_u32_e32 v4, 0, v1
	v_mov_b32_e32 v5, s49
	v_sub_co_u32_e32 v0, vcc, v12, v0
	v_subb_co_u32_e64 v4, s[0:1], v4, v5, vcc
	v_subrev_co_u32_e64 v5, s[0:1], s48, v0
	v_subbrev_co_u32_e64 v4, s[0:1], 0, v4, s[0:1]
	v_cmp_le_u32_e64 s[0:1], s49, v4
	v_cndmask_b32_e64 v6, 0, -1, s[0:1]
	v_cmp_le_u32_e64 s[0:1], s48, v5
	v_cndmask_b32_e64 v5, 0, -1, s[0:1]
	v_cmp_eq_u32_e64 s[0:1], s49, v4
	v_cndmask_b32_e64 v4, v6, v5, s[0:1]
	v_add_co_u32_e64 v5, s[0:1], 2, v2
	v_addc_co_u32_e64 v6, s[0:1], 0, v3, s[0:1]
	v_add_co_u32_e64 v7, s[0:1], 1, v2
	v_addc_co_u32_e64 v8, s[0:1], 0, v3, s[0:1]
	v_subb_co_u32_e32 v1, vcc, 0, v1, vcc
	v_cmp_ne_u32_e64 s[0:1], 0, v4
	v_cmp_le_u32_e32 vcc, s49, v1
	v_cndmask_b32_e64 v4, v8, v6, s[0:1]
	v_cndmask_b32_e64 v6, 0, -1, vcc
	v_cmp_le_u32_e32 vcc, s48, v0
	v_cndmask_b32_e64 v0, 0, -1, vcc
	v_cmp_eq_u32_e32 vcc, s49, v1
	v_cndmask_b32_e32 v0, v6, v0, vcc
	v_cmp_ne_u32_e32 vcc, 0, v0
	v_cndmask_b32_e64 v1, v7, v5, s[0:1]
	v_cndmask_b32_e32 v1, v2, v1, vcc
	v_cndmask_b32_e32 v0, v3, v4, vcc
	v_xor_b32_e32 v1, s46, v1
	v_xor_b32_e32 v0, s47, v0
	v_mov_b32_e32 v2, s51
	v_subrev_co_u32_e32 v10, vcc, s46, v1
	v_subb_co_u32_e32 v11, vcc, v0, v2, vcc
.LBB142_5:                              ;   in Loop: Header=BB142_3 Depth=1
	s_andn2_saveexec_b64 s[0:1], s[44:45]
	s_cbranch_execz .LBB142_7
; %bb.6:                                ;   in Loop: Header=BB142_3 Depth=1
	s_sub_i32 s7, 0, s50
	v_mul_lo_u32 v0, s7, v13
	v_mul_hi_u32 v0, v13, v0
	v_add_u32_e32 v0, v13, v0
	v_mul_hi_u32 v0, v12, v0
	v_mul_lo_u32 v1, v0, s50
	v_sub_u32_e32 v1, v12, v1
	v_subrev_u32_e32 v2, s50, v1
	v_cmp_le_u32_e32 vcc, s50, v1
	v_cndmask_b32_e32 v1, v1, v2, vcc
	v_add_u32_e32 v2, 1, v0
	v_cndmask_b32_e32 v0, v0, v2, vcc
	v_add_u32_e32 v2, 1, v0
	v_cmp_le_u32_e32 vcc, s50, v1
	v_cndmask_b32_e32 v8, v0, v2, vcc
	v_pk_mov_b32 v[10:11], v[8:9], v[8:9] op_sel:[0,1]
.LBB142_7:                              ;   in Loop: Header=BB142_3 Depth=1
	s_or_b64 exec, exec, s[0:1]
	v_cmp_gt_i64_e32 vcc, s[2:3], v[10:11]
	s_mov_b64 s[44:45], -1
	s_and_saveexec_b64 s[0:1], vcc
	s_cbranch_execz .LBB142_2
; %bb.8:                                ;   in Loop: Header=BB142_3 Depth=1
	v_mul_lo_u32 v0, v10, s50
	v_sub_u32_e32 v0, v12, v0
	v_lshlrev_b32_e32 v8, 4, v0
	v_mul_lo_u32 v0, v10, s33
	v_add_lshl_u32 v14, v0, v8, 1
	buffer_load_dwordx4 v[4:7], v14, s[12:15], 0 offen
	buffer_load_dwordx4 v[0:3], v14, s[12:15], 16 offen
	v_mul_lo_u32 v14, v8, s2
	v_lshlrev_b64 v[10:11], 1, v[10:11]
	v_ashrrev_i32_e32 v15, 31, v14
	v_mov_b32_e32 v16, s9
	v_add_co_u32_e32 v17, vcc, s8, v10
	v_addc_co_u32_e32 v16, vcc, v16, v11, vcc
	v_lshlrev_b64 v[10:11], 1, v[14:15]
	v_add_co_u32_e32 v10, vcc, v17, v10
	v_addc_co_u32_e32 v11, vcc, v16, v11, vcc
	v_cmp_gt_i32_e32 vcc, s33, v8
	s_and_saveexec_b64 s[44:45], vcc
	s_cbranch_execz .LBB142_10
; %bb.9:                                ;   in Loop: Header=BB142_3 Depth=1
	s_waitcnt vmcnt(1)
	global_store_short v[10:11], v4, off
.LBB142_10:                             ;   in Loop: Header=BB142_3 Depth=1
	s_or_b64 exec, exec, s[44:45]
	v_or_b32_e32 v14, 1, v8
	v_cmp_gt_i32_e32 vcc, s33, v14
	s_and_saveexec_b64 s[44:45], vcc
	s_cbranch_execz .LBB142_12
; %bb.11:                               ;   in Loop: Header=BB142_3 Depth=1
	s_lshl_b64 s[46:47], s[2:3], 1
	v_mov_b32_e32 v15, s47
	v_add_co_u32_e32 v14, vcc, s46, v10
	v_addc_co_u32_e32 v15, vcc, v11, v15, vcc
	s_waitcnt vmcnt(1)
	global_store_short_d16_hi v[14:15], v4, off
.LBB142_12:                             ;   in Loop: Header=BB142_3 Depth=1
	s_or_b64 exec, exec, s[44:45]
	s_waitcnt vmcnt(1)
	v_or_b32_e32 v4, 2, v8
	v_cmp_gt_i32_e32 vcc, s33, v4
	s_and_saveexec_b64 s[44:45], vcc
	s_cbranch_execz .LBB142_14
; %bb.13:                               ;   in Loop: Header=BB142_3 Depth=1
	v_mov_b32_e32 v4, s11
	v_add_co_u32_e32 v14, vcc, s10, v10
	v_addc_co_u32_e32 v15, vcc, v11, v4, vcc
	global_store_short v[14:15], v5, off
.LBB142_14:                             ;   in Loop: Header=BB142_3 Depth=1
	s_or_b64 exec, exec, s[44:45]
	v_or_b32_e32 v4, 3, v8
	v_cmp_gt_i32_e32 vcc, s33, v4
	s_and_saveexec_b64 s[44:45], vcc
	s_cbranch_execz .LBB142_16
; %bb.15:                               ;   in Loop: Header=BB142_3 Depth=1
	v_mov_b32_e32 v4, s17
	v_add_co_u32_e32 v14, vcc, s16, v10
	v_addc_co_u32_e32 v15, vcc, v11, v4, vcc
	global_store_short_d16_hi v[14:15], v5, off
.LBB142_16:                             ;   in Loop: Header=BB142_3 Depth=1
	s_or_b64 exec, exec, s[44:45]
	v_or_b32_e32 v4, 4, v8
	v_cmp_gt_i32_e32 vcc, s33, v4
	s_and_saveexec_b64 s[44:45], vcc
	s_cbranch_execz .LBB142_18
; %bb.17:                               ;   in Loop: Header=BB142_3 Depth=1
	v_mov_b32_e32 v5, s19
	v_add_co_u32_e32 v4, vcc, s18, v10
	v_addc_co_u32_e32 v5, vcc, v11, v5, vcc
	global_store_short v[4:5], v6, off
.LBB142_18:                             ;   in Loop: Header=BB142_3 Depth=1
	s_or_b64 exec, exec, s[44:45]
	v_or_b32_e32 v4, 5, v8
	v_cmp_gt_i32_e32 vcc, s33, v4
	s_and_saveexec_b64 s[44:45], vcc
	s_cbranch_execz .LBB142_20
; %bb.19:                               ;   in Loop: Header=BB142_3 Depth=1
	v_mov_b32_e32 v5, s21
	v_add_co_u32_e32 v4, vcc, s20, v10
	v_addc_co_u32_e32 v5, vcc, v11, v5, vcc
	global_store_short_d16_hi v[4:5], v6, off
.LBB142_20:                             ;   in Loop: Header=BB142_3 Depth=1
	s_or_b64 exec, exec, s[44:45]
	;; [unrolled: 22-line block ×3, first 2 shown]
	v_or_b32_e32 v4, 8, v8
	v_cmp_gt_i32_e32 vcc, s33, v4
	s_and_saveexec_b64 s[44:45], vcc
	s_cbranch_execz .LBB142_26
; %bb.25:                               ;   in Loop: Header=BB142_3 Depth=1
	v_mov_b32_e32 v5, s27
	v_add_co_u32_e32 v4, vcc, s26, v10
	v_addc_co_u32_e32 v5, vcc, v11, v5, vcc
	s_waitcnt vmcnt(0)
	global_store_short v[4:5], v0, off
.LBB142_26:                             ;   in Loop: Header=BB142_3 Depth=1
	s_or_b64 exec, exec, s[44:45]
	v_or_b32_e32 v4, 9, v8
	v_cmp_gt_i32_e32 vcc, s33, v4
	s_and_saveexec_b64 s[44:45], vcc
	s_cbranch_execz .LBB142_28
; %bb.27:                               ;   in Loop: Header=BB142_3 Depth=1
	v_mov_b32_e32 v5, s29
	v_add_co_u32_e32 v4, vcc, s28, v10
	v_addc_co_u32_e32 v5, vcc, v11, v5, vcc
	s_waitcnt vmcnt(0)
	global_store_short_d16_hi v[4:5], v0, off
.LBB142_28:                             ;   in Loop: Header=BB142_3 Depth=1
	s_or_b64 exec, exec, s[44:45]
	s_waitcnt vmcnt(0)
	v_or_b32_e32 v0, 10, v8
	v_cmp_gt_i32_e32 vcc, s33, v0
	s_and_saveexec_b64 s[44:45], vcc
	s_cbranch_execz .LBB142_30
; %bb.29:                               ;   in Loop: Header=BB142_3 Depth=1
	v_mov_b32_e32 v0, s31
	v_add_co_u32_e32 v4, vcc, s30, v10
	v_addc_co_u32_e32 v5, vcc, v11, v0, vcc
	global_store_short v[4:5], v1, off
.LBB142_30:                             ;   in Loop: Header=BB142_3 Depth=1
	s_or_b64 exec, exec, s[44:45]
	v_or_b32_e32 v0, 11, v8
	v_cmp_gt_i32_e32 vcc, s33, v0
	s_and_saveexec_b64 s[44:45], vcc
	s_cbranch_execz .LBB142_32
; %bb.31:                               ;   in Loop: Header=BB142_3 Depth=1
	v_mov_b32_e32 v0, s35
	v_add_co_u32_e32 v4, vcc, s34, v10
	v_addc_co_u32_e32 v5, vcc, v11, v0, vcc
	global_store_short_d16_hi v[4:5], v1, off
.LBB142_32:                             ;   in Loop: Header=BB142_3 Depth=1
	s_or_b64 exec, exec, s[44:45]
	v_or_b32_e32 v0, 12, v8
	v_cmp_gt_i32_e32 vcc, s33, v0
	s_and_saveexec_b64 s[44:45], vcc
	s_cbranch_execz .LBB142_34
; %bb.33:                               ;   in Loop: Header=BB142_3 Depth=1
	v_mov_b32_e32 v1, s37
	v_add_co_u32_e32 v0, vcc, s36, v10
	v_addc_co_u32_e32 v1, vcc, v11, v1, vcc
	global_store_short v[0:1], v2, off
.LBB142_34:                             ;   in Loop: Header=BB142_3 Depth=1
	s_or_b64 exec, exec, s[44:45]
	v_or_b32_e32 v0, 13, v8
	v_cmp_gt_i32_e32 vcc, s33, v0
	s_and_saveexec_b64 s[44:45], vcc
	s_cbranch_execz .LBB142_36
; %bb.35:                               ;   in Loop: Header=BB142_3 Depth=1
	v_mov_b32_e32 v1, s39
	v_add_co_u32_e32 v0, vcc, s38, v10
	v_addc_co_u32_e32 v1, vcc, v11, v1, vcc
	global_store_short_d16_hi v[0:1], v2, off
.LBB142_36:                             ;   in Loop: Header=BB142_3 Depth=1
	s_or_b64 exec, exec, s[44:45]
	v_or_b32_e32 v0, 14, v8
	v_cmp_gt_i32_e32 vcc, s33, v0
	s_and_saveexec_b64 s[44:45], vcc
	s_cbranch_execz .LBB142_38
; %bb.37:                               ;   in Loop: Header=BB142_3 Depth=1
	v_mov_b32_e32 v1, s41
	v_add_co_u32_e32 v0, vcc, s40, v10
	v_addc_co_u32_e32 v1, vcc, v11, v1, vcc
	global_store_short v[0:1], v3, off
.LBB142_38:                             ;   in Loop: Header=BB142_3 Depth=1
	s_or_b64 exec, exec, s[44:45]
	v_or_b32_e32 v0, 15, v8
	v_cmp_gt_i32_e32 vcc, s33, v0
	s_and_saveexec_b64 s[44:45], vcc
	s_cbranch_execz .LBB142_1
; %bb.39:                               ;   in Loop: Header=BB142_3 Depth=1
	v_mov_b32_e32 v1, s43
	v_add_co_u32_e32 v0, vcc, s42, v10
	v_addc_co_u32_e32 v1, vcc, v11, v1, vcc
	global_store_short_d16_hi v[0:1], v3, off
	s_branch .LBB142_1
.LBB142_40:
	s_endpgm
	.section	.rodata,"a",@progbits
	.p2align	6, 0x0
	.amdhsa_kernel _ZN5aiter24partial_transpose_kernelItLi256ELi16ELi10000EEEvPT_S2_PKii
		.amdhsa_group_segment_fixed_size 0
		.amdhsa_private_segment_fixed_size 0
		.amdhsa_kernarg_size 288
		.amdhsa_user_sgpr_count 6
		.amdhsa_user_sgpr_private_segment_buffer 1
		.amdhsa_user_sgpr_dispatch_ptr 0
		.amdhsa_user_sgpr_queue_ptr 0
		.amdhsa_user_sgpr_kernarg_segment_ptr 1
		.amdhsa_user_sgpr_dispatch_id 0
		.amdhsa_user_sgpr_flat_scratch_init 0
		.amdhsa_user_sgpr_kernarg_preload_length 0
		.amdhsa_user_sgpr_kernarg_preload_offset 0
		.amdhsa_user_sgpr_private_segment_size 0
		.amdhsa_uses_dynamic_stack 0
		.amdhsa_system_sgpr_private_segment_wavefront_offset 0
		.amdhsa_system_sgpr_workgroup_id_x 1
		.amdhsa_system_sgpr_workgroup_id_y 0
		.amdhsa_system_sgpr_workgroup_id_z 0
		.amdhsa_system_sgpr_workgroup_info 0
		.amdhsa_system_vgpr_workitem_id 0
		.amdhsa_next_free_vgpr 18
		.amdhsa_next_free_sgpr 54
		.amdhsa_accum_offset 20
		.amdhsa_reserve_vcc 1
		.amdhsa_reserve_flat_scratch 0
		.amdhsa_float_round_mode_32 0
		.amdhsa_float_round_mode_16_64 0
		.amdhsa_float_denorm_mode_32 3
		.amdhsa_float_denorm_mode_16_64 3
		.amdhsa_dx10_clamp 1
		.amdhsa_ieee_mode 1
		.amdhsa_fp16_overflow 0
		.amdhsa_tg_split 0
		.amdhsa_exception_fp_ieee_invalid_op 0
		.amdhsa_exception_fp_denorm_src 0
		.amdhsa_exception_fp_ieee_div_zero 0
		.amdhsa_exception_fp_ieee_overflow 0
		.amdhsa_exception_fp_ieee_underflow 0
		.amdhsa_exception_fp_ieee_inexact 0
		.amdhsa_exception_int_div_zero 0
	.end_amdhsa_kernel
	.section	.text._ZN5aiter24partial_transpose_kernelItLi256ELi16ELi10000EEEvPT_S2_PKii,"axG",@progbits,_ZN5aiter24partial_transpose_kernelItLi256ELi16ELi10000EEEvPT_S2_PKii,comdat
.Lfunc_end142:
	.size	_ZN5aiter24partial_transpose_kernelItLi256ELi16ELi10000EEEvPT_S2_PKii, .Lfunc_end142-_ZN5aiter24partial_transpose_kernelItLi256ELi16ELi10000EEEvPT_S2_PKii
                                        ; -- End function
	.section	.AMDGPU.csdata,"",@progbits
; Kernel info:
; codeLenInByte = 1920
; NumSgprs: 58
; NumVgprs: 18
; NumAgprs: 0
; TotalNumVgprs: 18
; ScratchSize: 0
; MemoryBound: 0
; FloatMode: 240
; IeeeMode: 1
; LDSByteSize: 0 bytes/workgroup (compile time only)
; SGPRBlocks: 7
; VGPRBlocks: 2
; NumSGPRsForWavesPerEU: 58
; NumVGPRsForWavesPerEU: 18
; AccumOffset: 20
; Occupancy: 8
; WaveLimiterHint : 1
; COMPUTE_PGM_RSRC2:SCRATCH_EN: 0
; COMPUTE_PGM_RSRC2:USER_SGPR: 6
; COMPUTE_PGM_RSRC2:TRAP_HANDLER: 0
; COMPUTE_PGM_RSRC2:TGID_X_EN: 1
; COMPUTE_PGM_RSRC2:TGID_Y_EN: 0
; COMPUTE_PGM_RSRC2:TGID_Z_EN: 0
; COMPUTE_PGM_RSRC2:TIDIG_COMP_CNT: 0
; COMPUTE_PGM_RSRC3_GFX90A:ACCUM_OFFSET: 4
; COMPUTE_PGM_RSRC3_GFX90A:TG_SPLIT: 0
	.section	.text._ZN5aiter24partial_transpose_kernelIfLi512ELi16ELi10000EEEvPT_S2_PKii,"axG",@progbits,_ZN5aiter24partial_transpose_kernelIfLi512ELi16ELi10000EEEvPT_S2_PKii,comdat
	.protected	_ZN5aiter24partial_transpose_kernelIfLi512ELi16ELi10000EEEvPT_S2_PKii ; -- Begin function _ZN5aiter24partial_transpose_kernelIfLi512ELi16ELi10000EEEvPT_S2_PKii
	.globl	_ZN5aiter24partial_transpose_kernelIfLi512ELi16ELi10000EEEvPT_S2_PKii
	.p2align	8
	.type	_ZN5aiter24partial_transpose_kernelIfLi512ELi16ELi10000EEEvPT_S2_PKii,@function
_ZN5aiter24partial_transpose_kernelIfLi512ELi16ELi10000EEEvPT_S2_PKii: ; @_ZN5aiter24partial_transpose_kernelIfLi512ELi16ELi10000EEEvPT_S2_PKii
; %bb.0:
	s_load_dwordx2 s[0:1], s[4:5], 0x10
	s_load_dword s33, s[4:5], 0x18
	s_load_dwordx4 s[8:11], s[4:5], 0x0
	v_lshl_add_u32 v20, s6, 9, v0
	s_mov_b32 s15, 0x20000
	s_waitcnt lgkmcnt(0)
	s_load_dword s2, s[0:1], 0x0
	s_load_dword s7, s[4:5], 0x20
	s_add_i32 s0, s33, 15
	s_ashr_i32 s1, s0, 31
	s_lshr_b32 s1, s1, 28
	s_add_i32 s0, s0, s1
	s_ashr_i32 s50, s0, 4
	v_cvt_f32_u32_e32 v0, s50
	s_waitcnt lgkmcnt(0)
	s_mul_i32 s0, s33, s2
	s_lshl_b32 s14, s0, 2
	s_lshl_b32 s0, s2, 1
	v_rcp_iflag_f32_e32 v0, v0
	s_mul_i32 s16, s2, 3
	s_lshl_b32 s18, s2, 2
	s_mul_i32 s20, s2, 5
	v_mul_f32_e32 v0, 0x4f7ffffe, v0
	v_cvt_u32_f32_e32 v21, v0
	s_mul_i32 s22, s2, 6
	s_mul_i32 s24, s2, 7
	s_lshl_b32 s26, s2, 3
	s_mul_i32 s28, s2, 9
	s_mul_i32 s30, s2, 10
	;; [unrolled: 1-line block ×7, first 2 shown]
	s_and_b32 s11, s11, 0xffff
	s_ashr_i32 s1, s0, 31
	s_ashr_i32 s17, s16, 31
	;; [unrolled: 1-line block ×15, first 2 shown]
	s_mov_b64 s[12:13], s[10:11]
	s_ashr_i32 s51, s50, 31
	s_lshl_b32 s52, s7, 9
	s_movk_i32 s53, 0x2710
	s_mov_b64 s[4:5], 0
	v_mov_b32_e32 v17, 0
	s_mov_b32 s6, 0
	s_lshl_b64 s[10:11], s[0:1], 2
	s_lshl_b64 s[16:17], s[16:17], 2
	;; [unrolled: 1-line block ×14, first 2 shown]
	s_branch .LBB143_3
.LBB143_1:                              ;   in Loop: Header=BB143_3 Depth=1
	s_or_b64 exec, exec, s[44:45]
	s_add_i32 s53, s53, -1
	s_cmp_eq_u32 s53, 0
	s_cselect_b64 s[44:45], -1, 0
	v_add_u32_e32 v20, s52, v20
	s_orn2_b64 s[44:45], s[44:45], exec
.LBB143_2:                              ;   in Loop: Header=BB143_3 Depth=1
	s_or_b64 exec, exec, s[0:1]
	s_and_b64 s[0:1], exec, s[44:45]
	s_or_b64 s[4:5], s[0:1], s[4:5]
	s_andn2_b64 exec, exec, s[4:5]
	s_cbranch_execz .LBB143_40
.LBB143_3:                              ; =>This Inner Loop Header: Depth=1
	s_mov_b32 s7, s51
	s_cmp_lg_u64 s[6:7], 0
	s_cselect_b64 s[0:1], -1, 0
                                        ; implicit-def: $vgpr18_vgpr19
	s_and_saveexec_b64 s[44:45], s[0:1]
	s_xor_b64 s[44:45], exec, s[44:45]
	s_cbranch_execz .LBB143_5
; %bb.4:                                ;   in Loop: Header=BB143_3 Depth=1
	s_add_u32 s0, s50, s51
	s_mov_b32 s46, s51
	s_mov_b32 s47, s51
	s_addc_u32 s1, s51, s51
	s_xor_b64 s[48:49], s[0:1], s[46:47]
	v_cvt_f32_u32_e32 v0, s48
	v_cvt_f32_u32_e32 v1, s49
	s_sub_u32 s0, 0, s48
	s_subb_u32 s1, 0, s49
	v_mac_f32_e32 v0, 0x4f800000, v1
	v_rcp_f32_e32 v0, v0
	v_mul_f32_e32 v0, 0x5f7ffffc, v0
	v_mul_f32_e32 v1, 0x2f800000, v0
	v_trunc_f32_e32 v1, v1
	v_mac_f32_e32 v0, 0xcf800000, v1
	v_cvt_u32_f32_e32 v1, v1
	v_cvt_u32_f32_e32 v0, v0
	v_mul_lo_u32 v2, s0, v1
	v_mul_hi_u32 v4, s0, v0
	v_mul_lo_u32 v3, s1, v0
	v_add_u32_e32 v2, v4, v2
	v_mul_lo_u32 v5, s0, v0
	v_add_u32_e32 v2, v2, v3
	v_mul_lo_u32 v4, v0, v2
	v_mul_hi_u32 v6, v0, v5
	v_mul_hi_u32 v3, v0, v2
	v_add_co_u32_e32 v4, vcc, v6, v4
	v_addc_co_u32_e32 v3, vcc, 0, v3, vcc
	v_mul_hi_u32 v7, v1, v5
	v_mul_lo_u32 v5, v1, v5
	v_add_co_u32_e32 v4, vcc, v4, v5
	v_mul_hi_u32 v6, v1, v2
	v_addc_co_u32_e32 v3, vcc, v3, v7, vcc
	v_addc_co_u32_e32 v4, vcc, 0, v6, vcc
	v_mul_lo_u32 v2, v1, v2
	v_add_co_u32_e32 v2, vcc, v3, v2
	v_addc_co_u32_e32 v3, vcc, 0, v4, vcc
	v_add_co_u32_e32 v0, vcc, v0, v2
	v_addc_co_u32_e32 v1, vcc, v1, v3, vcc
	v_mul_lo_u32 v2, s0, v1
	v_mul_hi_u32 v3, s0, v0
	v_add_u32_e32 v2, v3, v2
	v_mul_lo_u32 v3, s1, v0
	v_add_u32_e32 v2, v2, v3
	v_mul_lo_u32 v4, s0, v0
	v_mul_hi_u32 v5, v1, v4
	v_mul_lo_u32 v6, v1, v4
	v_mul_lo_u32 v8, v0, v2
	v_mul_hi_u32 v4, v0, v4
	v_mul_hi_u32 v7, v0, v2
	v_add_co_u32_e32 v4, vcc, v4, v8
	v_addc_co_u32_e32 v7, vcc, 0, v7, vcc
	v_add_co_u32_e32 v4, vcc, v4, v6
	v_mul_hi_u32 v3, v1, v2
	v_addc_co_u32_e32 v4, vcc, v7, v5, vcc
	v_addc_co_u32_e32 v3, vcc, 0, v3, vcc
	v_mul_lo_u32 v2, v1, v2
	v_add_co_u32_e32 v2, vcc, v4, v2
	v_addc_co_u32_e32 v3, vcc, 0, v3, vcc
	v_add_co_u32_e32 v2, vcc, v0, v2
	v_addc_co_u32_e32 v3, vcc, v1, v3, vcc
	v_mad_u64_u32 v[0:1], s[0:1], v20, v3, 0
	v_mul_hi_u32 v4, v20, v2
	v_add_co_u32_e32 v4, vcc, v4, v0
	v_addc_co_u32_e32 v5, vcc, 0, v1, vcc
	v_mad_u64_u32 v[0:1], s[0:1], 0, v3, 0
	v_mad_u64_u32 v[2:3], s[0:1], 0, v2, 0
	v_add_co_u32_e32 v2, vcc, v4, v2
	v_addc_co_u32_e32 v2, vcc, v5, v3, vcc
	v_addc_co_u32_e32 v1, vcc, 0, v1, vcc
	v_add_co_u32_e32 v2, vcc, v2, v0
	v_addc_co_u32_e32 v3, vcc, 0, v1, vcc
	v_mul_lo_u32 v4, s49, v2
	v_mul_lo_u32 v5, s48, v3
	v_mad_u64_u32 v[0:1], s[0:1], s48, v2, 0
	v_add3_u32 v1, v1, v5, v4
	v_sub_u32_e32 v4, 0, v1
	v_mov_b32_e32 v5, s49
	v_sub_co_u32_e32 v0, vcc, v20, v0
	v_subb_co_u32_e64 v4, s[0:1], v4, v5, vcc
	v_subrev_co_u32_e64 v5, s[0:1], s48, v0
	v_subbrev_co_u32_e64 v4, s[0:1], 0, v4, s[0:1]
	v_cmp_le_u32_e64 s[0:1], s49, v4
	v_cndmask_b32_e64 v6, 0, -1, s[0:1]
	v_cmp_le_u32_e64 s[0:1], s48, v5
	v_cndmask_b32_e64 v5, 0, -1, s[0:1]
	v_cmp_eq_u32_e64 s[0:1], s49, v4
	v_cndmask_b32_e64 v4, v6, v5, s[0:1]
	v_add_co_u32_e64 v5, s[0:1], 2, v2
	v_addc_co_u32_e64 v6, s[0:1], 0, v3, s[0:1]
	v_add_co_u32_e64 v7, s[0:1], 1, v2
	v_addc_co_u32_e64 v8, s[0:1], 0, v3, s[0:1]
	v_subb_co_u32_e32 v1, vcc, 0, v1, vcc
	v_cmp_ne_u32_e64 s[0:1], 0, v4
	v_cmp_le_u32_e32 vcc, s49, v1
	v_cndmask_b32_e64 v4, v8, v6, s[0:1]
	v_cndmask_b32_e64 v6, 0, -1, vcc
	v_cmp_le_u32_e32 vcc, s48, v0
	v_cndmask_b32_e64 v0, 0, -1, vcc
	v_cmp_eq_u32_e32 vcc, s49, v1
	v_cndmask_b32_e32 v0, v6, v0, vcc
	v_cmp_ne_u32_e32 vcc, 0, v0
	v_cndmask_b32_e64 v1, v7, v5, s[0:1]
	v_cndmask_b32_e32 v1, v2, v1, vcc
	v_cndmask_b32_e32 v0, v3, v4, vcc
	v_xor_b32_e32 v1, s46, v1
	v_xor_b32_e32 v0, s47, v0
	v_mov_b32_e32 v2, s51
	v_subrev_co_u32_e32 v18, vcc, s46, v1
	v_subb_co_u32_e32 v19, vcc, v0, v2, vcc
.LBB143_5:                              ;   in Loop: Header=BB143_3 Depth=1
	s_andn2_saveexec_b64 s[0:1], s[44:45]
	s_cbranch_execz .LBB143_7
; %bb.6:                                ;   in Loop: Header=BB143_3 Depth=1
	s_sub_i32 s7, 0, s50
	v_mul_lo_u32 v0, s7, v21
	v_mul_hi_u32 v0, v21, v0
	v_add_u32_e32 v0, v21, v0
	v_mul_hi_u32 v0, v20, v0
	v_mul_lo_u32 v1, v0, s50
	v_sub_u32_e32 v1, v20, v1
	v_subrev_u32_e32 v2, s50, v1
	v_cmp_le_u32_e32 vcc, s50, v1
	v_cndmask_b32_e32 v1, v1, v2, vcc
	v_add_u32_e32 v2, 1, v0
	v_cndmask_b32_e32 v0, v0, v2, vcc
	v_add_u32_e32 v2, 1, v0
	v_cmp_le_u32_e32 vcc, s50, v1
	v_cndmask_b32_e32 v16, v0, v2, vcc
	v_pk_mov_b32 v[18:19], v[16:17], v[16:17] op_sel:[0,1]
.LBB143_7:                              ;   in Loop: Header=BB143_3 Depth=1
	s_or_b64 exec, exec, s[0:1]
	v_cmp_gt_i64_e32 vcc, s[2:3], v[18:19]
	s_mov_b64 s[44:45], -1
	s_and_saveexec_b64 s[0:1], vcc
	s_cbranch_execz .LBB143_2
; %bb.8:                                ;   in Loop: Header=BB143_3 Depth=1
	v_mul_lo_u32 v0, v18, s50
	v_sub_u32_e32 v0, v20, v0
	v_lshlrev_b32_e32 v16, 4, v0
	v_mul_lo_u32 v0, v18, s33
	v_add_lshl_u32 v22, v0, v16, 2
	buffer_load_dwordx4 v[12:15], v22, s[12:15], 0 offen
	buffer_load_dwordx4 v[8:11], v22, s[12:15], 16 offen
	;; [unrolled: 1-line block ×4, first 2 shown]
	v_mul_lo_u32 v22, v16, s2
	v_lshlrev_b64 v[18:19], 2, v[18:19]
	v_ashrrev_i32_e32 v23, 31, v22
	v_mov_b32_e32 v24, s9
	v_add_co_u32_e32 v25, vcc, s8, v18
	v_addc_co_u32_e32 v24, vcc, v24, v19, vcc
	v_lshlrev_b64 v[18:19], 2, v[22:23]
	v_add_co_u32_e32 v18, vcc, v25, v18
	v_addc_co_u32_e32 v19, vcc, v24, v19, vcc
	v_cmp_gt_i32_e32 vcc, s33, v16
	s_and_saveexec_b64 s[44:45], vcc
	s_cbranch_execz .LBB143_10
; %bb.9:                                ;   in Loop: Header=BB143_3 Depth=1
	s_waitcnt vmcnt(3)
	global_store_dword v[18:19], v12, off
.LBB143_10:                             ;   in Loop: Header=BB143_3 Depth=1
	s_or_b64 exec, exec, s[44:45]
	s_waitcnt vmcnt(3)
	v_or_b32_e32 v12, 1, v16
	v_cmp_gt_i32_e32 vcc, s33, v12
	s_and_saveexec_b64 s[44:45], vcc
	s_cbranch_execz .LBB143_12
; %bb.11:                               ;   in Loop: Header=BB143_3 Depth=1
	s_lshl_b64 s[46:47], s[2:3], 2
	v_mov_b32_e32 v12, s47
	v_add_co_u32_e32 v22, vcc, s46, v18
	v_addc_co_u32_e32 v23, vcc, v19, v12, vcc
	global_store_dword v[22:23], v13, off
.LBB143_12:                             ;   in Loop: Header=BB143_3 Depth=1
	s_or_b64 exec, exec, s[44:45]
	v_or_b32_e32 v12, 2, v16
	v_cmp_gt_i32_e32 vcc, s33, v12
	s_and_saveexec_b64 s[44:45], vcc
	s_cbranch_execz .LBB143_14
; %bb.13:                               ;   in Loop: Header=BB143_3 Depth=1
	v_mov_b32_e32 v13, s11
	v_add_co_u32_e32 v12, vcc, s10, v18
	v_addc_co_u32_e32 v13, vcc, v19, v13, vcc
	global_store_dword v[12:13], v14, off
.LBB143_14:                             ;   in Loop: Header=BB143_3 Depth=1
	s_or_b64 exec, exec, s[44:45]
	v_or_b32_e32 v12, 3, v16
	v_cmp_gt_i32_e32 vcc, s33, v12
	s_and_saveexec_b64 s[44:45], vcc
	s_cbranch_execz .LBB143_16
; %bb.15:                               ;   in Loop: Header=BB143_3 Depth=1
	v_mov_b32_e32 v13, s17
	v_add_co_u32_e32 v12, vcc, s16, v18
	v_addc_co_u32_e32 v13, vcc, v19, v13, vcc
	global_store_dword v[12:13], v15, off
.LBB143_16:                             ;   in Loop: Header=BB143_3 Depth=1
	s_or_b64 exec, exec, s[44:45]
	v_or_b32_e32 v12, 4, v16
	v_cmp_gt_i32_e32 vcc, s33, v12
	s_and_saveexec_b64 s[44:45], vcc
	s_cbranch_execz .LBB143_18
; %bb.17:                               ;   in Loop: Header=BB143_3 Depth=1
	v_mov_b32_e32 v13, s19
	v_add_co_u32_e32 v12, vcc, s18, v18
	v_addc_co_u32_e32 v13, vcc, v19, v13, vcc
	s_waitcnt vmcnt(2)
	global_store_dword v[12:13], v8, off
.LBB143_18:                             ;   in Loop: Header=BB143_3 Depth=1
	s_or_b64 exec, exec, s[44:45]
	s_waitcnt vmcnt(2)
	v_or_b32_e32 v8, 5, v16
	v_cmp_gt_i32_e32 vcc, s33, v8
	s_and_saveexec_b64 s[44:45], vcc
	s_cbranch_execz .LBB143_20
; %bb.19:                               ;   in Loop: Header=BB143_3 Depth=1
	v_mov_b32_e32 v8, s21
	v_add_co_u32_e32 v12, vcc, s20, v18
	v_addc_co_u32_e32 v13, vcc, v19, v8, vcc
	global_store_dword v[12:13], v9, off
.LBB143_20:                             ;   in Loop: Header=BB143_3 Depth=1
	s_or_b64 exec, exec, s[44:45]
	v_or_b32_e32 v8, 6, v16
	v_cmp_gt_i32_e32 vcc, s33, v8
	s_and_saveexec_b64 s[44:45], vcc
	s_cbranch_execz .LBB143_22
; %bb.21:                               ;   in Loop: Header=BB143_3 Depth=1
	v_mov_b32_e32 v9, s23
	v_add_co_u32_e32 v8, vcc, s22, v18
	v_addc_co_u32_e32 v9, vcc, v19, v9, vcc
	global_store_dword v[8:9], v10, off
.LBB143_22:                             ;   in Loop: Header=BB143_3 Depth=1
	s_or_b64 exec, exec, s[44:45]
	v_or_b32_e32 v8, 7, v16
	v_cmp_gt_i32_e32 vcc, s33, v8
	s_and_saveexec_b64 s[44:45], vcc
	s_cbranch_execz .LBB143_24
; %bb.23:                               ;   in Loop: Header=BB143_3 Depth=1
	v_mov_b32_e32 v9, s25
	v_add_co_u32_e32 v8, vcc, s24, v18
	v_addc_co_u32_e32 v9, vcc, v19, v9, vcc
	global_store_dword v[8:9], v11, off
.LBB143_24:                             ;   in Loop: Header=BB143_3 Depth=1
	s_or_b64 exec, exec, s[44:45]
	v_or_b32_e32 v8, 8, v16
	v_cmp_gt_i32_e32 vcc, s33, v8
	s_and_saveexec_b64 s[44:45], vcc
	s_cbranch_execz .LBB143_26
; %bb.25:                               ;   in Loop: Header=BB143_3 Depth=1
	v_mov_b32_e32 v9, s27
	v_add_co_u32_e32 v8, vcc, s26, v18
	v_addc_co_u32_e32 v9, vcc, v19, v9, vcc
	s_waitcnt vmcnt(1)
	global_store_dword v[8:9], v4, off
.LBB143_26:                             ;   in Loop: Header=BB143_3 Depth=1
	s_or_b64 exec, exec, s[44:45]
	s_waitcnt vmcnt(1)
	v_or_b32_e32 v4, 9, v16
	v_cmp_gt_i32_e32 vcc, s33, v4
	s_and_saveexec_b64 s[44:45], vcc
	s_cbranch_execz .LBB143_28
; %bb.27:                               ;   in Loop: Header=BB143_3 Depth=1
	v_mov_b32_e32 v4, s29
	v_add_co_u32_e32 v8, vcc, s28, v18
	v_addc_co_u32_e32 v9, vcc, v19, v4, vcc
	global_store_dword v[8:9], v5, off
.LBB143_28:                             ;   in Loop: Header=BB143_3 Depth=1
	;; [unrolled: 46-line block ×3, first 2 shown]
	s_or_b64 exec, exec, s[44:45]
	v_or_b32_e32 v0, 14, v16
	v_cmp_gt_i32_e32 vcc, s33, v0
	s_and_saveexec_b64 s[44:45], vcc
	s_cbranch_execz .LBB143_38
; %bb.37:                               ;   in Loop: Header=BB143_3 Depth=1
	v_mov_b32_e32 v1, s41
	v_add_co_u32_e32 v0, vcc, s40, v18
	v_addc_co_u32_e32 v1, vcc, v19, v1, vcc
	global_store_dword v[0:1], v2, off
.LBB143_38:                             ;   in Loop: Header=BB143_3 Depth=1
	s_or_b64 exec, exec, s[44:45]
	v_or_b32_e32 v0, 15, v16
	v_cmp_gt_i32_e32 vcc, s33, v0
	s_and_saveexec_b64 s[44:45], vcc
	s_cbranch_execz .LBB143_1
; %bb.39:                               ;   in Loop: Header=BB143_3 Depth=1
	v_mov_b32_e32 v1, s43
	v_add_co_u32_e32 v0, vcc, s42, v18
	v_addc_co_u32_e32 v1, vcc, v19, v1, vcc
	global_store_dword v[0:1], v3, off
	s_branch .LBB143_1
.LBB143_40:
	s_endpgm
	.section	.rodata,"a",@progbits
	.p2align	6, 0x0
	.amdhsa_kernel _ZN5aiter24partial_transpose_kernelIfLi512ELi16ELi10000EEEvPT_S2_PKii
		.amdhsa_group_segment_fixed_size 0
		.amdhsa_private_segment_fixed_size 0
		.amdhsa_kernarg_size 288
		.amdhsa_user_sgpr_count 6
		.amdhsa_user_sgpr_private_segment_buffer 1
		.amdhsa_user_sgpr_dispatch_ptr 0
		.amdhsa_user_sgpr_queue_ptr 0
		.amdhsa_user_sgpr_kernarg_segment_ptr 1
		.amdhsa_user_sgpr_dispatch_id 0
		.amdhsa_user_sgpr_flat_scratch_init 0
		.amdhsa_user_sgpr_kernarg_preload_length 0
		.amdhsa_user_sgpr_kernarg_preload_offset 0
		.amdhsa_user_sgpr_private_segment_size 0
		.amdhsa_uses_dynamic_stack 0
		.amdhsa_system_sgpr_private_segment_wavefront_offset 0
		.amdhsa_system_sgpr_workgroup_id_x 1
		.amdhsa_system_sgpr_workgroup_id_y 0
		.amdhsa_system_sgpr_workgroup_id_z 0
		.amdhsa_system_sgpr_workgroup_info 0
		.amdhsa_system_vgpr_workitem_id 0
		.amdhsa_next_free_vgpr 26
		.amdhsa_next_free_sgpr 54
		.amdhsa_accum_offset 28
		.amdhsa_reserve_vcc 1
		.amdhsa_reserve_flat_scratch 0
		.amdhsa_float_round_mode_32 0
		.amdhsa_float_round_mode_16_64 0
		.amdhsa_float_denorm_mode_32 3
		.amdhsa_float_denorm_mode_16_64 3
		.amdhsa_dx10_clamp 1
		.amdhsa_ieee_mode 1
		.amdhsa_fp16_overflow 0
		.amdhsa_tg_split 0
		.amdhsa_exception_fp_ieee_invalid_op 0
		.amdhsa_exception_fp_denorm_src 0
		.amdhsa_exception_fp_ieee_div_zero 0
		.amdhsa_exception_fp_ieee_overflow 0
		.amdhsa_exception_fp_ieee_underflow 0
		.amdhsa_exception_fp_ieee_inexact 0
		.amdhsa_exception_int_div_zero 0
	.end_amdhsa_kernel
	.section	.text._ZN5aiter24partial_transpose_kernelIfLi512ELi16ELi10000EEEvPT_S2_PKii,"axG",@progbits,_ZN5aiter24partial_transpose_kernelIfLi512ELi16ELi10000EEEvPT_S2_PKii,comdat
.Lfunc_end143:
	.size	_ZN5aiter24partial_transpose_kernelIfLi512ELi16ELi10000EEEvPT_S2_PKii, .Lfunc_end143-_ZN5aiter24partial_transpose_kernelIfLi512ELi16ELi10000EEEvPT_S2_PKii
                                        ; -- End function
	.section	.AMDGPU.csdata,"",@progbits
; Kernel info:
; codeLenInByte = 1928
; NumSgprs: 58
; NumVgprs: 26
; NumAgprs: 0
; TotalNumVgprs: 26
; ScratchSize: 0
; MemoryBound: 0
; FloatMode: 240
; IeeeMode: 1
; LDSByteSize: 0 bytes/workgroup (compile time only)
; SGPRBlocks: 7
; VGPRBlocks: 3
; NumSGPRsForWavesPerEU: 58
; NumVGPRsForWavesPerEU: 26
; AccumOffset: 28
; Occupancy: 8
; WaveLimiterHint : 1
; COMPUTE_PGM_RSRC2:SCRATCH_EN: 0
; COMPUTE_PGM_RSRC2:USER_SGPR: 6
; COMPUTE_PGM_RSRC2:TRAP_HANDLER: 0
; COMPUTE_PGM_RSRC2:TGID_X_EN: 1
; COMPUTE_PGM_RSRC2:TGID_Y_EN: 0
; COMPUTE_PGM_RSRC2:TGID_Z_EN: 0
; COMPUTE_PGM_RSRC2:TIDIG_COMP_CNT: 0
; COMPUTE_PGM_RSRC3_GFX90A:ACCUM_OFFSET: 6
; COMPUTE_PGM_RSRC3_GFX90A:TG_SPLIT: 0
	.section	.text._ZN5aiter24partial_transpose_kernelIDF16_Li512ELi16ELi10000EEEvPT_S2_PKii,"axG",@progbits,_ZN5aiter24partial_transpose_kernelIDF16_Li512ELi16ELi10000EEEvPT_S2_PKii,comdat
	.protected	_ZN5aiter24partial_transpose_kernelIDF16_Li512ELi16ELi10000EEEvPT_S2_PKii ; -- Begin function _ZN5aiter24partial_transpose_kernelIDF16_Li512ELi16ELi10000EEEvPT_S2_PKii
	.globl	_ZN5aiter24partial_transpose_kernelIDF16_Li512ELi16ELi10000EEEvPT_S2_PKii
	.p2align	8
	.type	_ZN5aiter24partial_transpose_kernelIDF16_Li512ELi16ELi10000EEEvPT_S2_PKii,@function
_ZN5aiter24partial_transpose_kernelIDF16_Li512ELi16ELi10000EEEvPT_S2_PKii: ; @_ZN5aiter24partial_transpose_kernelIDF16_Li512ELi16ELi10000EEEvPT_S2_PKii
; %bb.0:
	s_load_dwordx2 s[0:1], s[4:5], 0x10
	s_load_dword s33, s[4:5], 0x18
	s_load_dwordx4 s[8:11], s[4:5], 0x0
	v_lshl_add_u32 v12, s6, 9, v0
	s_mov_b32 s15, 0x20000
	s_waitcnt lgkmcnt(0)
	s_load_dword s2, s[0:1], 0x0
	s_load_dword s7, s[4:5], 0x20
	s_add_i32 s0, s33, 15
	s_ashr_i32 s1, s0, 31
	s_lshr_b32 s1, s1, 28
	s_add_i32 s0, s0, s1
	s_ashr_i32 s50, s0, 4
	v_cvt_f32_u32_e32 v0, s50
	s_waitcnt lgkmcnt(0)
	s_mul_i32 s0, s2, s33
	s_add_i32 s0, s0, 1
	s_lshr_b32 s1, s0, 31
	v_rcp_iflag_f32_e32 v0, v0
	s_add_i32 s0, s0, s1
	s_lshl_b32 s0, s0, 1
	s_and_b32 s14, s0, -4
	v_mul_f32_e32 v0, 0x4f7ffffe, v0
	v_cvt_u32_f32_e32 v13, v0
	s_lshl_b32 s0, s2, 1
	s_mul_i32 s16, s2, 3
	s_lshl_b32 s18, s2, 2
	s_mul_i32 s20, s2, 5
	s_mul_i32 s22, s2, 6
	;; [unrolled: 1-line block ×3, first 2 shown]
	s_lshl_b32 s26, s2, 3
	s_mul_i32 s28, s2, 9
	s_mul_i32 s30, s2, 10
	;; [unrolled: 1-line block ×7, first 2 shown]
	s_and_b32 s11, s11, 0xffff
	s_ashr_i32 s1, s0, 31
	s_ashr_i32 s17, s16, 31
	;; [unrolled: 1-line block ×15, first 2 shown]
	s_mov_b64 s[12:13], s[10:11]
	s_ashr_i32 s51, s50, 31
	s_lshl_b32 s52, s7, 9
	s_movk_i32 s53, 0x2710
	s_mov_b64 s[4:5], 0
	v_mov_b32_e32 v9, 0
	s_mov_b32 s6, 0
	s_lshl_b64 s[10:11], s[0:1], 1
	s_lshl_b64 s[16:17], s[16:17], 1
	;; [unrolled: 1-line block ×14, first 2 shown]
	s_branch .LBB144_3
.LBB144_1:                              ;   in Loop: Header=BB144_3 Depth=1
	s_or_b64 exec, exec, s[44:45]
	s_add_i32 s53, s53, -1
	s_cmp_eq_u32 s53, 0
	s_cselect_b64 s[44:45], -1, 0
	v_add_u32_e32 v12, s52, v12
	s_orn2_b64 s[44:45], s[44:45], exec
.LBB144_2:                              ;   in Loop: Header=BB144_3 Depth=1
	s_or_b64 exec, exec, s[0:1]
	s_and_b64 s[0:1], exec, s[44:45]
	s_or_b64 s[4:5], s[0:1], s[4:5]
	s_andn2_b64 exec, exec, s[4:5]
	s_cbranch_execz .LBB144_40
.LBB144_3:                              ; =>This Inner Loop Header: Depth=1
	s_mov_b32 s7, s51
	s_cmp_lg_u64 s[6:7], 0
	s_cselect_b64 s[0:1], -1, 0
                                        ; implicit-def: $vgpr10_vgpr11
	s_and_saveexec_b64 s[44:45], s[0:1]
	s_xor_b64 s[44:45], exec, s[44:45]
	s_cbranch_execz .LBB144_5
; %bb.4:                                ;   in Loop: Header=BB144_3 Depth=1
	s_add_u32 s0, s50, s51
	s_mov_b32 s46, s51
	s_mov_b32 s47, s51
	s_addc_u32 s1, s51, s51
	s_xor_b64 s[48:49], s[0:1], s[46:47]
	v_cvt_f32_u32_e32 v0, s48
	v_cvt_f32_u32_e32 v1, s49
	s_sub_u32 s0, 0, s48
	s_subb_u32 s1, 0, s49
	v_mac_f32_e32 v0, 0x4f800000, v1
	v_rcp_f32_e32 v0, v0
	v_mul_f32_e32 v0, 0x5f7ffffc, v0
	v_mul_f32_e32 v1, 0x2f800000, v0
	v_trunc_f32_e32 v1, v1
	v_mac_f32_e32 v0, 0xcf800000, v1
	v_cvt_u32_f32_e32 v1, v1
	v_cvt_u32_f32_e32 v0, v0
	v_mul_lo_u32 v2, s0, v1
	v_mul_hi_u32 v4, s0, v0
	v_mul_lo_u32 v3, s1, v0
	v_add_u32_e32 v2, v4, v2
	v_mul_lo_u32 v5, s0, v0
	v_add_u32_e32 v2, v2, v3
	v_mul_lo_u32 v4, v0, v2
	v_mul_hi_u32 v6, v0, v5
	v_mul_hi_u32 v3, v0, v2
	v_add_co_u32_e32 v4, vcc, v6, v4
	v_addc_co_u32_e32 v3, vcc, 0, v3, vcc
	v_mul_hi_u32 v7, v1, v5
	v_mul_lo_u32 v5, v1, v5
	v_add_co_u32_e32 v4, vcc, v4, v5
	v_mul_hi_u32 v6, v1, v2
	v_addc_co_u32_e32 v3, vcc, v3, v7, vcc
	v_addc_co_u32_e32 v4, vcc, 0, v6, vcc
	v_mul_lo_u32 v2, v1, v2
	v_add_co_u32_e32 v2, vcc, v3, v2
	v_addc_co_u32_e32 v3, vcc, 0, v4, vcc
	v_add_co_u32_e32 v0, vcc, v0, v2
	v_addc_co_u32_e32 v1, vcc, v1, v3, vcc
	v_mul_lo_u32 v2, s0, v1
	v_mul_hi_u32 v3, s0, v0
	v_add_u32_e32 v2, v3, v2
	v_mul_lo_u32 v3, s1, v0
	v_add_u32_e32 v2, v2, v3
	v_mul_lo_u32 v4, s0, v0
	v_mul_hi_u32 v5, v1, v4
	v_mul_lo_u32 v6, v1, v4
	v_mul_lo_u32 v8, v0, v2
	v_mul_hi_u32 v4, v0, v4
	v_mul_hi_u32 v7, v0, v2
	v_add_co_u32_e32 v4, vcc, v4, v8
	v_addc_co_u32_e32 v7, vcc, 0, v7, vcc
	v_add_co_u32_e32 v4, vcc, v4, v6
	v_mul_hi_u32 v3, v1, v2
	v_addc_co_u32_e32 v4, vcc, v7, v5, vcc
	v_addc_co_u32_e32 v3, vcc, 0, v3, vcc
	v_mul_lo_u32 v2, v1, v2
	v_add_co_u32_e32 v2, vcc, v4, v2
	v_addc_co_u32_e32 v3, vcc, 0, v3, vcc
	v_add_co_u32_e32 v2, vcc, v0, v2
	v_addc_co_u32_e32 v3, vcc, v1, v3, vcc
	v_mad_u64_u32 v[0:1], s[0:1], v12, v3, 0
	v_mul_hi_u32 v4, v12, v2
	v_add_co_u32_e32 v4, vcc, v4, v0
	v_addc_co_u32_e32 v5, vcc, 0, v1, vcc
	v_mad_u64_u32 v[0:1], s[0:1], 0, v3, 0
	v_mad_u64_u32 v[2:3], s[0:1], 0, v2, 0
	v_add_co_u32_e32 v2, vcc, v4, v2
	v_addc_co_u32_e32 v2, vcc, v5, v3, vcc
	v_addc_co_u32_e32 v1, vcc, 0, v1, vcc
	v_add_co_u32_e32 v2, vcc, v2, v0
	v_addc_co_u32_e32 v3, vcc, 0, v1, vcc
	v_mul_lo_u32 v4, s49, v2
	v_mul_lo_u32 v5, s48, v3
	v_mad_u64_u32 v[0:1], s[0:1], s48, v2, 0
	v_add3_u32 v1, v1, v5, v4
	v_sub_u32_e32 v4, 0, v1
	v_mov_b32_e32 v5, s49
	v_sub_co_u32_e32 v0, vcc, v12, v0
	v_subb_co_u32_e64 v4, s[0:1], v4, v5, vcc
	v_subrev_co_u32_e64 v5, s[0:1], s48, v0
	v_subbrev_co_u32_e64 v4, s[0:1], 0, v4, s[0:1]
	v_cmp_le_u32_e64 s[0:1], s49, v4
	v_cndmask_b32_e64 v6, 0, -1, s[0:1]
	v_cmp_le_u32_e64 s[0:1], s48, v5
	v_cndmask_b32_e64 v5, 0, -1, s[0:1]
	v_cmp_eq_u32_e64 s[0:1], s49, v4
	v_cndmask_b32_e64 v4, v6, v5, s[0:1]
	v_add_co_u32_e64 v5, s[0:1], 2, v2
	v_addc_co_u32_e64 v6, s[0:1], 0, v3, s[0:1]
	v_add_co_u32_e64 v7, s[0:1], 1, v2
	v_addc_co_u32_e64 v8, s[0:1], 0, v3, s[0:1]
	v_subb_co_u32_e32 v1, vcc, 0, v1, vcc
	v_cmp_ne_u32_e64 s[0:1], 0, v4
	v_cmp_le_u32_e32 vcc, s49, v1
	v_cndmask_b32_e64 v4, v8, v6, s[0:1]
	v_cndmask_b32_e64 v6, 0, -1, vcc
	v_cmp_le_u32_e32 vcc, s48, v0
	v_cndmask_b32_e64 v0, 0, -1, vcc
	v_cmp_eq_u32_e32 vcc, s49, v1
	v_cndmask_b32_e32 v0, v6, v0, vcc
	v_cmp_ne_u32_e32 vcc, 0, v0
	v_cndmask_b32_e64 v1, v7, v5, s[0:1]
	v_cndmask_b32_e32 v1, v2, v1, vcc
	v_cndmask_b32_e32 v0, v3, v4, vcc
	v_xor_b32_e32 v1, s46, v1
	v_xor_b32_e32 v0, s47, v0
	v_mov_b32_e32 v2, s51
	v_subrev_co_u32_e32 v10, vcc, s46, v1
	v_subb_co_u32_e32 v11, vcc, v0, v2, vcc
.LBB144_5:                              ;   in Loop: Header=BB144_3 Depth=1
	s_andn2_saveexec_b64 s[0:1], s[44:45]
	s_cbranch_execz .LBB144_7
; %bb.6:                                ;   in Loop: Header=BB144_3 Depth=1
	s_sub_i32 s7, 0, s50
	v_mul_lo_u32 v0, s7, v13
	v_mul_hi_u32 v0, v13, v0
	v_add_u32_e32 v0, v13, v0
	v_mul_hi_u32 v0, v12, v0
	v_mul_lo_u32 v1, v0, s50
	v_sub_u32_e32 v1, v12, v1
	v_subrev_u32_e32 v2, s50, v1
	v_cmp_le_u32_e32 vcc, s50, v1
	v_cndmask_b32_e32 v1, v1, v2, vcc
	v_add_u32_e32 v2, 1, v0
	v_cndmask_b32_e32 v0, v0, v2, vcc
	v_add_u32_e32 v2, 1, v0
	v_cmp_le_u32_e32 vcc, s50, v1
	v_cndmask_b32_e32 v8, v0, v2, vcc
	v_pk_mov_b32 v[10:11], v[8:9], v[8:9] op_sel:[0,1]
.LBB144_7:                              ;   in Loop: Header=BB144_3 Depth=1
	s_or_b64 exec, exec, s[0:1]
	v_cmp_gt_i64_e32 vcc, s[2:3], v[10:11]
	s_mov_b64 s[44:45], -1
	s_and_saveexec_b64 s[0:1], vcc
	s_cbranch_execz .LBB144_2
; %bb.8:                                ;   in Loop: Header=BB144_3 Depth=1
	v_mul_lo_u32 v0, v10, s50
	v_sub_u32_e32 v0, v12, v0
	v_lshlrev_b32_e32 v8, 4, v0
	v_mul_lo_u32 v0, v10, s33
	v_add_lshl_u32 v14, v0, v8, 1
	buffer_load_dwordx4 v[4:7], v14, s[12:15], 0 offen
	buffer_load_dwordx4 v[0:3], v14, s[12:15], 16 offen
	v_mul_lo_u32 v14, v8, s2
	v_lshlrev_b64 v[10:11], 1, v[10:11]
	v_ashrrev_i32_e32 v15, 31, v14
	v_mov_b32_e32 v16, s9
	v_add_co_u32_e32 v17, vcc, s8, v10
	v_addc_co_u32_e32 v16, vcc, v16, v11, vcc
	v_lshlrev_b64 v[10:11], 1, v[14:15]
	v_add_co_u32_e32 v10, vcc, v17, v10
	v_addc_co_u32_e32 v11, vcc, v16, v11, vcc
	v_cmp_gt_i32_e32 vcc, s33, v8
	s_and_saveexec_b64 s[44:45], vcc
	s_cbranch_execz .LBB144_10
; %bb.9:                                ;   in Loop: Header=BB144_3 Depth=1
	s_waitcnt vmcnt(1)
	global_store_short v[10:11], v4, off
.LBB144_10:                             ;   in Loop: Header=BB144_3 Depth=1
	s_or_b64 exec, exec, s[44:45]
	v_or_b32_e32 v14, 1, v8
	v_cmp_gt_i32_e32 vcc, s33, v14
	s_and_saveexec_b64 s[44:45], vcc
	s_cbranch_execz .LBB144_12
; %bb.11:                               ;   in Loop: Header=BB144_3 Depth=1
	s_lshl_b64 s[46:47], s[2:3], 1
	v_mov_b32_e32 v15, s47
	v_add_co_u32_e32 v14, vcc, s46, v10
	v_addc_co_u32_e32 v15, vcc, v11, v15, vcc
	s_waitcnt vmcnt(1)
	global_store_short_d16_hi v[14:15], v4, off
.LBB144_12:                             ;   in Loop: Header=BB144_3 Depth=1
	s_or_b64 exec, exec, s[44:45]
	s_waitcnt vmcnt(1)
	v_or_b32_e32 v4, 2, v8
	v_cmp_gt_i32_e32 vcc, s33, v4
	s_and_saveexec_b64 s[44:45], vcc
	s_cbranch_execz .LBB144_14
; %bb.13:                               ;   in Loop: Header=BB144_3 Depth=1
	v_mov_b32_e32 v4, s11
	v_add_co_u32_e32 v14, vcc, s10, v10
	v_addc_co_u32_e32 v15, vcc, v11, v4, vcc
	global_store_short v[14:15], v5, off
.LBB144_14:                             ;   in Loop: Header=BB144_3 Depth=1
	s_or_b64 exec, exec, s[44:45]
	v_or_b32_e32 v4, 3, v8
	v_cmp_gt_i32_e32 vcc, s33, v4
	s_and_saveexec_b64 s[44:45], vcc
	s_cbranch_execz .LBB144_16
; %bb.15:                               ;   in Loop: Header=BB144_3 Depth=1
	v_mov_b32_e32 v4, s17
	v_add_co_u32_e32 v14, vcc, s16, v10
	v_addc_co_u32_e32 v15, vcc, v11, v4, vcc
	global_store_short_d16_hi v[14:15], v5, off
.LBB144_16:                             ;   in Loop: Header=BB144_3 Depth=1
	s_or_b64 exec, exec, s[44:45]
	v_or_b32_e32 v4, 4, v8
	v_cmp_gt_i32_e32 vcc, s33, v4
	s_and_saveexec_b64 s[44:45], vcc
	s_cbranch_execz .LBB144_18
; %bb.17:                               ;   in Loop: Header=BB144_3 Depth=1
	v_mov_b32_e32 v5, s19
	v_add_co_u32_e32 v4, vcc, s18, v10
	v_addc_co_u32_e32 v5, vcc, v11, v5, vcc
	global_store_short v[4:5], v6, off
.LBB144_18:                             ;   in Loop: Header=BB144_3 Depth=1
	s_or_b64 exec, exec, s[44:45]
	v_or_b32_e32 v4, 5, v8
	v_cmp_gt_i32_e32 vcc, s33, v4
	s_and_saveexec_b64 s[44:45], vcc
	s_cbranch_execz .LBB144_20
; %bb.19:                               ;   in Loop: Header=BB144_3 Depth=1
	v_mov_b32_e32 v5, s21
	v_add_co_u32_e32 v4, vcc, s20, v10
	v_addc_co_u32_e32 v5, vcc, v11, v5, vcc
	global_store_short_d16_hi v[4:5], v6, off
.LBB144_20:                             ;   in Loop: Header=BB144_3 Depth=1
	s_or_b64 exec, exec, s[44:45]
	v_or_b32_e32 v4, 6, v8
	v_cmp_gt_i32_e32 vcc, s33, v4
	s_and_saveexec_b64 s[44:45], vcc
	s_cbranch_execz .LBB144_22
; %bb.21:                               ;   in Loop: Header=BB144_3 Depth=1
	v_mov_b32_e32 v5, s23
	v_add_co_u32_e32 v4, vcc, s22, v10
	v_addc_co_u32_e32 v5, vcc, v11, v5, vcc
	global_store_short v[4:5], v7, off
.LBB144_22:                             ;   in Loop: Header=BB144_3 Depth=1
	s_or_b64 exec, exec, s[44:45]
	v_or_b32_e32 v4, 7, v8
	v_cmp_gt_i32_e32 vcc, s33, v4
	s_and_saveexec_b64 s[44:45], vcc
	s_cbranch_execz .LBB144_24
; %bb.23:                               ;   in Loop: Header=BB144_3 Depth=1
	v_mov_b32_e32 v5, s25
	v_add_co_u32_e32 v4, vcc, s24, v10
	v_addc_co_u32_e32 v5, vcc, v11, v5, vcc
	global_store_short_d16_hi v[4:5], v7, off
.LBB144_24:                             ;   in Loop: Header=BB144_3 Depth=1
	s_or_b64 exec, exec, s[44:45]
	v_or_b32_e32 v4, 8, v8
	v_cmp_gt_i32_e32 vcc, s33, v4
	s_and_saveexec_b64 s[44:45], vcc
	s_cbranch_execz .LBB144_26
; %bb.25:                               ;   in Loop: Header=BB144_3 Depth=1
	v_mov_b32_e32 v5, s27
	v_add_co_u32_e32 v4, vcc, s26, v10
	v_addc_co_u32_e32 v5, vcc, v11, v5, vcc
	s_waitcnt vmcnt(0)
	global_store_short v[4:5], v0, off
.LBB144_26:                             ;   in Loop: Header=BB144_3 Depth=1
	s_or_b64 exec, exec, s[44:45]
	v_or_b32_e32 v4, 9, v8
	v_cmp_gt_i32_e32 vcc, s33, v4
	s_and_saveexec_b64 s[44:45], vcc
	s_cbranch_execz .LBB144_28
; %bb.27:                               ;   in Loop: Header=BB144_3 Depth=1
	v_mov_b32_e32 v5, s29
	v_add_co_u32_e32 v4, vcc, s28, v10
	v_addc_co_u32_e32 v5, vcc, v11, v5, vcc
	s_waitcnt vmcnt(0)
	global_store_short_d16_hi v[4:5], v0, off
.LBB144_28:                             ;   in Loop: Header=BB144_3 Depth=1
	s_or_b64 exec, exec, s[44:45]
	s_waitcnt vmcnt(0)
	v_or_b32_e32 v0, 10, v8
	v_cmp_gt_i32_e32 vcc, s33, v0
	s_and_saveexec_b64 s[44:45], vcc
	s_cbranch_execz .LBB144_30
; %bb.29:                               ;   in Loop: Header=BB144_3 Depth=1
	v_mov_b32_e32 v0, s31
	v_add_co_u32_e32 v4, vcc, s30, v10
	v_addc_co_u32_e32 v5, vcc, v11, v0, vcc
	global_store_short v[4:5], v1, off
.LBB144_30:                             ;   in Loop: Header=BB144_3 Depth=1
	s_or_b64 exec, exec, s[44:45]
	v_or_b32_e32 v0, 11, v8
	v_cmp_gt_i32_e32 vcc, s33, v0
	s_and_saveexec_b64 s[44:45], vcc
	s_cbranch_execz .LBB144_32
; %bb.31:                               ;   in Loop: Header=BB144_3 Depth=1
	v_mov_b32_e32 v0, s35
	v_add_co_u32_e32 v4, vcc, s34, v10
	v_addc_co_u32_e32 v5, vcc, v11, v0, vcc
	global_store_short_d16_hi v[4:5], v1, off
.LBB144_32:                             ;   in Loop: Header=BB144_3 Depth=1
	s_or_b64 exec, exec, s[44:45]
	v_or_b32_e32 v0, 12, v8
	v_cmp_gt_i32_e32 vcc, s33, v0
	s_and_saveexec_b64 s[44:45], vcc
	s_cbranch_execz .LBB144_34
; %bb.33:                               ;   in Loop: Header=BB144_3 Depth=1
	v_mov_b32_e32 v1, s37
	v_add_co_u32_e32 v0, vcc, s36, v10
	v_addc_co_u32_e32 v1, vcc, v11, v1, vcc
	global_store_short v[0:1], v2, off
.LBB144_34:                             ;   in Loop: Header=BB144_3 Depth=1
	s_or_b64 exec, exec, s[44:45]
	v_or_b32_e32 v0, 13, v8
	v_cmp_gt_i32_e32 vcc, s33, v0
	s_and_saveexec_b64 s[44:45], vcc
	s_cbranch_execz .LBB144_36
; %bb.35:                               ;   in Loop: Header=BB144_3 Depth=1
	v_mov_b32_e32 v1, s39
	v_add_co_u32_e32 v0, vcc, s38, v10
	v_addc_co_u32_e32 v1, vcc, v11, v1, vcc
	global_store_short_d16_hi v[0:1], v2, off
.LBB144_36:                             ;   in Loop: Header=BB144_3 Depth=1
	s_or_b64 exec, exec, s[44:45]
	v_or_b32_e32 v0, 14, v8
	v_cmp_gt_i32_e32 vcc, s33, v0
	s_and_saveexec_b64 s[44:45], vcc
	s_cbranch_execz .LBB144_38
; %bb.37:                               ;   in Loop: Header=BB144_3 Depth=1
	v_mov_b32_e32 v1, s41
	v_add_co_u32_e32 v0, vcc, s40, v10
	v_addc_co_u32_e32 v1, vcc, v11, v1, vcc
	global_store_short v[0:1], v3, off
.LBB144_38:                             ;   in Loop: Header=BB144_3 Depth=1
	s_or_b64 exec, exec, s[44:45]
	v_or_b32_e32 v0, 15, v8
	v_cmp_gt_i32_e32 vcc, s33, v0
	s_and_saveexec_b64 s[44:45], vcc
	s_cbranch_execz .LBB144_1
; %bb.39:                               ;   in Loop: Header=BB144_3 Depth=1
	v_mov_b32_e32 v1, s43
	v_add_co_u32_e32 v0, vcc, s42, v10
	v_addc_co_u32_e32 v1, vcc, v11, v1, vcc
	global_store_short_d16_hi v[0:1], v3, off
	s_branch .LBB144_1
.LBB144_40:
	s_endpgm
	.section	.rodata,"a",@progbits
	.p2align	6, 0x0
	.amdhsa_kernel _ZN5aiter24partial_transpose_kernelIDF16_Li512ELi16ELi10000EEEvPT_S2_PKii
		.amdhsa_group_segment_fixed_size 0
		.amdhsa_private_segment_fixed_size 0
		.amdhsa_kernarg_size 288
		.amdhsa_user_sgpr_count 6
		.amdhsa_user_sgpr_private_segment_buffer 1
		.amdhsa_user_sgpr_dispatch_ptr 0
		.amdhsa_user_sgpr_queue_ptr 0
		.amdhsa_user_sgpr_kernarg_segment_ptr 1
		.amdhsa_user_sgpr_dispatch_id 0
		.amdhsa_user_sgpr_flat_scratch_init 0
		.amdhsa_user_sgpr_kernarg_preload_length 0
		.amdhsa_user_sgpr_kernarg_preload_offset 0
		.amdhsa_user_sgpr_private_segment_size 0
		.amdhsa_uses_dynamic_stack 0
		.amdhsa_system_sgpr_private_segment_wavefront_offset 0
		.amdhsa_system_sgpr_workgroup_id_x 1
		.amdhsa_system_sgpr_workgroup_id_y 0
		.amdhsa_system_sgpr_workgroup_id_z 0
		.amdhsa_system_sgpr_workgroup_info 0
		.amdhsa_system_vgpr_workitem_id 0
		.amdhsa_next_free_vgpr 18
		.amdhsa_next_free_sgpr 54
		.amdhsa_accum_offset 20
		.amdhsa_reserve_vcc 1
		.amdhsa_reserve_flat_scratch 0
		.amdhsa_float_round_mode_32 0
		.amdhsa_float_round_mode_16_64 0
		.amdhsa_float_denorm_mode_32 3
		.amdhsa_float_denorm_mode_16_64 3
		.amdhsa_dx10_clamp 1
		.amdhsa_ieee_mode 1
		.amdhsa_fp16_overflow 0
		.amdhsa_tg_split 0
		.amdhsa_exception_fp_ieee_invalid_op 0
		.amdhsa_exception_fp_denorm_src 0
		.amdhsa_exception_fp_ieee_div_zero 0
		.amdhsa_exception_fp_ieee_overflow 0
		.amdhsa_exception_fp_ieee_underflow 0
		.amdhsa_exception_fp_ieee_inexact 0
		.amdhsa_exception_int_div_zero 0
	.end_amdhsa_kernel
	.section	.text._ZN5aiter24partial_transpose_kernelIDF16_Li512ELi16ELi10000EEEvPT_S2_PKii,"axG",@progbits,_ZN5aiter24partial_transpose_kernelIDF16_Li512ELi16ELi10000EEEvPT_S2_PKii,comdat
.Lfunc_end144:
	.size	_ZN5aiter24partial_transpose_kernelIDF16_Li512ELi16ELi10000EEEvPT_S2_PKii, .Lfunc_end144-_ZN5aiter24partial_transpose_kernelIDF16_Li512ELi16ELi10000EEEvPT_S2_PKii
                                        ; -- End function
	.section	.AMDGPU.csdata,"",@progbits
; Kernel info:
; codeLenInByte = 1920
; NumSgprs: 58
; NumVgprs: 18
; NumAgprs: 0
; TotalNumVgprs: 18
; ScratchSize: 0
; MemoryBound: 0
; FloatMode: 240
; IeeeMode: 1
; LDSByteSize: 0 bytes/workgroup (compile time only)
; SGPRBlocks: 7
; VGPRBlocks: 2
; NumSGPRsForWavesPerEU: 58
; NumVGPRsForWavesPerEU: 18
; AccumOffset: 20
; Occupancy: 8
; WaveLimiterHint : 1
; COMPUTE_PGM_RSRC2:SCRATCH_EN: 0
; COMPUTE_PGM_RSRC2:USER_SGPR: 6
; COMPUTE_PGM_RSRC2:TRAP_HANDLER: 0
; COMPUTE_PGM_RSRC2:TGID_X_EN: 1
; COMPUTE_PGM_RSRC2:TGID_Y_EN: 0
; COMPUTE_PGM_RSRC2:TGID_Z_EN: 0
; COMPUTE_PGM_RSRC2:TIDIG_COMP_CNT: 0
; COMPUTE_PGM_RSRC3_GFX90A:ACCUM_OFFSET: 4
; COMPUTE_PGM_RSRC3_GFX90A:TG_SPLIT: 0
	.section	.text._ZN5aiter24partial_transpose_kernelItLi512ELi16ELi10000EEEvPT_S2_PKii,"axG",@progbits,_ZN5aiter24partial_transpose_kernelItLi512ELi16ELi10000EEEvPT_S2_PKii,comdat
	.protected	_ZN5aiter24partial_transpose_kernelItLi512ELi16ELi10000EEEvPT_S2_PKii ; -- Begin function _ZN5aiter24partial_transpose_kernelItLi512ELi16ELi10000EEEvPT_S2_PKii
	.globl	_ZN5aiter24partial_transpose_kernelItLi512ELi16ELi10000EEEvPT_S2_PKii
	.p2align	8
	.type	_ZN5aiter24partial_transpose_kernelItLi512ELi16ELi10000EEEvPT_S2_PKii,@function
_ZN5aiter24partial_transpose_kernelItLi512ELi16ELi10000EEEvPT_S2_PKii: ; @_ZN5aiter24partial_transpose_kernelItLi512ELi16ELi10000EEEvPT_S2_PKii
; %bb.0:
	s_load_dwordx2 s[0:1], s[4:5], 0x10
	s_load_dword s33, s[4:5], 0x18
	s_load_dwordx4 s[8:11], s[4:5], 0x0
	v_lshl_add_u32 v12, s6, 9, v0
	s_mov_b32 s15, 0x20000
	s_waitcnt lgkmcnt(0)
	s_load_dword s2, s[0:1], 0x0
	s_load_dword s7, s[4:5], 0x20
	s_add_i32 s0, s33, 15
	s_ashr_i32 s1, s0, 31
	s_lshr_b32 s1, s1, 28
	s_add_i32 s0, s0, s1
	s_ashr_i32 s50, s0, 4
	v_cvt_f32_u32_e32 v0, s50
	s_waitcnt lgkmcnt(0)
	s_mul_i32 s0, s2, s33
	s_add_i32 s0, s0, 1
	s_lshr_b32 s1, s0, 31
	v_rcp_iflag_f32_e32 v0, v0
	s_add_i32 s0, s0, s1
	s_lshl_b32 s0, s0, 1
	s_and_b32 s14, s0, -4
	v_mul_f32_e32 v0, 0x4f7ffffe, v0
	v_cvt_u32_f32_e32 v13, v0
	s_lshl_b32 s0, s2, 1
	s_mul_i32 s16, s2, 3
	s_lshl_b32 s18, s2, 2
	s_mul_i32 s20, s2, 5
	s_mul_i32 s22, s2, 6
	;; [unrolled: 1-line block ×3, first 2 shown]
	s_lshl_b32 s26, s2, 3
	s_mul_i32 s28, s2, 9
	s_mul_i32 s30, s2, 10
	;; [unrolled: 1-line block ×7, first 2 shown]
	s_and_b32 s11, s11, 0xffff
	s_ashr_i32 s1, s0, 31
	s_ashr_i32 s17, s16, 31
	;; [unrolled: 1-line block ×15, first 2 shown]
	s_mov_b64 s[12:13], s[10:11]
	s_ashr_i32 s51, s50, 31
	s_lshl_b32 s52, s7, 9
	s_movk_i32 s53, 0x2710
	s_mov_b64 s[4:5], 0
	v_mov_b32_e32 v9, 0
	s_mov_b32 s6, 0
	s_lshl_b64 s[10:11], s[0:1], 1
	s_lshl_b64 s[16:17], s[16:17], 1
	;; [unrolled: 1-line block ×14, first 2 shown]
	s_branch .LBB145_3
.LBB145_1:                              ;   in Loop: Header=BB145_3 Depth=1
	s_or_b64 exec, exec, s[44:45]
	s_add_i32 s53, s53, -1
	s_cmp_eq_u32 s53, 0
	s_cselect_b64 s[44:45], -1, 0
	v_add_u32_e32 v12, s52, v12
	s_orn2_b64 s[44:45], s[44:45], exec
.LBB145_2:                              ;   in Loop: Header=BB145_3 Depth=1
	s_or_b64 exec, exec, s[0:1]
	s_and_b64 s[0:1], exec, s[44:45]
	s_or_b64 s[4:5], s[0:1], s[4:5]
	s_andn2_b64 exec, exec, s[4:5]
	s_cbranch_execz .LBB145_40
.LBB145_3:                              ; =>This Inner Loop Header: Depth=1
	s_mov_b32 s7, s51
	s_cmp_lg_u64 s[6:7], 0
	s_cselect_b64 s[0:1], -1, 0
                                        ; implicit-def: $vgpr10_vgpr11
	s_and_saveexec_b64 s[44:45], s[0:1]
	s_xor_b64 s[44:45], exec, s[44:45]
	s_cbranch_execz .LBB145_5
; %bb.4:                                ;   in Loop: Header=BB145_3 Depth=1
	s_add_u32 s0, s50, s51
	s_mov_b32 s46, s51
	s_mov_b32 s47, s51
	s_addc_u32 s1, s51, s51
	s_xor_b64 s[48:49], s[0:1], s[46:47]
	v_cvt_f32_u32_e32 v0, s48
	v_cvt_f32_u32_e32 v1, s49
	s_sub_u32 s0, 0, s48
	s_subb_u32 s1, 0, s49
	v_mac_f32_e32 v0, 0x4f800000, v1
	v_rcp_f32_e32 v0, v0
	v_mul_f32_e32 v0, 0x5f7ffffc, v0
	v_mul_f32_e32 v1, 0x2f800000, v0
	v_trunc_f32_e32 v1, v1
	v_mac_f32_e32 v0, 0xcf800000, v1
	v_cvt_u32_f32_e32 v1, v1
	v_cvt_u32_f32_e32 v0, v0
	v_mul_lo_u32 v2, s0, v1
	v_mul_hi_u32 v4, s0, v0
	v_mul_lo_u32 v3, s1, v0
	v_add_u32_e32 v2, v4, v2
	v_mul_lo_u32 v5, s0, v0
	v_add_u32_e32 v2, v2, v3
	v_mul_lo_u32 v4, v0, v2
	v_mul_hi_u32 v6, v0, v5
	v_mul_hi_u32 v3, v0, v2
	v_add_co_u32_e32 v4, vcc, v6, v4
	v_addc_co_u32_e32 v3, vcc, 0, v3, vcc
	v_mul_hi_u32 v7, v1, v5
	v_mul_lo_u32 v5, v1, v5
	v_add_co_u32_e32 v4, vcc, v4, v5
	v_mul_hi_u32 v6, v1, v2
	v_addc_co_u32_e32 v3, vcc, v3, v7, vcc
	v_addc_co_u32_e32 v4, vcc, 0, v6, vcc
	v_mul_lo_u32 v2, v1, v2
	v_add_co_u32_e32 v2, vcc, v3, v2
	v_addc_co_u32_e32 v3, vcc, 0, v4, vcc
	v_add_co_u32_e32 v0, vcc, v0, v2
	v_addc_co_u32_e32 v1, vcc, v1, v3, vcc
	v_mul_lo_u32 v2, s0, v1
	v_mul_hi_u32 v3, s0, v0
	v_add_u32_e32 v2, v3, v2
	v_mul_lo_u32 v3, s1, v0
	v_add_u32_e32 v2, v2, v3
	v_mul_lo_u32 v4, s0, v0
	v_mul_hi_u32 v5, v1, v4
	v_mul_lo_u32 v6, v1, v4
	v_mul_lo_u32 v8, v0, v2
	v_mul_hi_u32 v4, v0, v4
	v_mul_hi_u32 v7, v0, v2
	v_add_co_u32_e32 v4, vcc, v4, v8
	v_addc_co_u32_e32 v7, vcc, 0, v7, vcc
	v_add_co_u32_e32 v4, vcc, v4, v6
	v_mul_hi_u32 v3, v1, v2
	v_addc_co_u32_e32 v4, vcc, v7, v5, vcc
	v_addc_co_u32_e32 v3, vcc, 0, v3, vcc
	v_mul_lo_u32 v2, v1, v2
	v_add_co_u32_e32 v2, vcc, v4, v2
	v_addc_co_u32_e32 v3, vcc, 0, v3, vcc
	v_add_co_u32_e32 v2, vcc, v0, v2
	v_addc_co_u32_e32 v3, vcc, v1, v3, vcc
	v_mad_u64_u32 v[0:1], s[0:1], v12, v3, 0
	v_mul_hi_u32 v4, v12, v2
	v_add_co_u32_e32 v4, vcc, v4, v0
	v_addc_co_u32_e32 v5, vcc, 0, v1, vcc
	v_mad_u64_u32 v[0:1], s[0:1], 0, v3, 0
	v_mad_u64_u32 v[2:3], s[0:1], 0, v2, 0
	v_add_co_u32_e32 v2, vcc, v4, v2
	v_addc_co_u32_e32 v2, vcc, v5, v3, vcc
	v_addc_co_u32_e32 v1, vcc, 0, v1, vcc
	v_add_co_u32_e32 v2, vcc, v2, v0
	v_addc_co_u32_e32 v3, vcc, 0, v1, vcc
	v_mul_lo_u32 v4, s49, v2
	v_mul_lo_u32 v5, s48, v3
	v_mad_u64_u32 v[0:1], s[0:1], s48, v2, 0
	v_add3_u32 v1, v1, v5, v4
	v_sub_u32_e32 v4, 0, v1
	v_mov_b32_e32 v5, s49
	v_sub_co_u32_e32 v0, vcc, v12, v0
	v_subb_co_u32_e64 v4, s[0:1], v4, v5, vcc
	v_subrev_co_u32_e64 v5, s[0:1], s48, v0
	v_subbrev_co_u32_e64 v4, s[0:1], 0, v4, s[0:1]
	v_cmp_le_u32_e64 s[0:1], s49, v4
	v_cndmask_b32_e64 v6, 0, -1, s[0:1]
	v_cmp_le_u32_e64 s[0:1], s48, v5
	v_cndmask_b32_e64 v5, 0, -1, s[0:1]
	v_cmp_eq_u32_e64 s[0:1], s49, v4
	v_cndmask_b32_e64 v4, v6, v5, s[0:1]
	v_add_co_u32_e64 v5, s[0:1], 2, v2
	v_addc_co_u32_e64 v6, s[0:1], 0, v3, s[0:1]
	v_add_co_u32_e64 v7, s[0:1], 1, v2
	v_addc_co_u32_e64 v8, s[0:1], 0, v3, s[0:1]
	v_subb_co_u32_e32 v1, vcc, 0, v1, vcc
	v_cmp_ne_u32_e64 s[0:1], 0, v4
	v_cmp_le_u32_e32 vcc, s49, v1
	v_cndmask_b32_e64 v4, v8, v6, s[0:1]
	v_cndmask_b32_e64 v6, 0, -1, vcc
	v_cmp_le_u32_e32 vcc, s48, v0
	v_cndmask_b32_e64 v0, 0, -1, vcc
	v_cmp_eq_u32_e32 vcc, s49, v1
	v_cndmask_b32_e32 v0, v6, v0, vcc
	v_cmp_ne_u32_e32 vcc, 0, v0
	v_cndmask_b32_e64 v1, v7, v5, s[0:1]
	v_cndmask_b32_e32 v1, v2, v1, vcc
	v_cndmask_b32_e32 v0, v3, v4, vcc
	v_xor_b32_e32 v1, s46, v1
	v_xor_b32_e32 v0, s47, v0
	v_mov_b32_e32 v2, s51
	v_subrev_co_u32_e32 v10, vcc, s46, v1
	v_subb_co_u32_e32 v11, vcc, v0, v2, vcc
.LBB145_5:                              ;   in Loop: Header=BB145_3 Depth=1
	s_andn2_saveexec_b64 s[0:1], s[44:45]
	s_cbranch_execz .LBB145_7
; %bb.6:                                ;   in Loop: Header=BB145_3 Depth=1
	s_sub_i32 s7, 0, s50
	v_mul_lo_u32 v0, s7, v13
	v_mul_hi_u32 v0, v13, v0
	v_add_u32_e32 v0, v13, v0
	v_mul_hi_u32 v0, v12, v0
	v_mul_lo_u32 v1, v0, s50
	v_sub_u32_e32 v1, v12, v1
	v_subrev_u32_e32 v2, s50, v1
	v_cmp_le_u32_e32 vcc, s50, v1
	v_cndmask_b32_e32 v1, v1, v2, vcc
	v_add_u32_e32 v2, 1, v0
	v_cndmask_b32_e32 v0, v0, v2, vcc
	v_add_u32_e32 v2, 1, v0
	v_cmp_le_u32_e32 vcc, s50, v1
	v_cndmask_b32_e32 v8, v0, v2, vcc
	v_pk_mov_b32 v[10:11], v[8:9], v[8:9] op_sel:[0,1]
.LBB145_7:                              ;   in Loop: Header=BB145_3 Depth=1
	s_or_b64 exec, exec, s[0:1]
	v_cmp_gt_i64_e32 vcc, s[2:3], v[10:11]
	s_mov_b64 s[44:45], -1
	s_and_saveexec_b64 s[0:1], vcc
	s_cbranch_execz .LBB145_2
; %bb.8:                                ;   in Loop: Header=BB145_3 Depth=1
	v_mul_lo_u32 v0, v10, s50
	v_sub_u32_e32 v0, v12, v0
	v_lshlrev_b32_e32 v8, 4, v0
	v_mul_lo_u32 v0, v10, s33
	v_add_lshl_u32 v14, v0, v8, 1
	buffer_load_dwordx4 v[4:7], v14, s[12:15], 0 offen
	buffer_load_dwordx4 v[0:3], v14, s[12:15], 16 offen
	v_mul_lo_u32 v14, v8, s2
	v_lshlrev_b64 v[10:11], 1, v[10:11]
	v_ashrrev_i32_e32 v15, 31, v14
	v_mov_b32_e32 v16, s9
	v_add_co_u32_e32 v17, vcc, s8, v10
	v_addc_co_u32_e32 v16, vcc, v16, v11, vcc
	v_lshlrev_b64 v[10:11], 1, v[14:15]
	v_add_co_u32_e32 v10, vcc, v17, v10
	v_addc_co_u32_e32 v11, vcc, v16, v11, vcc
	v_cmp_gt_i32_e32 vcc, s33, v8
	s_and_saveexec_b64 s[44:45], vcc
	s_cbranch_execz .LBB145_10
; %bb.9:                                ;   in Loop: Header=BB145_3 Depth=1
	s_waitcnt vmcnt(1)
	global_store_short v[10:11], v4, off
.LBB145_10:                             ;   in Loop: Header=BB145_3 Depth=1
	s_or_b64 exec, exec, s[44:45]
	v_or_b32_e32 v14, 1, v8
	v_cmp_gt_i32_e32 vcc, s33, v14
	s_and_saveexec_b64 s[44:45], vcc
	s_cbranch_execz .LBB145_12
; %bb.11:                               ;   in Loop: Header=BB145_3 Depth=1
	s_lshl_b64 s[46:47], s[2:3], 1
	v_mov_b32_e32 v15, s47
	v_add_co_u32_e32 v14, vcc, s46, v10
	v_addc_co_u32_e32 v15, vcc, v11, v15, vcc
	s_waitcnt vmcnt(1)
	global_store_short_d16_hi v[14:15], v4, off
.LBB145_12:                             ;   in Loop: Header=BB145_3 Depth=1
	s_or_b64 exec, exec, s[44:45]
	s_waitcnt vmcnt(1)
	v_or_b32_e32 v4, 2, v8
	v_cmp_gt_i32_e32 vcc, s33, v4
	s_and_saveexec_b64 s[44:45], vcc
	s_cbranch_execz .LBB145_14
; %bb.13:                               ;   in Loop: Header=BB145_3 Depth=1
	v_mov_b32_e32 v4, s11
	v_add_co_u32_e32 v14, vcc, s10, v10
	v_addc_co_u32_e32 v15, vcc, v11, v4, vcc
	global_store_short v[14:15], v5, off
.LBB145_14:                             ;   in Loop: Header=BB145_3 Depth=1
	s_or_b64 exec, exec, s[44:45]
	v_or_b32_e32 v4, 3, v8
	v_cmp_gt_i32_e32 vcc, s33, v4
	s_and_saveexec_b64 s[44:45], vcc
	s_cbranch_execz .LBB145_16
; %bb.15:                               ;   in Loop: Header=BB145_3 Depth=1
	v_mov_b32_e32 v4, s17
	v_add_co_u32_e32 v14, vcc, s16, v10
	v_addc_co_u32_e32 v15, vcc, v11, v4, vcc
	global_store_short_d16_hi v[14:15], v5, off
.LBB145_16:                             ;   in Loop: Header=BB145_3 Depth=1
	s_or_b64 exec, exec, s[44:45]
	v_or_b32_e32 v4, 4, v8
	v_cmp_gt_i32_e32 vcc, s33, v4
	s_and_saveexec_b64 s[44:45], vcc
	s_cbranch_execz .LBB145_18
; %bb.17:                               ;   in Loop: Header=BB145_3 Depth=1
	v_mov_b32_e32 v5, s19
	v_add_co_u32_e32 v4, vcc, s18, v10
	v_addc_co_u32_e32 v5, vcc, v11, v5, vcc
	global_store_short v[4:5], v6, off
.LBB145_18:                             ;   in Loop: Header=BB145_3 Depth=1
	s_or_b64 exec, exec, s[44:45]
	v_or_b32_e32 v4, 5, v8
	v_cmp_gt_i32_e32 vcc, s33, v4
	s_and_saveexec_b64 s[44:45], vcc
	s_cbranch_execz .LBB145_20
; %bb.19:                               ;   in Loop: Header=BB145_3 Depth=1
	v_mov_b32_e32 v5, s21
	v_add_co_u32_e32 v4, vcc, s20, v10
	v_addc_co_u32_e32 v5, vcc, v11, v5, vcc
	global_store_short_d16_hi v[4:5], v6, off
.LBB145_20:                             ;   in Loop: Header=BB145_3 Depth=1
	s_or_b64 exec, exec, s[44:45]
	;; [unrolled: 22-line block ×3, first 2 shown]
	v_or_b32_e32 v4, 8, v8
	v_cmp_gt_i32_e32 vcc, s33, v4
	s_and_saveexec_b64 s[44:45], vcc
	s_cbranch_execz .LBB145_26
; %bb.25:                               ;   in Loop: Header=BB145_3 Depth=1
	v_mov_b32_e32 v5, s27
	v_add_co_u32_e32 v4, vcc, s26, v10
	v_addc_co_u32_e32 v5, vcc, v11, v5, vcc
	s_waitcnt vmcnt(0)
	global_store_short v[4:5], v0, off
.LBB145_26:                             ;   in Loop: Header=BB145_3 Depth=1
	s_or_b64 exec, exec, s[44:45]
	v_or_b32_e32 v4, 9, v8
	v_cmp_gt_i32_e32 vcc, s33, v4
	s_and_saveexec_b64 s[44:45], vcc
	s_cbranch_execz .LBB145_28
; %bb.27:                               ;   in Loop: Header=BB145_3 Depth=1
	v_mov_b32_e32 v5, s29
	v_add_co_u32_e32 v4, vcc, s28, v10
	v_addc_co_u32_e32 v5, vcc, v11, v5, vcc
	s_waitcnt vmcnt(0)
	global_store_short_d16_hi v[4:5], v0, off
.LBB145_28:                             ;   in Loop: Header=BB145_3 Depth=1
	s_or_b64 exec, exec, s[44:45]
	s_waitcnt vmcnt(0)
	v_or_b32_e32 v0, 10, v8
	v_cmp_gt_i32_e32 vcc, s33, v0
	s_and_saveexec_b64 s[44:45], vcc
	s_cbranch_execz .LBB145_30
; %bb.29:                               ;   in Loop: Header=BB145_3 Depth=1
	v_mov_b32_e32 v0, s31
	v_add_co_u32_e32 v4, vcc, s30, v10
	v_addc_co_u32_e32 v5, vcc, v11, v0, vcc
	global_store_short v[4:5], v1, off
.LBB145_30:                             ;   in Loop: Header=BB145_3 Depth=1
	s_or_b64 exec, exec, s[44:45]
	v_or_b32_e32 v0, 11, v8
	v_cmp_gt_i32_e32 vcc, s33, v0
	s_and_saveexec_b64 s[44:45], vcc
	s_cbranch_execz .LBB145_32
; %bb.31:                               ;   in Loop: Header=BB145_3 Depth=1
	v_mov_b32_e32 v0, s35
	v_add_co_u32_e32 v4, vcc, s34, v10
	v_addc_co_u32_e32 v5, vcc, v11, v0, vcc
	global_store_short_d16_hi v[4:5], v1, off
.LBB145_32:                             ;   in Loop: Header=BB145_3 Depth=1
	s_or_b64 exec, exec, s[44:45]
	v_or_b32_e32 v0, 12, v8
	v_cmp_gt_i32_e32 vcc, s33, v0
	s_and_saveexec_b64 s[44:45], vcc
	s_cbranch_execz .LBB145_34
; %bb.33:                               ;   in Loop: Header=BB145_3 Depth=1
	v_mov_b32_e32 v1, s37
	v_add_co_u32_e32 v0, vcc, s36, v10
	v_addc_co_u32_e32 v1, vcc, v11, v1, vcc
	global_store_short v[0:1], v2, off
.LBB145_34:                             ;   in Loop: Header=BB145_3 Depth=1
	s_or_b64 exec, exec, s[44:45]
	v_or_b32_e32 v0, 13, v8
	v_cmp_gt_i32_e32 vcc, s33, v0
	s_and_saveexec_b64 s[44:45], vcc
	s_cbranch_execz .LBB145_36
; %bb.35:                               ;   in Loop: Header=BB145_3 Depth=1
	v_mov_b32_e32 v1, s39
	v_add_co_u32_e32 v0, vcc, s38, v10
	v_addc_co_u32_e32 v1, vcc, v11, v1, vcc
	global_store_short_d16_hi v[0:1], v2, off
.LBB145_36:                             ;   in Loop: Header=BB145_3 Depth=1
	s_or_b64 exec, exec, s[44:45]
	v_or_b32_e32 v0, 14, v8
	v_cmp_gt_i32_e32 vcc, s33, v0
	s_and_saveexec_b64 s[44:45], vcc
	s_cbranch_execz .LBB145_38
; %bb.37:                               ;   in Loop: Header=BB145_3 Depth=1
	v_mov_b32_e32 v1, s41
	v_add_co_u32_e32 v0, vcc, s40, v10
	v_addc_co_u32_e32 v1, vcc, v11, v1, vcc
	global_store_short v[0:1], v3, off
.LBB145_38:                             ;   in Loop: Header=BB145_3 Depth=1
	s_or_b64 exec, exec, s[44:45]
	v_or_b32_e32 v0, 15, v8
	v_cmp_gt_i32_e32 vcc, s33, v0
	s_and_saveexec_b64 s[44:45], vcc
	s_cbranch_execz .LBB145_1
; %bb.39:                               ;   in Loop: Header=BB145_3 Depth=1
	v_mov_b32_e32 v1, s43
	v_add_co_u32_e32 v0, vcc, s42, v10
	v_addc_co_u32_e32 v1, vcc, v11, v1, vcc
	global_store_short_d16_hi v[0:1], v3, off
	s_branch .LBB145_1
.LBB145_40:
	s_endpgm
	.section	.rodata,"a",@progbits
	.p2align	6, 0x0
	.amdhsa_kernel _ZN5aiter24partial_transpose_kernelItLi512ELi16ELi10000EEEvPT_S2_PKii
		.amdhsa_group_segment_fixed_size 0
		.amdhsa_private_segment_fixed_size 0
		.amdhsa_kernarg_size 288
		.amdhsa_user_sgpr_count 6
		.amdhsa_user_sgpr_private_segment_buffer 1
		.amdhsa_user_sgpr_dispatch_ptr 0
		.amdhsa_user_sgpr_queue_ptr 0
		.amdhsa_user_sgpr_kernarg_segment_ptr 1
		.amdhsa_user_sgpr_dispatch_id 0
		.amdhsa_user_sgpr_flat_scratch_init 0
		.amdhsa_user_sgpr_kernarg_preload_length 0
		.amdhsa_user_sgpr_kernarg_preload_offset 0
		.amdhsa_user_sgpr_private_segment_size 0
		.amdhsa_uses_dynamic_stack 0
		.amdhsa_system_sgpr_private_segment_wavefront_offset 0
		.amdhsa_system_sgpr_workgroup_id_x 1
		.amdhsa_system_sgpr_workgroup_id_y 0
		.amdhsa_system_sgpr_workgroup_id_z 0
		.amdhsa_system_sgpr_workgroup_info 0
		.amdhsa_system_vgpr_workitem_id 0
		.amdhsa_next_free_vgpr 18
		.amdhsa_next_free_sgpr 54
		.amdhsa_accum_offset 20
		.amdhsa_reserve_vcc 1
		.amdhsa_reserve_flat_scratch 0
		.amdhsa_float_round_mode_32 0
		.amdhsa_float_round_mode_16_64 0
		.amdhsa_float_denorm_mode_32 3
		.amdhsa_float_denorm_mode_16_64 3
		.amdhsa_dx10_clamp 1
		.amdhsa_ieee_mode 1
		.amdhsa_fp16_overflow 0
		.amdhsa_tg_split 0
		.amdhsa_exception_fp_ieee_invalid_op 0
		.amdhsa_exception_fp_denorm_src 0
		.amdhsa_exception_fp_ieee_div_zero 0
		.amdhsa_exception_fp_ieee_overflow 0
		.amdhsa_exception_fp_ieee_underflow 0
		.amdhsa_exception_fp_ieee_inexact 0
		.amdhsa_exception_int_div_zero 0
	.end_amdhsa_kernel
	.section	.text._ZN5aiter24partial_transpose_kernelItLi512ELi16ELi10000EEEvPT_S2_PKii,"axG",@progbits,_ZN5aiter24partial_transpose_kernelItLi512ELi16ELi10000EEEvPT_S2_PKii,comdat
.Lfunc_end145:
	.size	_ZN5aiter24partial_transpose_kernelItLi512ELi16ELi10000EEEvPT_S2_PKii, .Lfunc_end145-_ZN5aiter24partial_transpose_kernelItLi512ELi16ELi10000EEEvPT_S2_PKii
                                        ; -- End function
	.section	.AMDGPU.csdata,"",@progbits
; Kernel info:
; codeLenInByte = 1920
; NumSgprs: 58
; NumVgprs: 18
; NumAgprs: 0
; TotalNumVgprs: 18
; ScratchSize: 0
; MemoryBound: 0
; FloatMode: 240
; IeeeMode: 1
; LDSByteSize: 0 bytes/workgroup (compile time only)
; SGPRBlocks: 7
; VGPRBlocks: 2
; NumSGPRsForWavesPerEU: 58
; NumVGPRsForWavesPerEU: 18
; AccumOffset: 20
; Occupancy: 8
; WaveLimiterHint : 1
; COMPUTE_PGM_RSRC2:SCRATCH_EN: 0
; COMPUTE_PGM_RSRC2:USER_SGPR: 6
; COMPUTE_PGM_RSRC2:TRAP_HANDLER: 0
; COMPUTE_PGM_RSRC2:TGID_X_EN: 1
; COMPUTE_PGM_RSRC2:TGID_Y_EN: 0
; COMPUTE_PGM_RSRC2:TGID_Z_EN: 0
; COMPUTE_PGM_RSRC2:TIDIG_COMP_CNT: 0
; COMPUTE_PGM_RSRC3_GFX90A:ACCUM_OFFSET: 4
; COMPUTE_PGM_RSRC3_GFX90A:TG_SPLIT: 0
	.section	.text._ZN5aiter43moe_smooth_per_token_scaled_quant_kernel_v1IDF16_DB8_Li128ELi8ELb1ELb1ELi1024EEEvPT0_PfPT_S4_PiS7_iiiii,"axG",@progbits,_ZN5aiter43moe_smooth_per_token_scaled_quant_kernel_v1IDF16_DB8_Li128ELi8ELb1ELb1ELi1024EEEvPT0_PfPT_S4_PiS7_iiiii,comdat
	.protected	_ZN5aiter43moe_smooth_per_token_scaled_quant_kernel_v1IDF16_DB8_Li128ELi8ELb1ELb1ELi1024EEEvPT0_PfPT_S4_PiS7_iiiii ; -- Begin function _ZN5aiter43moe_smooth_per_token_scaled_quant_kernel_v1IDF16_DB8_Li128ELi8ELb1ELb1ELi1024EEEvPT0_PfPT_S4_PiS7_iiiii
	.globl	_ZN5aiter43moe_smooth_per_token_scaled_quant_kernel_v1IDF16_DB8_Li128ELi8ELb1ELb1ELi1024EEEvPT0_PfPT_S4_PiS7_iiiii
	.p2align	8
	.type	_ZN5aiter43moe_smooth_per_token_scaled_quant_kernel_v1IDF16_DB8_Li128ELi8ELb1ELb1ELi1024EEEvPT0_PfPT_S4_PiS7_iiiii,@function
_ZN5aiter43moe_smooth_per_token_scaled_quant_kernel_v1IDF16_DB8_Li128ELi8ELb1ELb1ELi1024EEEvPT0_PfPT_S4_PiS7_iiiii: ; @_ZN5aiter43moe_smooth_per_token_scaled_quant_kernel_v1IDF16_DB8_Li128ELi8ELb1ELb1ELi1024EEEvPT0_PfPT_S4_PiS7_iiiii
; %bb.0:
	s_load_dword s7, s[4:5], 0x40
	s_load_dwordx8 s[8:15], s[4:5], 0x20
	s_load_dwordx2 s[16:17], s[4:5], 0x10
	v_and_b32_e32 v1, 0x3c0, v0
	v_lshlrev_b32_e32 v1, 2, v1
	v_lshlrev_b32_e32 v2, 2, v0
	s_waitcnt lgkmcnt(0)
	s_mov_b32 s0, s10
	v_readfirstlane_b32 s10, v1
	v_add_u32_e32 v3, 0x200, v1
	s_lshl_b32 s2, s7, 2
	s_and_b32 s1, s11, 0xffff
	s_mov_b32 s3, 0x20000
	;;#ASMSTART
	s_mov_b32 m0 s10
	buffer_load_dword v2, s[0:3], 0 offen offset:0 lds
	
	;;#ASMEND
	v_readfirstlane_b32 s10, v3
	v_add_u32_e32 v3, 0x200, v2
	;;#ASMSTART
	s_mov_b32 m0 s10
	buffer_load_dword v3, s[0:3], 0 offen offset:0 lds
	
	;;#ASMEND
	v_add_u32_e32 v3, 0x400, v1
	v_readfirstlane_b32 s10, v3
	v_add_u32_e32 v3, 0x400, v2
	;;#ASMSTART
	s_mov_b32 m0 s10
	buffer_load_dword v3, s[0:3], 0 offen offset:0 lds
	
	;;#ASMEND
	v_add_u32_e32 v3, 0x600, v1
	;; [unrolled: 8-line block ×6, first 2 shown]
	v_readfirstlane_b32 s10, v1
	v_add_u32_e32 v1, 0xe00, v2
	;;#ASMSTART
	s_mov_b32 m0 s10
	buffer_load_dword v1, s[0:3], 0 offen offset:0 lds
	
	;;#ASMEND
	s_mul_i32 s0, s6, s13
	s_ashr_i32 s1, s0, 31
	s_lshl_b64 s[0:1], s[0:1], 2
	s_add_u32 s0, s8, s0
	v_and_b32_e32 v1, 63, v0
	s_addc_u32 s1, s9, s1
	s_lshl_b32 s2, s13, 2
	s_and_b32 s1, s1, 0xffff
	v_lshlrev_b32_e32 v2, 2, v1
	buffer_load_dword v16, v2, s[0:3], 0 offen
	s_mul_hi_i32 s1, s15, s6
	s_mul_i32 s0, s15, s6
	s_lshl_b64 s[0:1], s[0:1], 1
	s_add_u32 s0, s16, s0
	s_addc_u32 s1, s17, s1
	s_lshl_b32 s2, s14, 1
	s_and_b32 s1, s1, 0xffff
	v_lshlrev_b32_e32 v2, 4, v0
	buffer_load_dwordx4 v[2:5], v2, s[0:3], 0 offen
	v_cmp_gt_i32_e32 vcc, s13, v1
	s_waitcnt vmcnt(1)
	s_barrier
	v_cmp_gt_i32_e64 s[2:3], s7, v16
	v_cmp_lt_i32_e64 s[0:1], -1, v16
	s_and_b64 s[2:3], vcc, s[2:3]
	s_and_b64 s[2:3], s[2:3], s[0:1]
	s_and_saveexec_b64 s[0:1], s[2:3]
	s_cbranch_execz .LBB146_2
; %bb.1:
	v_lshlrev_b32_e32 v6, 2, v16
	ds_read_b32 v16, v6
.LBB146_2:
	s_or_b64 exec, exec, s[0:1]
	s_cmp_lt_i32 s13, 1
	s_cbranch_scc1 .LBB146_13
; %bb.3:
	s_add_i32 s2, s14, 7
	s_load_dwordx4 s[8:11], s[4:5], 0x0
	s_load_dwordx2 s[24:25], s[4:5], 0x18
	s_ashr_i32 s3, s2, 31
	s_add_i32 s4, s14, 3
	s_waitcnt vmcnt(0)
	v_cvt_f32_f16_sdwa v7, v2 dst_sel:DWORD dst_unused:UNUSED_PAD src0_sel:WORD_1
	v_cvt_f32_f16_e32 v6, v2
	v_cvt_f32_f16_sdwa v9, v3 dst_sel:DWORD dst_unused:UNUSED_PAD src0_sel:WORD_1
	v_cvt_f32_f16_e32 v8, v3
	;; [unrolled: 2-line block ×4, first 2 shown]
	s_lshr_b32 s3, s3, 29
	s_ashr_i32 s5, s4, 31
	v_cmp_eq_u32_e32 vcc, 63, v1
	v_lshrrev_b32_e32 v1, 4, v0
	v_mov_b32_e32 v4, 0x1000
	s_add_i32 s2, s2, s3
	s_lshr_b32 s5, s5, 30
	v_and_or_b32 v19, v1, 60, v4
	v_and_b32_e32 v1, 1, v0
	s_ashr_i32 s2, s2, 3
	s_add_i32 s4, s4, s5
	v_lshlrev_b32_e32 v17, 3, v0
	s_lshl_b32 s18, s14, 2
	v_lshlrev_b32_e32 v18, 5, v0
	v_lshl_or_b32 v20, v1, 2, v4
	s_mov_b32 s15, 0
	v_cmp_eq_u32_e64 s[0:1], 0, v0
	v_cmp_gt_u32_e64 s[2:3], s2, v0
	s_and_b32 s22, s4, -4
	s_mov_b32 s26, 0xffff
	s_mov_b32 s19, 0x20000
	;; [unrolled: 1-line block ×3, first 2 shown]
	v_mov_b32_e32 v21, 0
	v_mov_b32_e32 v22, 0xc3e00000
	;; [unrolled: 1-line block ×3, first 2 shown]
	s_mov_b32 s28, 0x5040100
	s_movk_i32 s29, 0xff
	s_branch .LBB146_6
.LBB146_4:                              ;   in Loop: Header=BB146_6 Depth=1
	s_or_b64 exec, exec, s[4:5]
.LBB146_5:                              ;   in Loop: Header=BB146_6 Depth=1
	s_add_i32 s15, s15, 1
	s_add_i32 s6, s6, s12
	s_cmp_eq_u32 s13, s15
	s_cbranch_scc1 .LBB146_13
.LBB146_6:                              ; =>This Inner Loop Header: Depth=1
	s_waitcnt lgkmcnt(0)
	v_readlane_b32 s4, v16, s15
	s_cmp_lt_i32 s4, 0
	s_cbranch_scc1 .LBB146_5
; %bb.7:                                ;   in Loop: Header=BB146_6 Depth=1
	s_mul_i32 s4, s4, s14
	s_ashr_i32 s5, s4, 31
	s_lshl_b64 s[4:5], s[4:5], 2
	s_add_u32 s16, s24, s4
	s_addc_u32 s4, s25, s5
	s_and_b32 s17, s4, 0xffff
	buffer_load_dwordx4 v[24:27], v18, s[16:19], 0 offen
	buffer_load_dwordx4 v[28:31], v18, s[16:19], 16 offen
	s_waitcnt vmcnt(1)
	v_pk_mul_f32 v[14:15], v[24:25], v[6:7]
	v_pk_mul_f32 v[12:13], v[26:27], v[8:9]
	v_max3_f32 v24, |v14|, s27, |v15|
	s_waitcnt vmcnt(0)
	v_pk_mul_f32 v[4:5], v[28:29], v[2:3]
	v_max3_f32 v24, v24, |v12|, |v13|
	v_pk_mul_f32 v[0:1], v[30:31], v[10:11]
	v_max3_f32 v24, v24, |v4|, |v5|
	v_max3_f32 v24, v24, |v0|, |v1|
	s_nop 1
	v_mov_b32_dpp v25, v24 quad_perm:[1,0,3,2] row_mask:0xf bank_mask:0xf
	v_cmp_gt_f32_e64 s[4:5], v24, v25
	v_cndmask_b32_e64 v24, v25, v24, s[4:5]
	s_nop 1
	v_mov_b32_dpp v25, v24 quad_perm:[2,3,0,1] row_mask:0xf bank_mask:0xf
	v_cmp_gt_f32_e64 s[4:5], v24, v25
	v_cndmask_b32_e64 v24, v25, v24, s[4:5]
	s_nop 1
	v_mov_b32_dpp v25, v24 row_half_mirror row_mask:0xf bank_mask:0xf
	v_cmp_gt_f32_e64 s[4:5], v24, v25
	v_cndmask_b32_e64 v24, v25, v24, s[4:5]
	s_nop 1
	v_mov_b32_dpp v25, v24 row_mirror row_mask:0xf bank_mask:0xf
	v_cmp_gt_f32_e64 s[4:5], v24, v25
	v_cndmask_b32_e64 v24, v25, v24, s[4:5]
	s_nop 1
	v_mov_b32_dpp v25, v24 row_bcast:15 row_mask:0xf bank_mask:0xf
	v_cmp_gt_f32_e64 s[4:5], v24, v25
	v_cndmask_b32_e64 v24, v25, v24, s[4:5]
	s_nop 1
	v_mov_b32_dpp v25, v24 row_bcast:31 row_mask:0xf bank_mask:0xf
	s_and_saveexec_b64 s[16:17], vcc
	s_cbranch_execz .LBB146_9
; %bb.8:                                ;   in Loop: Header=BB146_6 Depth=1
	v_cmp_gt_f32_e64 s[4:5], v24, v25
	v_cndmask_b32_e64 v24, v25, v24, s[4:5]
	ds_write_b32 v19, v24
.LBB146_9:                              ;   in Loop: Header=BB146_6 Depth=1
	s_or_b64 exec, exec, s[16:17]
	s_waitcnt lgkmcnt(0)
	s_barrier
	ds_read_b32 v24, v20
	s_waitcnt lgkmcnt(0)
	s_nop 0
	v_mov_b32_dpp v25, v24 quad_perm:[1,0,3,2] row_mask:0xf bank_mask:0xf
	v_cmp_gt_f32_e64 s[4:5], v24, v25
	v_cndmask_b32_e64 v24, v25, v24, s[4:5]
	v_mul_f32_e32 v24, 0x3b124925, v24
	s_and_saveexec_b64 s[4:5], s[0:1]
	s_cbranch_execz .LBB146_11
; %bb.10:                               ;   in Loop: Header=BB146_6 Depth=1
	s_ashr_i32 s7, s6, 31
	s_lshl_b64 s[16:17], s[6:7], 2
	s_add_u32 s16, s10, s16
	s_addc_u32 s17, s11, s17
	global_store_dword v21, v24, s[16:17]
.LBB146_11:                             ;   in Loop: Header=BB146_6 Depth=1
	s_or_b64 exec, exec, s[4:5]
	s_and_saveexec_b64 s[4:5], s[2:3]
	s_cbranch_execz .LBB146_4
; %bb.12:                               ;   in Loop: Header=BB146_6 Depth=1
	v_rcp_f32_e32 v24, v24
	s_mul_i32 s16, s6, s14
	s_mul_hi_i32 s7, s6, s14
	s_add_u32 s20, s8, s16
	v_mov_b32_e32 v25, v24
	;;#ASMSTART
	v_pk_mul_f32 v[14:15], v[14:15], v[24:25]
	;;#ASMEND
	;;#ASMSTART
	v_med3_f32 v14, v14, v22, v23
v_med3_f32 v15, v15, v22, v23
v_cvt_pk_fp8_f32 v26, v14, v15
	;;#ASMEND
	;;#ASMSTART
	v_pk_mul_f32 v[12:13], v[12:13], v[24:25]
	;;#ASMEND
	;;#ASMSTART
	v_med3_f32 v12, v12, v22, v23
v_med3_f32 v13, v13, v22, v23
v_cvt_pk_fp8_f32 v14, v12, v13
	;;#ASMEND
	v_perm_b32 v13, v14, v26, s28
	v_and_b32_e32 v12, 0xffffff00, v14
	v_and_b32_sdwa v14, v13, s29 dst_sel:DWORD dst_unused:UNUSED_PAD src0_sel:WORD_1 src1_sel:DWORD
	v_or_b32_sdwa v12, v14, v12 dst_sel:WORD_1 dst_unused:UNUSED_PAD src0_sel:DWORD src1_sel:DWORD
	;;#ASMSTART
	v_pk_mul_f32 v[4:5], v[4:5], v[24:25]
	;;#ASMEND
	v_and_or_b32 v12, v13, s26, v12
	;;#ASMSTART
	v_med3_f32 v4, v4, v22, v23
v_med3_f32 v5, v5, v22, v23
v_cvt_pk_fp8_f32 v13, v4, v5
	;;#ASMEND
	;;#ASMSTART
	v_pk_mul_f32 v[0:1], v[0:1], v[24:25]
	;;#ASMEND
	;;#ASMSTART
	v_med3_f32 v0, v0, v22, v23
v_med3_f32 v1, v1, v22, v23
v_cvt_pk_fp8_f32 v4, v0, v1
	;;#ASMEND
	s_addc_u32 s7, s9, s7
	v_lshlrev_b32_e32 v0, 16, v4
	s_and_b32 s21, s7, 0xffff
	s_mov_b32 s23, s19
	v_and_or_b32 v13, v13, s26, v0
	buffer_store_dwordx2 v[12:13], v17, s[20:23], 0 offen
	;;#ASMSTART
	s_nop 0
	;;#ASMEND
	s_branch .LBB146_4
.LBB146_13:
	s_endpgm
	.section	.rodata,"a",@progbits
	.p2align	6, 0x0
	.amdhsa_kernel _ZN5aiter43moe_smooth_per_token_scaled_quant_kernel_v1IDF16_DB8_Li128ELi8ELb1ELb1ELi1024EEEvPT0_PfPT_S4_PiS7_iiiii
		.amdhsa_group_segment_fixed_size 4104
		.amdhsa_private_segment_fixed_size 0
		.amdhsa_kernarg_size 68
		.amdhsa_user_sgpr_count 6
		.amdhsa_user_sgpr_private_segment_buffer 1
		.amdhsa_user_sgpr_dispatch_ptr 0
		.amdhsa_user_sgpr_queue_ptr 0
		.amdhsa_user_sgpr_kernarg_segment_ptr 1
		.amdhsa_user_sgpr_dispatch_id 0
		.amdhsa_user_sgpr_flat_scratch_init 0
		.amdhsa_user_sgpr_kernarg_preload_length 0
		.amdhsa_user_sgpr_kernarg_preload_offset 0
		.amdhsa_user_sgpr_private_segment_size 0
		.amdhsa_uses_dynamic_stack 0
		.amdhsa_system_sgpr_private_segment_wavefront_offset 0
		.amdhsa_system_sgpr_workgroup_id_x 1
		.amdhsa_system_sgpr_workgroup_id_y 0
		.amdhsa_system_sgpr_workgroup_id_z 0
		.amdhsa_system_sgpr_workgroup_info 0
		.amdhsa_system_vgpr_workitem_id 0
		.amdhsa_next_free_vgpr 32
		.amdhsa_next_free_sgpr 30
		.amdhsa_accum_offset 32
		.amdhsa_reserve_vcc 1
		.amdhsa_reserve_flat_scratch 0
		.amdhsa_float_round_mode_32 0
		.amdhsa_float_round_mode_16_64 0
		.amdhsa_float_denorm_mode_32 3
		.amdhsa_float_denorm_mode_16_64 3
		.amdhsa_dx10_clamp 1
		.amdhsa_ieee_mode 1
		.amdhsa_fp16_overflow 0
		.amdhsa_tg_split 0
		.amdhsa_exception_fp_ieee_invalid_op 0
		.amdhsa_exception_fp_denorm_src 0
		.amdhsa_exception_fp_ieee_div_zero 0
		.amdhsa_exception_fp_ieee_overflow 0
		.amdhsa_exception_fp_ieee_underflow 0
		.amdhsa_exception_fp_ieee_inexact 0
		.amdhsa_exception_int_div_zero 0
	.end_amdhsa_kernel
	.section	.text._ZN5aiter43moe_smooth_per_token_scaled_quant_kernel_v1IDF16_DB8_Li128ELi8ELb1ELb1ELi1024EEEvPT0_PfPT_S4_PiS7_iiiii,"axG",@progbits,_ZN5aiter43moe_smooth_per_token_scaled_quant_kernel_v1IDF16_DB8_Li128ELi8ELb1ELb1ELi1024EEEvPT0_PfPT_S4_PiS7_iiiii,comdat
.Lfunc_end146:
	.size	_ZN5aiter43moe_smooth_per_token_scaled_quant_kernel_v1IDF16_DB8_Li128ELi8ELb1ELb1ELi1024EEEvPT0_PfPT_S4_PiS7_iiiii, .Lfunc_end146-_ZN5aiter43moe_smooth_per_token_scaled_quant_kernel_v1IDF16_DB8_Li128ELi8ELb1ELb1ELi1024EEEvPT0_PfPT_S4_PiS7_iiiii
                                        ; -- End function
	.section	.AMDGPU.csdata,"",@progbits
; Kernel info:
; codeLenInByte = 1420
; NumSgprs: 34
; NumVgprs: 32
; NumAgprs: 0
; TotalNumVgprs: 32
; ScratchSize: 0
; MemoryBound: 0
; FloatMode: 240
; IeeeMode: 1
; LDSByteSize: 4104 bytes/workgroup (compile time only)
; SGPRBlocks: 4
; VGPRBlocks: 3
; NumSGPRsForWavesPerEU: 34
; NumVGPRsForWavesPerEU: 32
; AccumOffset: 32
; Occupancy: 8
; WaveLimiterHint : 0
; COMPUTE_PGM_RSRC2:SCRATCH_EN: 0
; COMPUTE_PGM_RSRC2:USER_SGPR: 6
; COMPUTE_PGM_RSRC2:TRAP_HANDLER: 0
; COMPUTE_PGM_RSRC2:TGID_X_EN: 1
; COMPUTE_PGM_RSRC2:TGID_Y_EN: 0
; COMPUTE_PGM_RSRC2:TGID_Z_EN: 0
; COMPUTE_PGM_RSRC2:TIDIG_COMP_CNT: 0
; COMPUTE_PGM_RSRC3_GFX90A:ACCUM_OFFSET: 7
; COMPUTE_PGM_RSRC3_GFX90A:TG_SPLIT: 0
	.section	.text._ZN5aiter43moe_smooth_per_token_scaled_quant_kernel_v1ItDB8_Li128ELi8ELb1ELb1ELi1024EEEvPT0_PfPT_S4_PiS7_iiiii,"axG",@progbits,_ZN5aiter43moe_smooth_per_token_scaled_quant_kernel_v1ItDB8_Li128ELi8ELb1ELb1ELi1024EEEvPT0_PfPT_S4_PiS7_iiiii,comdat
	.protected	_ZN5aiter43moe_smooth_per_token_scaled_quant_kernel_v1ItDB8_Li128ELi8ELb1ELb1ELi1024EEEvPT0_PfPT_S4_PiS7_iiiii ; -- Begin function _ZN5aiter43moe_smooth_per_token_scaled_quant_kernel_v1ItDB8_Li128ELi8ELb1ELb1ELi1024EEEvPT0_PfPT_S4_PiS7_iiiii
	.globl	_ZN5aiter43moe_smooth_per_token_scaled_quant_kernel_v1ItDB8_Li128ELi8ELb1ELb1ELi1024EEEvPT0_PfPT_S4_PiS7_iiiii
	.p2align	8
	.type	_ZN5aiter43moe_smooth_per_token_scaled_quant_kernel_v1ItDB8_Li128ELi8ELb1ELb1ELi1024EEEvPT0_PfPT_S4_PiS7_iiiii,@function
_ZN5aiter43moe_smooth_per_token_scaled_quant_kernel_v1ItDB8_Li128ELi8ELb1ELb1ELi1024EEEvPT0_PfPT_S4_PiS7_iiiii: ; @_ZN5aiter43moe_smooth_per_token_scaled_quant_kernel_v1ItDB8_Li128ELi8ELb1ELb1ELi1024EEEvPT0_PfPT_S4_PiS7_iiiii
; %bb.0:
	s_load_dword s7, s[4:5], 0x40
	s_load_dwordx8 s[8:15], s[4:5], 0x20
	s_load_dwordx2 s[16:17], s[4:5], 0x10
	v_and_b32_e32 v1, 0x3c0, v0
	v_lshlrev_b32_e32 v1, 2, v1
	v_lshlrev_b32_e32 v2, 2, v0
	s_waitcnt lgkmcnt(0)
	s_mov_b32 s0, s10
	v_readfirstlane_b32 s10, v1
	v_add_u32_e32 v3, 0x200, v1
	s_lshl_b32 s2, s7, 2
	s_and_b32 s1, s11, 0xffff
	s_mov_b32 s3, 0x20000
	;;#ASMSTART
	s_mov_b32 m0 s10
	buffer_load_dword v2, s[0:3], 0 offen offset:0 lds
	
	;;#ASMEND
	v_readfirstlane_b32 s10, v3
	v_add_u32_e32 v3, 0x200, v2
	;;#ASMSTART
	s_mov_b32 m0 s10
	buffer_load_dword v3, s[0:3], 0 offen offset:0 lds
	
	;;#ASMEND
	v_add_u32_e32 v3, 0x400, v1
	v_readfirstlane_b32 s10, v3
	v_add_u32_e32 v3, 0x400, v2
	;;#ASMSTART
	s_mov_b32 m0 s10
	buffer_load_dword v3, s[0:3], 0 offen offset:0 lds
	
	;;#ASMEND
	v_add_u32_e32 v3, 0x600, v1
	;; [unrolled: 8-line block ×6, first 2 shown]
	v_readfirstlane_b32 s10, v1
	v_add_u32_e32 v1, 0xe00, v2
	;;#ASMSTART
	s_mov_b32 m0 s10
	buffer_load_dword v1, s[0:3], 0 offen offset:0 lds
	
	;;#ASMEND
	s_mul_i32 s0, s6, s13
	s_ashr_i32 s1, s0, 31
	s_lshl_b64 s[0:1], s[0:1], 2
	s_add_u32 s0, s8, s0
	v_and_b32_e32 v1, 63, v0
	s_addc_u32 s1, s9, s1
	s_lshl_b32 s2, s13, 2
	s_and_b32 s1, s1, 0xffff
	v_lshlrev_b32_e32 v2, 2, v1
	buffer_load_dword v16, v2, s[0:3], 0 offen
	s_mul_hi_i32 s1, s15, s6
	s_mul_i32 s0, s15, s6
	s_lshl_b64 s[0:1], s[0:1], 1
	s_add_u32 s0, s16, s0
	s_addc_u32 s1, s17, s1
	s_lshl_b32 s2, s14, 1
	s_and_b32 s1, s1, 0xffff
	v_lshlrev_b32_e32 v2, 4, v0
	buffer_load_dwordx4 v[2:5], v2, s[0:3], 0 offen
	v_cmp_gt_i32_e32 vcc, s13, v1
	s_waitcnt vmcnt(1)
	s_barrier
	v_cmp_gt_i32_e64 s[2:3], s7, v16
	v_cmp_lt_i32_e64 s[0:1], -1, v16
	s_and_b64 s[2:3], vcc, s[2:3]
	s_and_b64 s[2:3], s[2:3], s[0:1]
	s_and_saveexec_b64 s[0:1], s[2:3]
	s_cbranch_execz .LBB147_2
; %bb.1:
	v_lshlrev_b32_e32 v6, 2, v16
	ds_read_b32 v16, v6
.LBB147_2:
	s_or_b64 exec, exec, s[0:1]
	s_cmp_lt_i32 s13, 1
	s_cbranch_scc1 .LBB147_13
; %bb.3:
	s_add_i32 s2, s14, 7
	s_load_dwordx4 s[8:11], s[4:5], 0x0
	s_load_dwordx2 s[24:25], s[4:5], 0x18
	s_ashr_i32 s3, s2, 31
	s_add_i32 s4, s14, 3
	s_waitcnt vmcnt(0)
	v_cvt_f32_u32_sdwa v7, v2 dst_sel:DWORD dst_unused:UNUSED_PAD src0_sel:WORD_1
	v_cvt_f32_u32_sdwa v6, v2 dst_sel:DWORD dst_unused:UNUSED_PAD src0_sel:WORD_0
	v_cvt_f32_u32_sdwa v9, v3 dst_sel:DWORD dst_unused:UNUSED_PAD src0_sel:WORD_1
	v_cvt_f32_u32_sdwa v8, v3 dst_sel:DWORD dst_unused:UNUSED_PAD src0_sel:WORD_0
	;; [unrolled: 2-line block ×4, first 2 shown]
	s_lshr_b32 s3, s3, 29
	s_ashr_i32 s5, s4, 31
	v_cmp_eq_u32_e32 vcc, 63, v1
	v_lshrrev_b32_e32 v1, 4, v0
	v_mov_b32_e32 v4, 0x1000
	s_add_i32 s2, s2, s3
	s_lshr_b32 s5, s5, 30
	v_and_or_b32 v19, v1, 60, v4
	v_and_b32_e32 v1, 1, v0
	s_ashr_i32 s2, s2, 3
	s_add_i32 s4, s4, s5
	s_mov_b32 s15, 0xffff
	v_lshlrev_b32_e32 v17, 3, v0
	s_lshl_b32 s18, s14, 2
	v_lshlrev_b32_e32 v18, 5, v0
	v_lshl_or_b32 v20, v1, 2, v4
	s_mov_b32 s26, 0
	v_cmp_eq_u32_e64 s[0:1], 0, v0
	v_cmp_gt_u32_e64 s[2:3], s2, v0
	s_and_b32 s22, s4, -4
	s_mov_b32 s19, 0x20000
	s_mov_b32 s27, 0x2edbe6ff
	v_mov_b32_e32 v21, 0
	v_mov_b32_e32 v22, 0xc3e00000
	;; [unrolled: 1-line block ×3, first 2 shown]
	s_mov_b32 s28, 0x5040100
	s_movk_i32 s29, 0xff
	s_branch .LBB147_6
.LBB147_4:                              ;   in Loop: Header=BB147_6 Depth=1
	s_or_b64 exec, exec, s[4:5]
.LBB147_5:                              ;   in Loop: Header=BB147_6 Depth=1
	s_add_i32 s26, s26, 1
	s_add_i32 s6, s6, s12
	s_cmp_eq_u32 s13, s26
	s_cbranch_scc1 .LBB147_13
.LBB147_6:                              ; =>This Inner Loop Header: Depth=1
	s_waitcnt lgkmcnt(0)
	v_readlane_b32 s4, v16, s26
	s_cmp_lt_i32 s4, 0
	s_cbranch_scc1 .LBB147_5
; %bb.7:                                ;   in Loop: Header=BB147_6 Depth=1
	s_mul_i32 s4, s4, s14
	s_ashr_i32 s5, s4, 31
	s_lshl_b64 s[4:5], s[4:5], 2
	s_add_u32 s16, s24, s4
	s_addc_u32 s4, s25, s5
	s_and_b32 s17, s4, 0xffff
	buffer_load_dwordx4 v[24:27], v18, s[16:19], 0 offen
	buffer_load_dwordx4 v[28:31], v18, s[16:19], 16 offen
	s_waitcnt vmcnt(1)
	v_pk_mul_f32 v[14:15], v[24:25], v[6:7]
	v_pk_mul_f32 v[12:13], v[26:27], v[8:9]
	v_max3_f32 v24, |v14|, s27, |v15|
	s_waitcnt vmcnt(0)
	v_pk_mul_f32 v[4:5], v[28:29], v[2:3]
	v_max3_f32 v24, v24, |v12|, |v13|
	v_pk_mul_f32 v[0:1], v[30:31], v[10:11]
	v_max3_f32 v24, v24, |v4|, |v5|
	v_max3_f32 v24, v24, |v0|, |v1|
	s_nop 1
	v_mov_b32_dpp v25, v24 quad_perm:[1,0,3,2] row_mask:0xf bank_mask:0xf
	v_cmp_gt_f32_e64 s[4:5], v24, v25
	v_cndmask_b32_e64 v24, v25, v24, s[4:5]
	s_nop 1
	v_mov_b32_dpp v25, v24 quad_perm:[2,3,0,1] row_mask:0xf bank_mask:0xf
	v_cmp_gt_f32_e64 s[4:5], v24, v25
	v_cndmask_b32_e64 v24, v25, v24, s[4:5]
	s_nop 1
	v_mov_b32_dpp v25, v24 row_half_mirror row_mask:0xf bank_mask:0xf
	v_cmp_gt_f32_e64 s[4:5], v24, v25
	v_cndmask_b32_e64 v24, v25, v24, s[4:5]
	s_nop 1
	v_mov_b32_dpp v25, v24 row_mirror row_mask:0xf bank_mask:0xf
	v_cmp_gt_f32_e64 s[4:5], v24, v25
	v_cndmask_b32_e64 v24, v25, v24, s[4:5]
	s_nop 1
	v_mov_b32_dpp v25, v24 row_bcast:15 row_mask:0xf bank_mask:0xf
	v_cmp_gt_f32_e64 s[4:5], v24, v25
	v_cndmask_b32_e64 v24, v25, v24, s[4:5]
	s_nop 1
	v_mov_b32_dpp v25, v24 row_bcast:31 row_mask:0xf bank_mask:0xf
	s_and_saveexec_b64 s[16:17], vcc
	s_cbranch_execz .LBB147_9
; %bb.8:                                ;   in Loop: Header=BB147_6 Depth=1
	v_cmp_gt_f32_e64 s[4:5], v24, v25
	v_cndmask_b32_e64 v24, v25, v24, s[4:5]
	ds_write_b32 v19, v24
.LBB147_9:                              ;   in Loop: Header=BB147_6 Depth=1
	s_or_b64 exec, exec, s[16:17]
	s_waitcnt lgkmcnt(0)
	s_barrier
	ds_read_b32 v24, v20
	s_waitcnt lgkmcnt(0)
	s_nop 0
	v_mov_b32_dpp v25, v24 quad_perm:[1,0,3,2] row_mask:0xf bank_mask:0xf
	v_cmp_gt_f32_e64 s[4:5], v24, v25
	v_cndmask_b32_e64 v24, v25, v24, s[4:5]
	v_mul_f32_e32 v24, 0x3b124925, v24
	s_and_saveexec_b64 s[4:5], s[0:1]
	s_cbranch_execz .LBB147_11
; %bb.10:                               ;   in Loop: Header=BB147_6 Depth=1
	s_ashr_i32 s7, s6, 31
	s_lshl_b64 s[16:17], s[6:7], 2
	s_add_u32 s16, s10, s16
	s_addc_u32 s17, s11, s17
	global_store_dword v21, v24, s[16:17]
.LBB147_11:                             ;   in Loop: Header=BB147_6 Depth=1
	s_or_b64 exec, exec, s[4:5]
	s_and_saveexec_b64 s[4:5], s[2:3]
	s_cbranch_execz .LBB147_4
; %bb.12:                               ;   in Loop: Header=BB147_6 Depth=1
	v_rcp_f32_e32 v24, v24
	s_mul_i32 s16, s6, s14
	s_mul_hi_i32 s7, s6, s14
	s_add_u32 s20, s8, s16
	v_mov_b32_e32 v25, v24
	;;#ASMSTART
	v_pk_mul_f32 v[14:15], v[14:15], v[24:25]
	;;#ASMEND
	;;#ASMSTART
	v_med3_f32 v14, v14, v22, v23
v_med3_f32 v15, v15, v22, v23
v_cvt_pk_fp8_f32 v26, v14, v15
	;;#ASMEND
	;;#ASMSTART
	v_pk_mul_f32 v[12:13], v[12:13], v[24:25]
	;;#ASMEND
	;;#ASMSTART
	v_med3_f32 v12, v12, v22, v23
v_med3_f32 v13, v13, v22, v23
v_cvt_pk_fp8_f32 v14, v12, v13
	;;#ASMEND
	v_perm_b32 v13, v14, v26, s28
	v_and_b32_e32 v12, 0xffffff00, v14
	v_and_b32_sdwa v14, v13, s29 dst_sel:DWORD dst_unused:UNUSED_PAD src0_sel:WORD_1 src1_sel:DWORD
	v_or_b32_sdwa v12, v14, v12 dst_sel:WORD_1 dst_unused:UNUSED_PAD src0_sel:DWORD src1_sel:DWORD
	;;#ASMSTART
	v_pk_mul_f32 v[4:5], v[4:5], v[24:25]
	;;#ASMEND
	v_and_or_b32 v12, v13, s15, v12
	;;#ASMSTART
	v_med3_f32 v4, v4, v22, v23
v_med3_f32 v5, v5, v22, v23
v_cvt_pk_fp8_f32 v13, v4, v5
	;;#ASMEND
	;;#ASMSTART
	v_pk_mul_f32 v[0:1], v[0:1], v[24:25]
	;;#ASMEND
	;;#ASMSTART
	v_med3_f32 v0, v0, v22, v23
v_med3_f32 v1, v1, v22, v23
v_cvt_pk_fp8_f32 v4, v0, v1
	;;#ASMEND
	s_addc_u32 s7, s9, s7
	v_lshlrev_b32_e32 v0, 16, v4
	s_and_b32 s21, s7, 0xffff
	s_mov_b32 s23, s19
	v_and_or_b32 v13, v13, s15, v0
	buffer_store_dwordx2 v[12:13], v17, s[20:23], 0 offen
	;;#ASMSTART
	s_nop 0
	;;#ASMEND
	s_branch .LBB147_4
.LBB147_13:
	s_endpgm
	.section	.rodata,"a",@progbits
	.p2align	6, 0x0
	.amdhsa_kernel _ZN5aiter43moe_smooth_per_token_scaled_quant_kernel_v1ItDB8_Li128ELi8ELb1ELb1ELi1024EEEvPT0_PfPT_S4_PiS7_iiiii
		.amdhsa_group_segment_fixed_size 4104
		.amdhsa_private_segment_fixed_size 0
		.amdhsa_kernarg_size 68
		.amdhsa_user_sgpr_count 6
		.amdhsa_user_sgpr_private_segment_buffer 1
		.amdhsa_user_sgpr_dispatch_ptr 0
		.amdhsa_user_sgpr_queue_ptr 0
		.amdhsa_user_sgpr_kernarg_segment_ptr 1
		.amdhsa_user_sgpr_dispatch_id 0
		.amdhsa_user_sgpr_flat_scratch_init 0
		.amdhsa_user_sgpr_kernarg_preload_length 0
		.amdhsa_user_sgpr_kernarg_preload_offset 0
		.amdhsa_user_sgpr_private_segment_size 0
		.amdhsa_uses_dynamic_stack 0
		.amdhsa_system_sgpr_private_segment_wavefront_offset 0
		.amdhsa_system_sgpr_workgroup_id_x 1
		.amdhsa_system_sgpr_workgroup_id_y 0
		.amdhsa_system_sgpr_workgroup_id_z 0
		.amdhsa_system_sgpr_workgroup_info 0
		.amdhsa_system_vgpr_workitem_id 0
		.amdhsa_next_free_vgpr 32
		.amdhsa_next_free_sgpr 30
		.amdhsa_accum_offset 32
		.amdhsa_reserve_vcc 1
		.amdhsa_reserve_flat_scratch 0
		.amdhsa_float_round_mode_32 0
		.amdhsa_float_round_mode_16_64 0
		.amdhsa_float_denorm_mode_32 3
		.amdhsa_float_denorm_mode_16_64 3
		.amdhsa_dx10_clamp 1
		.amdhsa_ieee_mode 1
		.amdhsa_fp16_overflow 0
		.amdhsa_tg_split 0
		.amdhsa_exception_fp_ieee_invalid_op 0
		.amdhsa_exception_fp_denorm_src 0
		.amdhsa_exception_fp_ieee_div_zero 0
		.amdhsa_exception_fp_ieee_overflow 0
		.amdhsa_exception_fp_ieee_underflow 0
		.amdhsa_exception_fp_ieee_inexact 0
		.amdhsa_exception_int_div_zero 0
	.end_amdhsa_kernel
	.section	.text._ZN5aiter43moe_smooth_per_token_scaled_quant_kernel_v1ItDB8_Li128ELi8ELb1ELb1ELi1024EEEvPT0_PfPT_S4_PiS7_iiiii,"axG",@progbits,_ZN5aiter43moe_smooth_per_token_scaled_quant_kernel_v1ItDB8_Li128ELi8ELb1ELb1ELi1024EEEvPT0_PfPT_S4_PiS7_iiiii,comdat
.Lfunc_end147:
	.size	_ZN5aiter43moe_smooth_per_token_scaled_quant_kernel_v1ItDB8_Li128ELi8ELb1ELb1ELi1024EEEvPT0_PfPT_S4_PiS7_iiiii, .Lfunc_end147-_ZN5aiter43moe_smooth_per_token_scaled_quant_kernel_v1ItDB8_Li128ELi8ELb1ELb1ELi1024EEEvPT0_PfPT_S4_PiS7_iiiii
                                        ; -- End function
	.section	.AMDGPU.csdata,"",@progbits
; Kernel info:
; codeLenInByte = 1436
; NumSgprs: 34
; NumVgprs: 32
; NumAgprs: 0
; TotalNumVgprs: 32
; ScratchSize: 0
; MemoryBound: 0
; FloatMode: 240
; IeeeMode: 1
; LDSByteSize: 4104 bytes/workgroup (compile time only)
; SGPRBlocks: 4
; VGPRBlocks: 3
; NumSGPRsForWavesPerEU: 34
; NumVGPRsForWavesPerEU: 32
; AccumOffset: 32
; Occupancy: 8
; WaveLimiterHint : 0
; COMPUTE_PGM_RSRC2:SCRATCH_EN: 0
; COMPUTE_PGM_RSRC2:USER_SGPR: 6
; COMPUTE_PGM_RSRC2:TRAP_HANDLER: 0
; COMPUTE_PGM_RSRC2:TGID_X_EN: 1
; COMPUTE_PGM_RSRC2:TGID_Y_EN: 0
; COMPUTE_PGM_RSRC2:TGID_Z_EN: 0
; COMPUTE_PGM_RSRC2:TIDIG_COMP_CNT: 0
; COMPUTE_PGM_RSRC3_GFX90A:ACCUM_OFFSET: 7
; COMPUTE_PGM_RSRC3_GFX90A:TG_SPLIT: 0
	.section	.text._ZN5aiter43moe_smooth_per_token_scaled_quant_kernel_v1IDF16_DB8_Li128ELi8ELb1ELb0ELi1024EEEvPT0_PfPT_S4_PiS7_iiiii,"axG",@progbits,_ZN5aiter43moe_smooth_per_token_scaled_quant_kernel_v1IDF16_DB8_Li128ELi8ELb1ELb0ELi1024EEEvPT0_PfPT_S4_PiS7_iiiii,comdat
	.protected	_ZN5aiter43moe_smooth_per_token_scaled_quant_kernel_v1IDF16_DB8_Li128ELi8ELb1ELb0ELi1024EEEvPT0_PfPT_S4_PiS7_iiiii ; -- Begin function _ZN5aiter43moe_smooth_per_token_scaled_quant_kernel_v1IDF16_DB8_Li128ELi8ELb1ELb0ELi1024EEEvPT0_PfPT_S4_PiS7_iiiii
	.globl	_ZN5aiter43moe_smooth_per_token_scaled_quant_kernel_v1IDF16_DB8_Li128ELi8ELb1ELb0ELi1024EEEvPT0_PfPT_S4_PiS7_iiiii
	.p2align	8
	.type	_ZN5aiter43moe_smooth_per_token_scaled_quant_kernel_v1IDF16_DB8_Li128ELi8ELb1ELb0ELi1024EEEvPT0_PfPT_S4_PiS7_iiiii,@function
_ZN5aiter43moe_smooth_per_token_scaled_quant_kernel_v1IDF16_DB8_Li128ELi8ELb1ELb0ELi1024EEEvPT0_PfPT_S4_PiS7_iiiii: ; @_ZN5aiter43moe_smooth_per_token_scaled_quant_kernel_v1IDF16_DB8_Li128ELi8ELb1ELb0ELi1024EEEvPT0_PfPT_S4_PiS7_iiiii
; %bb.0:
	s_load_dwordx4 s[8:11], s[4:5], 0x30
	s_load_dwordx2 s[0:1], s[4:5], 0x10
	s_load_dwordx2 s[2:3], s[4:5], 0x20
	v_and_b32_e32 v1, 63, v0
	s_mov_b32 s15, 0x20000
	s_waitcnt lgkmcnt(0)
	s_mul_i32 s12, s6, s9
	s_ashr_i32 s13, s12, 31
	s_lshl_b64 s[12:13], s[12:13], 2
	s_add_u32 s12, s2, s12
	s_addc_u32 s2, s3, s13
	s_and_b32 s13, s2, 0xffff
	s_mul_hi_i32 s3, s11, s6
	s_mul_i32 s2, s11, s6
	s_lshl_b32 s14, s9, 2
	v_lshlrev_b32_e32 v2, 2, v1
	s_lshl_b64 s[2:3], s[2:3], 1
	buffer_load_dword v16, v2, s[12:15], 0 offen
	s_add_u32 s12, s0, s2
	s_addc_u32 s0, s1, s3
	s_lshl_b32 s14, s10, 1
	s_and_b32 s13, s0, 0xffff
	v_lshlrev_b32_e32 v2, 4, v0
	buffer_load_dwordx4 v[2:5], v2, s[12:15], 0 offen
	s_mov_b32 s11, 0xffff
	s_mov_b32 s26, 0
	s_cmp_lt_i32 s9, 1
	s_waitcnt vmcnt(1)
	s_barrier
	s_cbranch_scc1 .LBB148_11
; %bb.1:
	s_add_i32 s2, s10, 7
	s_load_dwordx4 s[16:19], s[4:5], 0x0
	s_load_dwordx2 s[24:25], s[4:5], 0x18
	s_ashr_i32 s3, s2, 31
	s_add_i32 s4, s10, 3
	s_waitcnt vmcnt(0)
	v_cvt_f32_f16_sdwa v7, v2 dst_sel:DWORD dst_unused:UNUSED_PAD src0_sel:WORD_1
	v_cvt_f32_f16_e32 v6, v2
	v_cvt_f32_f16_sdwa v9, v3 dst_sel:DWORD dst_unused:UNUSED_PAD src0_sel:WORD_1
	v_cvt_f32_f16_e32 v8, v3
	;; [unrolled: 2-line block ×4, first 2 shown]
	s_lshr_b32 s3, s3, 29
	s_ashr_i32 s5, s4, 31
	v_cmp_eq_u32_e32 vcc, 63, v1
	v_lshrrev_b32_e32 v1, 4, v0
	s_add_i32 s2, s2, s3
	s_lshr_b32 s5, s5, 30
	v_and_b32_e32 v19, 60, v1
	v_and_b32_e32 v1, 1, v0
	s_ashr_i32 s2, s2, 3
	s_add_i32 s4, s4, s5
	v_lshlrev_b32_e32 v17, 3, v0
	s_lshl_b32 s14, s10, 2
	v_lshlrev_b32_e32 v18, 5, v0
	v_lshlrev_b32_e32 v20, 2, v1
	v_cmp_eq_u32_e64 s[0:1], 0, v0
	v_cmp_gt_u32_e64 s[2:3], s2, v0
	s_and_b32 s22, s4, -4
	s_mov_b32 s27, 0x2edbe6ff
	v_mov_b32_e32 v21, 0
	v_mov_b32_e32 v22, 0xc3e00000
	;; [unrolled: 1-line block ×3, first 2 shown]
	s_mov_b32 s28, 0x5040100
	s_movk_i32 s29, 0xff
	s_branch .LBB148_4
.LBB148_2:                              ;   in Loop: Header=BB148_4 Depth=1
	s_or_b64 exec, exec, s[4:5]
.LBB148_3:                              ;   in Loop: Header=BB148_4 Depth=1
	s_add_i32 s26, s26, 1
	s_add_i32 s6, s6, s8
	s_cmp_eq_u32 s9, s26
	s_cbranch_scc1 .LBB148_11
.LBB148_4:                              ; =>This Inner Loop Header: Depth=1
	v_readlane_b32 s4, v16, s26
	s_cmp_lt_i32 s4, 0
	s_cbranch_scc1 .LBB148_3
; %bb.5:                                ;   in Loop: Header=BB148_4 Depth=1
	s_mul_i32 s4, s4, s10
	s_ashr_i32 s5, s4, 31
	s_lshl_b64 s[4:5], s[4:5], 2
	s_waitcnt lgkmcnt(0)
	s_add_u32 s12, s24, s4
	s_addc_u32 s4, s25, s5
	s_and_b32 s13, s4, 0xffff
	buffer_load_dwordx4 v[24:27], v18, s[12:15], 0 offen
	buffer_load_dwordx4 v[28:31], v18, s[12:15], 16 offen
	s_waitcnt vmcnt(1)
	v_pk_mul_f32 v[14:15], v[24:25], v[6:7]
	v_pk_mul_f32 v[12:13], v[26:27], v[8:9]
	v_max3_f32 v24, |v14|, s27, |v15|
	s_waitcnt vmcnt(0)
	v_pk_mul_f32 v[4:5], v[28:29], v[2:3]
	v_max3_f32 v24, v24, |v12|, |v13|
	v_pk_mul_f32 v[0:1], v[30:31], v[10:11]
	v_max3_f32 v24, v24, |v4|, |v5|
	v_max3_f32 v24, v24, |v0|, |v1|
	s_nop 1
	v_mov_b32_dpp v25, v24 quad_perm:[1,0,3,2] row_mask:0xf bank_mask:0xf
	v_cmp_gt_f32_e64 s[4:5], v24, v25
	v_cndmask_b32_e64 v24, v25, v24, s[4:5]
	s_nop 1
	v_mov_b32_dpp v25, v24 quad_perm:[2,3,0,1] row_mask:0xf bank_mask:0xf
	v_cmp_gt_f32_e64 s[4:5], v24, v25
	v_cndmask_b32_e64 v24, v25, v24, s[4:5]
	s_nop 1
	v_mov_b32_dpp v25, v24 row_half_mirror row_mask:0xf bank_mask:0xf
	v_cmp_gt_f32_e64 s[4:5], v24, v25
	v_cndmask_b32_e64 v24, v25, v24, s[4:5]
	s_nop 1
	v_mov_b32_dpp v25, v24 row_mirror row_mask:0xf bank_mask:0xf
	v_cmp_gt_f32_e64 s[4:5], v24, v25
	v_cndmask_b32_e64 v24, v25, v24, s[4:5]
	s_nop 1
	v_mov_b32_dpp v25, v24 row_bcast:15 row_mask:0xf bank_mask:0xf
	v_cmp_gt_f32_e64 s[4:5], v24, v25
	v_cndmask_b32_e64 v24, v25, v24, s[4:5]
	s_nop 1
	v_mov_b32_dpp v25, v24 row_bcast:31 row_mask:0xf bank_mask:0xf
	s_and_saveexec_b64 s[12:13], vcc
	s_cbranch_execz .LBB148_7
; %bb.6:                                ;   in Loop: Header=BB148_4 Depth=1
	v_cmp_gt_f32_e64 s[4:5], v24, v25
	v_cndmask_b32_e64 v24, v25, v24, s[4:5]
	ds_write_b32 v19, v24
.LBB148_7:                              ;   in Loop: Header=BB148_4 Depth=1
	s_or_b64 exec, exec, s[12:13]
	s_waitcnt lgkmcnt(0)
	s_barrier
	ds_read_b32 v24, v20
	s_waitcnt lgkmcnt(0)
	s_nop 0
	v_mov_b32_dpp v25, v24 quad_perm:[1,0,3,2] row_mask:0xf bank_mask:0xf
	v_cmp_gt_f32_e64 s[4:5], v24, v25
	v_cndmask_b32_e64 v24, v25, v24, s[4:5]
	v_mul_f32_e32 v24, 0x3b124925, v24
	s_and_saveexec_b64 s[4:5], s[0:1]
	s_cbranch_execz .LBB148_9
; %bb.8:                                ;   in Loop: Header=BB148_4 Depth=1
	s_ashr_i32 s7, s6, 31
	s_lshl_b64 s[12:13], s[6:7], 2
	s_add_u32 s12, s18, s12
	s_addc_u32 s13, s19, s13
	global_store_dword v21, v24, s[12:13]
.LBB148_9:                              ;   in Loop: Header=BB148_4 Depth=1
	s_or_b64 exec, exec, s[4:5]
	s_and_saveexec_b64 s[4:5], s[2:3]
	s_cbranch_execz .LBB148_2
; %bb.10:                               ;   in Loop: Header=BB148_4 Depth=1
	v_rcp_f32_e32 v24, v24
	s_mul_i32 s12, s6, s10
	s_mul_hi_i32 s7, s6, s10
	s_add_u32 s20, s16, s12
	v_mov_b32_e32 v25, v24
	;;#ASMSTART
	v_pk_mul_f32 v[14:15], v[14:15], v[24:25]
	;;#ASMEND
	;;#ASMSTART
	v_med3_f32 v14, v14, v22, v23
v_med3_f32 v15, v15, v22, v23
v_cvt_pk_fp8_f32 v26, v14, v15
	;;#ASMEND
	;;#ASMSTART
	v_pk_mul_f32 v[12:13], v[12:13], v[24:25]
	;;#ASMEND
	;;#ASMSTART
	v_med3_f32 v12, v12, v22, v23
v_med3_f32 v13, v13, v22, v23
v_cvt_pk_fp8_f32 v14, v12, v13
	;;#ASMEND
	v_perm_b32 v13, v14, v26, s28
	v_and_b32_e32 v12, 0xffffff00, v14
	v_and_b32_sdwa v14, v13, s29 dst_sel:DWORD dst_unused:UNUSED_PAD src0_sel:WORD_1 src1_sel:DWORD
	v_or_b32_sdwa v12, v14, v12 dst_sel:WORD_1 dst_unused:UNUSED_PAD src0_sel:DWORD src1_sel:DWORD
	;;#ASMSTART
	v_pk_mul_f32 v[4:5], v[4:5], v[24:25]
	;;#ASMEND
	v_and_or_b32 v12, v13, s11, v12
	;;#ASMSTART
	v_med3_f32 v4, v4, v22, v23
v_med3_f32 v5, v5, v22, v23
v_cvt_pk_fp8_f32 v13, v4, v5
	;;#ASMEND
	;;#ASMSTART
	v_pk_mul_f32 v[0:1], v[0:1], v[24:25]
	;;#ASMEND
	;;#ASMSTART
	v_med3_f32 v0, v0, v22, v23
v_med3_f32 v1, v1, v22, v23
v_cvt_pk_fp8_f32 v4, v0, v1
	;;#ASMEND
	s_addc_u32 s7, s17, s7
	v_lshlrev_b32_e32 v0, 16, v4
	s_and_b32 s21, s7, 0xffff
	s_mov_b32 s23, s15
	v_and_or_b32 v13, v13, s11, v0
	buffer_store_dwordx2 v[12:13], v17, s[20:23], 0 offen
	;;#ASMSTART
	s_nop 0
	;;#ASMEND
	s_branch .LBB148_2
.LBB148_11:
	s_endpgm
	.section	.rodata,"a",@progbits
	.p2align	6, 0x0
	.amdhsa_kernel _ZN5aiter43moe_smooth_per_token_scaled_quant_kernel_v1IDF16_DB8_Li128ELi8ELb1ELb0ELi1024EEEvPT0_PfPT_S4_PiS7_iiiii
		.amdhsa_group_segment_fixed_size 8
		.amdhsa_private_segment_fixed_size 0
		.amdhsa_kernarg_size 68
		.amdhsa_user_sgpr_count 6
		.amdhsa_user_sgpr_private_segment_buffer 1
		.amdhsa_user_sgpr_dispatch_ptr 0
		.amdhsa_user_sgpr_queue_ptr 0
		.amdhsa_user_sgpr_kernarg_segment_ptr 1
		.amdhsa_user_sgpr_dispatch_id 0
		.amdhsa_user_sgpr_flat_scratch_init 0
		.amdhsa_user_sgpr_kernarg_preload_length 0
		.amdhsa_user_sgpr_kernarg_preload_offset 0
		.amdhsa_user_sgpr_private_segment_size 0
		.amdhsa_uses_dynamic_stack 0
		.amdhsa_system_sgpr_private_segment_wavefront_offset 0
		.amdhsa_system_sgpr_workgroup_id_x 1
		.amdhsa_system_sgpr_workgroup_id_y 0
		.amdhsa_system_sgpr_workgroup_id_z 0
		.amdhsa_system_sgpr_workgroup_info 0
		.amdhsa_system_vgpr_workitem_id 0
		.amdhsa_next_free_vgpr 32
		.amdhsa_next_free_sgpr 30
		.amdhsa_accum_offset 32
		.amdhsa_reserve_vcc 1
		.amdhsa_reserve_flat_scratch 0
		.amdhsa_float_round_mode_32 0
		.amdhsa_float_round_mode_16_64 0
		.amdhsa_float_denorm_mode_32 3
		.amdhsa_float_denorm_mode_16_64 3
		.amdhsa_dx10_clamp 1
		.amdhsa_ieee_mode 1
		.amdhsa_fp16_overflow 0
		.amdhsa_tg_split 0
		.amdhsa_exception_fp_ieee_invalid_op 0
		.amdhsa_exception_fp_denorm_src 0
		.amdhsa_exception_fp_ieee_div_zero 0
		.amdhsa_exception_fp_ieee_overflow 0
		.amdhsa_exception_fp_ieee_underflow 0
		.amdhsa_exception_fp_ieee_inexact 0
		.amdhsa_exception_int_div_zero 0
	.end_amdhsa_kernel
	.section	.text._ZN5aiter43moe_smooth_per_token_scaled_quant_kernel_v1IDF16_DB8_Li128ELi8ELb1ELb0ELi1024EEEvPT0_PfPT_S4_PiS7_iiiii,"axG",@progbits,_ZN5aiter43moe_smooth_per_token_scaled_quant_kernel_v1IDF16_DB8_Li128ELi8ELb1ELb0ELi1024EEEvPT0_PfPT_S4_PiS7_iiiii,comdat
.Lfunc_end148:
	.size	_ZN5aiter43moe_smooth_per_token_scaled_quant_kernel_v1IDF16_DB8_Li128ELi8ELb1ELb0ELi1024EEEvPT0_PfPT_S4_PiS7_iiiii, .Lfunc_end148-_ZN5aiter43moe_smooth_per_token_scaled_quant_kernel_v1IDF16_DB8_Li128ELi8ELb1ELb0ELi1024EEEvPT0_PfPT_S4_PiS7_iiiii
                                        ; -- End function
	.section	.AMDGPU.csdata,"",@progbits
; Kernel info:
; codeLenInByte = 1040
; NumSgprs: 34
; NumVgprs: 32
; NumAgprs: 0
; TotalNumVgprs: 32
; ScratchSize: 0
; MemoryBound: 0
; FloatMode: 240
; IeeeMode: 1
; LDSByteSize: 8 bytes/workgroup (compile time only)
; SGPRBlocks: 4
; VGPRBlocks: 3
; NumSGPRsForWavesPerEU: 34
; NumVGPRsForWavesPerEU: 32
; AccumOffset: 32
; Occupancy: 8
; WaveLimiterHint : 0
; COMPUTE_PGM_RSRC2:SCRATCH_EN: 0
; COMPUTE_PGM_RSRC2:USER_SGPR: 6
; COMPUTE_PGM_RSRC2:TRAP_HANDLER: 0
; COMPUTE_PGM_RSRC2:TGID_X_EN: 1
; COMPUTE_PGM_RSRC2:TGID_Y_EN: 0
; COMPUTE_PGM_RSRC2:TGID_Z_EN: 0
; COMPUTE_PGM_RSRC2:TIDIG_COMP_CNT: 0
; COMPUTE_PGM_RSRC3_GFX90A:ACCUM_OFFSET: 7
; COMPUTE_PGM_RSRC3_GFX90A:TG_SPLIT: 0
	.section	.text._ZN5aiter43moe_smooth_per_token_scaled_quant_kernel_v1ItDB8_Li128ELi8ELb1ELb0ELi1024EEEvPT0_PfPT_S4_PiS7_iiiii,"axG",@progbits,_ZN5aiter43moe_smooth_per_token_scaled_quant_kernel_v1ItDB8_Li128ELi8ELb1ELb0ELi1024EEEvPT0_PfPT_S4_PiS7_iiiii,comdat
	.protected	_ZN5aiter43moe_smooth_per_token_scaled_quant_kernel_v1ItDB8_Li128ELi8ELb1ELb0ELi1024EEEvPT0_PfPT_S4_PiS7_iiiii ; -- Begin function _ZN5aiter43moe_smooth_per_token_scaled_quant_kernel_v1ItDB8_Li128ELi8ELb1ELb0ELi1024EEEvPT0_PfPT_S4_PiS7_iiiii
	.globl	_ZN5aiter43moe_smooth_per_token_scaled_quant_kernel_v1ItDB8_Li128ELi8ELb1ELb0ELi1024EEEvPT0_PfPT_S4_PiS7_iiiii
	.p2align	8
	.type	_ZN5aiter43moe_smooth_per_token_scaled_quant_kernel_v1ItDB8_Li128ELi8ELb1ELb0ELi1024EEEvPT0_PfPT_S4_PiS7_iiiii,@function
_ZN5aiter43moe_smooth_per_token_scaled_quant_kernel_v1ItDB8_Li128ELi8ELb1ELb0ELi1024EEEvPT0_PfPT_S4_PiS7_iiiii: ; @_ZN5aiter43moe_smooth_per_token_scaled_quant_kernel_v1ItDB8_Li128ELi8ELb1ELb0ELi1024EEEvPT0_PfPT_S4_PiS7_iiiii
; %bb.0:
	s_load_dwordx4 s[8:11], s[4:5], 0x30
	s_load_dwordx2 s[0:1], s[4:5], 0x10
	s_load_dwordx2 s[2:3], s[4:5], 0x20
	v_and_b32_e32 v1, 63, v0
	s_mov_b32 s15, 0x20000
	s_waitcnt lgkmcnt(0)
	s_mul_i32 s12, s6, s9
	s_ashr_i32 s13, s12, 31
	s_lshl_b64 s[12:13], s[12:13], 2
	s_add_u32 s12, s2, s12
	s_addc_u32 s2, s3, s13
	s_and_b32 s13, s2, 0xffff
	s_mul_hi_i32 s3, s11, s6
	s_mul_i32 s2, s11, s6
	s_lshl_b32 s14, s9, 2
	v_lshlrev_b32_e32 v2, 2, v1
	s_lshl_b64 s[2:3], s[2:3], 1
	buffer_load_dword v16, v2, s[12:15], 0 offen
	s_add_u32 s12, s0, s2
	s_addc_u32 s0, s1, s3
	s_lshl_b32 s14, s10, 1
	s_and_b32 s13, s0, 0xffff
	v_lshlrev_b32_e32 v2, 4, v0
	buffer_load_dwordx4 v[2:5], v2, s[12:15], 0 offen
	s_mov_b32 s11, 0xffff
	s_mov_b32 s26, 0
	s_cmp_lt_i32 s9, 1
	s_waitcnt vmcnt(1)
	s_barrier
	s_cbranch_scc1 .LBB149_11
; %bb.1:
	s_add_i32 s2, s10, 7
	s_load_dwordx4 s[16:19], s[4:5], 0x0
	s_load_dwordx2 s[24:25], s[4:5], 0x18
	s_ashr_i32 s3, s2, 31
	s_add_i32 s4, s10, 3
	s_waitcnt vmcnt(0)
	v_cvt_f32_u32_sdwa v7, v2 dst_sel:DWORD dst_unused:UNUSED_PAD src0_sel:WORD_1
	v_cvt_f32_u32_sdwa v6, v2 dst_sel:DWORD dst_unused:UNUSED_PAD src0_sel:WORD_0
	v_cvt_f32_u32_sdwa v9, v3 dst_sel:DWORD dst_unused:UNUSED_PAD src0_sel:WORD_1
	v_cvt_f32_u32_sdwa v8, v3 dst_sel:DWORD dst_unused:UNUSED_PAD src0_sel:WORD_0
	v_cvt_f32_u32_sdwa v3, v4 dst_sel:DWORD dst_unused:UNUSED_PAD src0_sel:WORD_1
	v_cvt_f32_u32_sdwa v2, v4 dst_sel:DWORD dst_unused:UNUSED_PAD src0_sel:WORD_0
	v_cvt_f32_u32_sdwa v11, v5 dst_sel:DWORD dst_unused:UNUSED_PAD src0_sel:WORD_1
	v_cvt_f32_u32_sdwa v10, v5 dst_sel:DWORD dst_unused:UNUSED_PAD src0_sel:WORD_0
	s_lshr_b32 s3, s3, 29
	s_ashr_i32 s5, s4, 31
	v_cmp_eq_u32_e32 vcc, 63, v1
	v_lshrrev_b32_e32 v1, 4, v0
	s_add_i32 s2, s2, s3
	s_lshr_b32 s5, s5, 30
	v_and_b32_e32 v19, 60, v1
	v_and_b32_e32 v1, 1, v0
	s_ashr_i32 s2, s2, 3
	s_add_i32 s4, s4, s5
	v_lshlrev_b32_e32 v17, 3, v0
	s_lshl_b32 s14, s10, 2
	v_lshlrev_b32_e32 v18, 5, v0
	v_lshlrev_b32_e32 v20, 2, v1
	v_cmp_eq_u32_e64 s[0:1], 0, v0
	v_cmp_gt_u32_e64 s[2:3], s2, v0
	s_and_b32 s22, s4, -4
	s_mov_b32 s27, 0x2edbe6ff
	v_mov_b32_e32 v21, 0
	v_mov_b32_e32 v22, 0xc3e00000
	;; [unrolled: 1-line block ×3, first 2 shown]
	s_mov_b32 s28, 0x5040100
	s_movk_i32 s29, 0xff
	s_branch .LBB149_4
.LBB149_2:                              ;   in Loop: Header=BB149_4 Depth=1
	s_or_b64 exec, exec, s[4:5]
.LBB149_3:                              ;   in Loop: Header=BB149_4 Depth=1
	s_add_i32 s26, s26, 1
	s_add_i32 s6, s6, s8
	s_cmp_eq_u32 s9, s26
	s_cbranch_scc1 .LBB149_11
.LBB149_4:                              ; =>This Inner Loop Header: Depth=1
	v_readlane_b32 s4, v16, s26
	s_cmp_lt_i32 s4, 0
	s_cbranch_scc1 .LBB149_3
; %bb.5:                                ;   in Loop: Header=BB149_4 Depth=1
	s_mul_i32 s4, s4, s10
	s_ashr_i32 s5, s4, 31
	s_lshl_b64 s[4:5], s[4:5], 2
	s_waitcnt lgkmcnt(0)
	s_add_u32 s12, s24, s4
	s_addc_u32 s4, s25, s5
	s_and_b32 s13, s4, 0xffff
	buffer_load_dwordx4 v[24:27], v18, s[12:15], 0 offen
	buffer_load_dwordx4 v[28:31], v18, s[12:15], 16 offen
	s_waitcnt vmcnt(1)
	v_pk_mul_f32 v[14:15], v[24:25], v[6:7]
	v_pk_mul_f32 v[12:13], v[26:27], v[8:9]
	v_max3_f32 v24, |v14|, s27, |v15|
	s_waitcnt vmcnt(0)
	v_pk_mul_f32 v[4:5], v[28:29], v[2:3]
	v_max3_f32 v24, v24, |v12|, |v13|
	v_pk_mul_f32 v[0:1], v[30:31], v[10:11]
	v_max3_f32 v24, v24, |v4|, |v5|
	v_max3_f32 v24, v24, |v0|, |v1|
	s_nop 1
	v_mov_b32_dpp v25, v24 quad_perm:[1,0,3,2] row_mask:0xf bank_mask:0xf
	v_cmp_gt_f32_e64 s[4:5], v24, v25
	v_cndmask_b32_e64 v24, v25, v24, s[4:5]
	s_nop 1
	v_mov_b32_dpp v25, v24 quad_perm:[2,3,0,1] row_mask:0xf bank_mask:0xf
	v_cmp_gt_f32_e64 s[4:5], v24, v25
	v_cndmask_b32_e64 v24, v25, v24, s[4:5]
	s_nop 1
	v_mov_b32_dpp v25, v24 row_half_mirror row_mask:0xf bank_mask:0xf
	v_cmp_gt_f32_e64 s[4:5], v24, v25
	v_cndmask_b32_e64 v24, v25, v24, s[4:5]
	s_nop 1
	v_mov_b32_dpp v25, v24 row_mirror row_mask:0xf bank_mask:0xf
	v_cmp_gt_f32_e64 s[4:5], v24, v25
	v_cndmask_b32_e64 v24, v25, v24, s[4:5]
	s_nop 1
	v_mov_b32_dpp v25, v24 row_bcast:15 row_mask:0xf bank_mask:0xf
	v_cmp_gt_f32_e64 s[4:5], v24, v25
	v_cndmask_b32_e64 v24, v25, v24, s[4:5]
	s_nop 1
	v_mov_b32_dpp v25, v24 row_bcast:31 row_mask:0xf bank_mask:0xf
	s_and_saveexec_b64 s[12:13], vcc
	s_cbranch_execz .LBB149_7
; %bb.6:                                ;   in Loop: Header=BB149_4 Depth=1
	v_cmp_gt_f32_e64 s[4:5], v24, v25
	v_cndmask_b32_e64 v24, v25, v24, s[4:5]
	ds_write_b32 v19, v24
.LBB149_7:                              ;   in Loop: Header=BB149_4 Depth=1
	s_or_b64 exec, exec, s[12:13]
	s_waitcnt lgkmcnt(0)
	s_barrier
	ds_read_b32 v24, v20
	s_waitcnt lgkmcnt(0)
	s_nop 0
	v_mov_b32_dpp v25, v24 quad_perm:[1,0,3,2] row_mask:0xf bank_mask:0xf
	v_cmp_gt_f32_e64 s[4:5], v24, v25
	v_cndmask_b32_e64 v24, v25, v24, s[4:5]
	v_mul_f32_e32 v24, 0x3b124925, v24
	s_and_saveexec_b64 s[4:5], s[0:1]
	s_cbranch_execz .LBB149_9
; %bb.8:                                ;   in Loop: Header=BB149_4 Depth=1
	s_ashr_i32 s7, s6, 31
	s_lshl_b64 s[12:13], s[6:7], 2
	s_add_u32 s12, s18, s12
	s_addc_u32 s13, s19, s13
	global_store_dword v21, v24, s[12:13]
.LBB149_9:                              ;   in Loop: Header=BB149_4 Depth=1
	s_or_b64 exec, exec, s[4:5]
	s_and_saveexec_b64 s[4:5], s[2:3]
	s_cbranch_execz .LBB149_2
; %bb.10:                               ;   in Loop: Header=BB149_4 Depth=1
	v_rcp_f32_e32 v24, v24
	s_mul_i32 s12, s6, s10
	s_mul_hi_i32 s7, s6, s10
	s_add_u32 s20, s16, s12
	v_mov_b32_e32 v25, v24
	;;#ASMSTART
	v_pk_mul_f32 v[14:15], v[14:15], v[24:25]
	;;#ASMEND
	;;#ASMSTART
	v_med3_f32 v14, v14, v22, v23
v_med3_f32 v15, v15, v22, v23
v_cvt_pk_fp8_f32 v26, v14, v15
	;;#ASMEND
	;;#ASMSTART
	v_pk_mul_f32 v[12:13], v[12:13], v[24:25]
	;;#ASMEND
	;;#ASMSTART
	v_med3_f32 v12, v12, v22, v23
v_med3_f32 v13, v13, v22, v23
v_cvt_pk_fp8_f32 v14, v12, v13
	;;#ASMEND
	v_perm_b32 v13, v14, v26, s28
	v_and_b32_e32 v12, 0xffffff00, v14
	v_and_b32_sdwa v14, v13, s29 dst_sel:DWORD dst_unused:UNUSED_PAD src0_sel:WORD_1 src1_sel:DWORD
	v_or_b32_sdwa v12, v14, v12 dst_sel:WORD_1 dst_unused:UNUSED_PAD src0_sel:DWORD src1_sel:DWORD
	;;#ASMSTART
	v_pk_mul_f32 v[4:5], v[4:5], v[24:25]
	;;#ASMEND
	v_and_or_b32 v12, v13, s11, v12
	;;#ASMSTART
	v_med3_f32 v4, v4, v22, v23
v_med3_f32 v5, v5, v22, v23
v_cvt_pk_fp8_f32 v13, v4, v5
	;;#ASMEND
	;;#ASMSTART
	v_pk_mul_f32 v[0:1], v[0:1], v[24:25]
	;;#ASMEND
	;;#ASMSTART
	v_med3_f32 v0, v0, v22, v23
v_med3_f32 v1, v1, v22, v23
v_cvt_pk_fp8_f32 v4, v0, v1
	;;#ASMEND
	s_addc_u32 s7, s17, s7
	v_lshlrev_b32_e32 v0, 16, v4
	s_and_b32 s21, s7, 0xffff
	s_mov_b32 s23, s15
	v_and_or_b32 v13, v13, s11, v0
	buffer_store_dwordx2 v[12:13], v17, s[20:23], 0 offen
	;;#ASMSTART
	s_nop 0
	;;#ASMEND
	s_branch .LBB149_2
.LBB149_11:
	s_endpgm
	.section	.rodata,"a",@progbits
	.p2align	6, 0x0
	.amdhsa_kernel _ZN5aiter43moe_smooth_per_token_scaled_quant_kernel_v1ItDB8_Li128ELi8ELb1ELb0ELi1024EEEvPT0_PfPT_S4_PiS7_iiiii
		.amdhsa_group_segment_fixed_size 8
		.amdhsa_private_segment_fixed_size 0
		.amdhsa_kernarg_size 68
		.amdhsa_user_sgpr_count 6
		.amdhsa_user_sgpr_private_segment_buffer 1
		.amdhsa_user_sgpr_dispatch_ptr 0
		.amdhsa_user_sgpr_queue_ptr 0
		.amdhsa_user_sgpr_kernarg_segment_ptr 1
		.amdhsa_user_sgpr_dispatch_id 0
		.amdhsa_user_sgpr_flat_scratch_init 0
		.amdhsa_user_sgpr_kernarg_preload_length 0
		.amdhsa_user_sgpr_kernarg_preload_offset 0
		.amdhsa_user_sgpr_private_segment_size 0
		.amdhsa_uses_dynamic_stack 0
		.amdhsa_system_sgpr_private_segment_wavefront_offset 0
		.amdhsa_system_sgpr_workgroup_id_x 1
		.amdhsa_system_sgpr_workgroup_id_y 0
		.amdhsa_system_sgpr_workgroup_id_z 0
		.amdhsa_system_sgpr_workgroup_info 0
		.amdhsa_system_vgpr_workitem_id 0
		.amdhsa_next_free_vgpr 32
		.amdhsa_next_free_sgpr 30
		.amdhsa_accum_offset 32
		.amdhsa_reserve_vcc 1
		.amdhsa_reserve_flat_scratch 0
		.amdhsa_float_round_mode_32 0
		.amdhsa_float_round_mode_16_64 0
		.amdhsa_float_denorm_mode_32 3
		.amdhsa_float_denorm_mode_16_64 3
		.amdhsa_dx10_clamp 1
		.amdhsa_ieee_mode 1
		.amdhsa_fp16_overflow 0
		.amdhsa_tg_split 0
		.amdhsa_exception_fp_ieee_invalid_op 0
		.amdhsa_exception_fp_denorm_src 0
		.amdhsa_exception_fp_ieee_div_zero 0
		.amdhsa_exception_fp_ieee_overflow 0
		.amdhsa_exception_fp_ieee_underflow 0
		.amdhsa_exception_fp_ieee_inexact 0
		.amdhsa_exception_int_div_zero 0
	.end_amdhsa_kernel
	.section	.text._ZN5aiter43moe_smooth_per_token_scaled_quant_kernel_v1ItDB8_Li128ELi8ELb1ELb0ELi1024EEEvPT0_PfPT_S4_PiS7_iiiii,"axG",@progbits,_ZN5aiter43moe_smooth_per_token_scaled_quant_kernel_v1ItDB8_Li128ELi8ELb1ELb0ELi1024EEEvPT0_PfPT_S4_PiS7_iiiii,comdat
.Lfunc_end149:
	.size	_ZN5aiter43moe_smooth_per_token_scaled_quant_kernel_v1ItDB8_Li128ELi8ELb1ELb0ELi1024EEEvPT0_PfPT_S4_PiS7_iiiii, .Lfunc_end149-_ZN5aiter43moe_smooth_per_token_scaled_quant_kernel_v1ItDB8_Li128ELi8ELb1ELb0ELi1024EEEvPT0_PfPT_S4_PiS7_iiiii
                                        ; -- End function
	.section	.AMDGPU.csdata,"",@progbits
; Kernel info:
; codeLenInByte = 1056
; NumSgprs: 34
; NumVgprs: 32
; NumAgprs: 0
; TotalNumVgprs: 32
; ScratchSize: 0
; MemoryBound: 0
; FloatMode: 240
; IeeeMode: 1
; LDSByteSize: 8 bytes/workgroup (compile time only)
; SGPRBlocks: 4
; VGPRBlocks: 3
; NumSGPRsForWavesPerEU: 34
; NumVGPRsForWavesPerEU: 32
; AccumOffset: 32
; Occupancy: 8
; WaveLimiterHint : 0
; COMPUTE_PGM_RSRC2:SCRATCH_EN: 0
; COMPUTE_PGM_RSRC2:USER_SGPR: 6
; COMPUTE_PGM_RSRC2:TRAP_HANDLER: 0
; COMPUTE_PGM_RSRC2:TGID_X_EN: 1
; COMPUTE_PGM_RSRC2:TGID_Y_EN: 0
; COMPUTE_PGM_RSRC2:TGID_Z_EN: 0
; COMPUTE_PGM_RSRC2:TIDIG_COMP_CNT: 0
; COMPUTE_PGM_RSRC3_GFX90A:ACCUM_OFFSET: 7
; COMPUTE_PGM_RSRC3_GFX90A:TG_SPLIT: 0
	.section	.text._ZN5aiter43moe_smooth_per_token_scaled_quant_kernel_v1IDF16_DB8_Li128ELi8ELb0ELb1ELi1024EEEvPT0_PfPT_S4_PiS7_iiiii,"axG",@progbits,_ZN5aiter43moe_smooth_per_token_scaled_quant_kernel_v1IDF16_DB8_Li128ELi8ELb0ELb1ELi1024EEEvPT0_PfPT_S4_PiS7_iiiii,comdat
	.protected	_ZN5aiter43moe_smooth_per_token_scaled_quant_kernel_v1IDF16_DB8_Li128ELi8ELb0ELb1ELi1024EEEvPT0_PfPT_S4_PiS7_iiiii ; -- Begin function _ZN5aiter43moe_smooth_per_token_scaled_quant_kernel_v1IDF16_DB8_Li128ELi8ELb0ELb1ELi1024EEEvPT0_PfPT_S4_PiS7_iiiii
	.globl	_ZN5aiter43moe_smooth_per_token_scaled_quant_kernel_v1IDF16_DB8_Li128ELi8ELb0ELb1ELi1024EEEvPT0_PfPT_S4_PiS7_iiiii
	.p2align	8
	.type	_ZN5aiter43moe_smooth_per_token_scaled_quant_kernel_v1IDF16_DB8_Li128ELi8ELb0ELb1ELi1024EEEvPT0_PfPT_S4_PiS7_iiiii,@function
_ZN5aiter43moe_smooth_per_token_scaled_quant_kernel_v1IDF16_DB8_Li128ELi8ELb0ELb1ELi1024EEEvPT0_PfPT_S4_PiS7_iiiii: ; @_ZN5aiter43moe_smooth_per_token_scaled_quant_kernel_v1IDF16_DB8_Li128ELi8ELb0ELb1ELi1024EEEvPT0_PfPT_S4_PiS7_iiiii
; %bb.0:
	s_load_dwordx4 s[8:11], s[4:5], 0x34
	s_load_dwordx4 s[12:15], s[4:5], 0x20
	s_load_dwordx2 s[16:17], s[4:5], 0x10
	v_and_b32_e32 v1, 0x3c0, v0
	v_lshlrev_b32_e32 v1, 2, v1
	v_lshlrev_b32_e32 v2, 2, v0
	v_readfirstlane_b32 s7, v1
	v_add_u32_e32 v3, 0x200, v1
	s_waitcnt lgkmcnt(0)
	s_lshl_b32 s2, s11, 2
	s_and_b32 s1, s15, 0xffff
	s_mov_b32 s3, 0x20000
	s_mov_b32 s0, s14
	;;#ASMSTART
	s_mov_b32 m0 s7
	buffer_load_dword v2, s[0:3], 0 offen offset:0 lds
	
	;;#ASMEND
	v_readfirstlane_b32 s7, v3
	v_add_u32_e32 v3, 0x200, v2
	;;#ASMSTART
	s_mov_b32 m0 s7
	buffer_load_dword v3, s[0:3], 0 offen offset:0 lds
	
	;;#ASMEND
	v_add_u32_e32 v3, 0x400, v1
	v_readfirstlane_b32 s7, v3
	v_add_u32_e32 v3, 0x400, v2
	;;#ASMSTART
	s_mov_b32 m0 s7
	buffer_load_dword v3, s[0:3], 0 offen offset:0 lds
	
	;;#ASMEND
	v_add_u32_e32 v3, 0x600, v1
	;; [unrolled: 8-line block ×5, first 2 shown]
	s_mul_i32 s20, s6, s8
	v_readfirstlane_b32 s7, v3
	v_add_u32_e32 v3, 0xc00, v2
	;;#ASMSTART
	s_mov_b32 m0 s7
	buffer_load_dword v3, s[0:3], 0 offen offset:0 lds
	
	;;#ASMEND
	v_add_u32_e32 v1, 0xe00, v1
	s_ashr_i32 s21, s20, 31
	v_readfirstlane_b32 s7, v1
	v_add_u32_e32 v1, 0xe00, v2
	;;#ASMSTART
	s_mov_b32 m0 s7
	buffer_load_dword v1, s[0:3], 0 offen offset:0 lds
	
	;;#ASMEND
	s_lshl_b64 s[0:1], s[20:21], 2
	s_add_u32 s0, s12, s0
	v_and_b32_e32 v1, 63, v0
	s_addc_u32 s1, s13, s1
	s_lshl_b32 s2, s8, 2
	s_and_b32 s1, s1, 0xffff
	v_lshlrev_b32_e32 v2, 2, v1
	buffer_load_dword v16, v2, s[0:3], 0 offen
	s_mul_hi_i32 s1, s10, s6
	s_mul_i32 s0, s10, s6
	s_lshl_b64 s[0:1], s[0:1], 1
	s_add_u32 s0, s16, s0
	s_addc_u32 s1, s17, s1
	s_lshl_b32 s2, s9, 1
	s_and_b32 s1, s1, 0xffff
	v_lshlrev_b32_e32 v2, 4, v0
	buffer_load_dwordx4 v[2:5], v2, s[0:3], 0 offen
	v_cmp_gt_i32_e32 vcc, s8, v1
	s_waitcnt vmcnt(1)
	s_barrier
	v_cmp_gt_i32_e64 s[2:3], s11, v16
	v_cmp_lt_i32_e64 s[0:1], -1, v16
	s_and_b64 s[2:3], vcc, s[2:3]
	s_and_b64 s[2:3], s[2:3], s[0:1]
	s_and_saveexec_b64 s[0:1], s[2:3]
	s_cbranch_execz .LBB150_2
; %bb.1:
	v_lshlrev_b32_e32 v6, 2, v16
	ds_read_b32 v16, v6
.LBB150_2:
	s_or_b64 exec, exec, s[0:1]
	s_cmp_lt_i32 s8, 1
	s_cbranch_scc1 .LBB150_13
; %bb.3:
	s_add_i32 s2, s9, 7
	s_load_dwordx4 s[12:15], s[4:5], 0x0
	s_load_dwordx2 s[10:11], s[4:5], 0x18
	s_ashr_i32 s3, s2, 31
	s_add_i32 s4, s9, 3
	s_waitcnt vmcnt(0)
	v_cvt_f32_f16_sdwa v7, v2 dst_sel:DWORD dst_unused:UNUSED_PAD src0_sel:WORD_1
	v_cvt_f32_f16_e32 v6, v2
	v_cvt_f32_f16_sdwa v9, v3 dst_sel:DWORD dst_unused:UNUSED_PAD src0_sel:WORD_1
	v_cvt_f32_f16_e32 v8, v3
	;; [unrolled: 2-line block ×4, first 2 shown]
	s_lshr_b32 s3, s3, 29
	s_ashr_i32 s5, s4, 31
	v_cmp_eq_u32_e32 vcc, 63, v1
	v_lshrrev_b32_e32 v1, 4, v0
	v_mov_b32_e32 v4, 0x1000
	s_add_i32 s2, s2, s3
	s_lshr_b32 s5, s5, 30
	v_and_or_b32 v19, v1, 60, v4
	v_and_b32_e32 v1, 1, v0
	s_ashr_i32 s2, s2, 3
	s_add_i32 s4, s4, s5
	s_mov_b32 s21, s9
	v_lshlrev_b32_e32 v17, 3, v0
	s_lshl_b32 s6, s9, 2
	v_lshlrev_b32_e32 v18, 5, v0
	v_lshl_or_b32 v20, v1, 2, v4
	s_mov_b32 s22, 0
	v_cmp_eq_u32_e64 s[0:1], 0, v0
	v_cmp_gt_u32_e64 s[2:3], s2, v0
	s_and_b32 s18, s4, -4
	s_mov_b32 s9, 0xffff
	s_mov_b32 s7, 0x20000
	;; [unrolled: 1-line block ×3, first 2 shown]
	v_mov_b32_e32 v21, 0
	v_mov_b32_e32 v22, 0xc3e00000
	;; [unrolled: 1-line block ×3, first 2 shown]
	s_mov_b32 s24, 0x5040100
	s_movk_i32 s25, 0xff
	s_branch .LBB150_6
.LBB150_4:                              ;   in Loop: Header=BB150_6 Depth=1
	s_or_b64 exec, exec, s[4:5]
.LBB150_5:                              ;   in Loop: Header=BB150_6 Depth=1
	s_add_i32 s22, s22, 1
	s_cmp_eq_u32 s8, s22
	s_cbranch_scc1 .LBB150_13
.LBB150_6:                              ; =>This Inner Loop Header: Depth=1
	s_waitcnt lgkmcnt(0)
	v_readlane_b32 s4, v16, s22
	s_cmp_lt_i32 s4, 0
	s_cbranch_scc1 .LBB150_5
; %bb.7:                                ;   in Loop: Header=BB150_6 Depth=1
	s_mul_i32 s4, s4, s21
	s_ashr_i32 s5, s4, 31
	s_lshl_b64 s[4:5], s[4:5], 2
	s_add_u32 s4, s10, s4
	s_addc_u32 s5, s11, s5
	s_and_b32 s5, s5, 0xffff
	buffer_load_dwordx4 v[24:27], v18, s[4:7], 0 offen
	buffer_load_dwordx4 v[28:31], v18, s[4:7], 16 offen
	s_waitcnt vmcnt(1)
	v_pk_mul_f32 v[14:15], v[24:25], v[6:7]
	v_pk_mul_f32 v[12:13], v[26:27], v[8:9]
	v_max3_f32 v24, |v14|, s23, |v15|
	s_waitcnt vmcnt(0)
	v_pk_mul_f32 v[4:5], v[28:29], v[2:3]
	v_max3_f32 v24, v24, |v12|, |v13|
	v_pk_mul_f32 v[0:1], v[30:31], v[10:11]
	v_max3_f32 v24, v24, |v4|, |v5|
	v_max3_f32 v24, v24, |v0|, |v1|
	s_nop 1
	v_mov_b32_dpp v25, v24 quad_perm:[1,0,3,2] row_mask:0xf bank_mask:0xf
	v_cmp_gt_f32_e64 s[4:5], v24, v25
	v_cndmask_b32_e64 v24, v25, v24, s[4:5]
	s_nop 1
	v_mov_b32_dpp v25, v24 quad_perm:[2,3,0,1] row_mask:0xf bank_mask:0xf
	v_cmp_gt_f32_e64 s[4:5], v24, v25
	v_cndmask_b32_e64 v24, v25, v24, s[4:5]
	s_nop 1
	v_mov_b32_dpp v25, v24 row_half_mirror row_mask:0xf bank_mask:0xf
	v_cmp_gt_f32_e64 s[4:5], v24, v25
	v_cndmask_b32_e64 v24, v25, v24, s[4:5]
	s_nop 1
	v_mov_b32_dpp v25, v24 row_mirror row_mask:0xf bank_mask:0xf
	v_cmp_gt_f32_e64 s[4:5], v24, v25
	v_cndmask_b32_e64 v24, v25, v24, s[4:5]
	s_nop 1
	v_mov_b32_dpp v25, v24 row_bcast:15 row_mask:0xf bank_mask:0xf
	v_cmp_gt_f32_e64 s[4:5], v24, v25
	v_cndmask_b32_e64 v24, v25, v24, s[4:5]
	s_nop 1
	v_mov_b32_dpp v25, v24 row_bcast:31 row_mask:0xf bank_mask:0xf
	s_and_saveexec_b64 s[16:17], vcc
	s_cbranch_execz .LBB150_9
; %bb.8:                                ;   in Loop: Header=BB150_6 Depth=1
	v_cmp_gt_f32_e64 s[4:5], v24, v25
	v_cndmask_b32_e64 v24, v25, v24, s[4:5]
	ds_write_b32 v19, v24
.LBB150_9:                              ;   in Loop: Header=BB150_6 Depth=1
	s_or_b64 exec, exec, s[16:17]
	s_waitcnt lgkmcnt(0)
	s_barrier
	ds_read_b32 v24, v20
	s_add_i32 s16, s20, s22
	s_waitcnt lgkmcnt(0)
	v_mov_b32_dpp v25, v24 quad_perm:[1,0,3,2] row_mask:0xf bank_mask:0xf
	v_cmp_gt_f32_e64 s[4:5], v24, v25
	v_cndmask_b32_e64 v24, v25, v24, s[4:5]
	v_mul_f32_e32 v24, 0x3b124925, v24
	s_and_saveexec_b64 s[4:5], s[0:1]
	s_cbranch_execz .LBB150_11
; %bb.10:                               ;   in Loop: Header=BB150_6 Depth=1
	s_ashr_i32 s17, s16, 31
	s_lshl_b64 s[26:27], s[16:17], 2
	s_add_u32 s26, s14, s26
	s_addc_u32 s27, s15, s27
	global_store_dword v21, v24, s[26:27]
.LBB150_11:                             ;   in Loop: Header=BB150_6 Depth=1
	s_or_b64 exec, exec, s[4:5]
	s_and_saveexec_b64 s[4:5], s[2:3]
	s_cbranch_execz .LBB150_4
; %bb.12:                               ;   in Loop: Header=BB150_6 Depth=1
	v_rcp_f32_e32 v24, v24
	s_mul_hi_i32 s17, s16, s21
	s_mul_i32 s16, s16, s21
	s_add_u32 s16, s12, s16
	v_mov_b32_e32 v25, v24
	;;#ASMSTART
	v_pk_mul_f32 v[14:15], v[14:15], v[24:25]
	;;#ASMEND
	;;#ASMSTART
	v_med3_f32 v14, v14, v22, v23
v_med3_f32 v15, v15, v22, v23
v_cvt_pk_fp8_f32 v26, v14, v15
	;;#ASMEND
	;;#ASMSTART
	v_pk_mul_f32 v[12:13], v[12:13], v[24:25]
	;;#ASMEND
	;;#ASMSTART
	v_med3_f32 v12, v12, v22, v23
v_med3_f32 v13, v13, v22, v23
v_cvt_pk_fp8_f32 v14, v12, v13
	;;#ASMEND
	v_perm_b32 v13, v14, v26, s24
	v_and_b32_e32 v12, 0xffffff00, v14
	v_and_b32_sdwa v14, v13, s25 dst_sel:DWORD dst_unused:UNUSED_PAD src0_sel:WORD_1 src1_sel:DWORD
	v_or_b32_sdwa v12, v14, v12 dst_sel:WORD_1 dst_unused:UNUSED_PAD src0_sel:DWORD src1_sel:DWORD
	;;#ASMSTART
	v_pk_mul_f32 v[4:5], v[4:5], v[24:25]
	;;#ASMEND
	v_and_or_b32 v12, v13, s9, v12
	;;#ASMSTART
	v_med3_f32 v4, v4, v22, v23
v_med3_f32 v5, v5, v22, v23
v_cvt_pk_fp8_f32 v13, v4, v5
	;;#ASMEND
	;;#ASMSTART
	v_pk_mul_f32 v[0:1], v[0:1], v[24:25]
	;;#ASMEND
	;;#ASMSTART
	v_med3_f32 v0, v0, v22, v23
v_med3_f32 v1, v1, v22, v23
v_cvt_pk_fp8_f32 v4, v0, v1
	;;#ASMEND
	s_addc_u32 s17, s13, s17
	v_lshlrev_b32_e32 v0, 16, v4
	s_and_b32 s17, s17, 0xffff
	s_mov_b32 s19, s7
	v_and_or_b32 v13, v13, s9, v0
	buffer_store_dwordx2 v[12:13], v17, s[16:19], 0 offen
	;;#ASMSTART
	s_nop 0
	;;#ASMEND
	s_branch .LBB150_4
.LBB150_13:
	s_endpgm
	.section	.rodata,"a",@progbits
	.p2align	6, 0x0
	.amdhsa_kernel _ZN5aiter43moe_smooth_per_token_scaled_quant_kernel_v1IDF16_DB8_Li128ELi8ELb0ELb1ELi1024EEEvPT0_PfPT_S4_PiS7_iiiii
		.amdhsa_group_segment_fixed_size 4104
		.amdhsa_private_segment_fixed_size 0
		.amdhsa_kernarg_size 68
		.amdhsa_user_sgpr_count 6
		.amdhsa_user_sgpr_private_segment_buffer 1
		.amdhsa_user_sgpr_dispatch_ptr 0
		.amdhsa_user_sgpr_queue_ptr 0
		.amdhsa_user_sgpr_kernarg_segment_ptr 1
		.amdhsa_user_sgpr_dispatch_id 0
		.amdhsa_user_sgpr_flat_scratch_init 0
		.amdhsa_user_sgpr_kernarg_preload_length 0
		.amdhsa_user_sgpr_kernarg_preload_offset 0
		.amdhsa_user_sgpr_private_segment_size 0
		.amdhsa_uses_dynamic_stack 0
		.amdhsa_system_sgpr_private_segment_wavefront_offset 0
		.amdhsa_system_sgpr_workgroup_id_x 1
		.amdhsa_system_sgpr_workgroup_id_y 0
		.amdhsa_system_sgpr_workgroup_id_z 0
		.amdhsa_system_sgpr_workgroup_info 0
		.amdhsa_system_vgpr_workitem_id 0
		.amdhsa_next_free_vgpr 32
		.amdhsa_next_free_sgpr 28
		.amdhsa_accum_offset 32
		.amdhsa_reserve_vcc 1
		.amdhsa_reserve_flat_scratch 0
		.amdhsa_float_round_mode_32 0
		.amdhsa_float_round_mode_16_64 0
		.amdhsa_float_denorm_mode_32 3
		.amdhsa_float_denorm_mode_16_64 3
		.amdhsa_dx10_clamp 1
		.amdhsa_ieee_mode 1
		.amdhsa_fp16_overflow 0
		.amdhsa_tg_split 0
		.amdhsa_exception_fp_ieee_invalid_op 0
		.amdhsa_exception_fp_denorm_src 0
		.amdhsa_exception_fp_ieee_div_zero 0
		.amdhsa_exception_fp_ieee_overflow 0
		.amdhsa_exception_fp_ieee_underflow 0
		.amdhsa_exception_fp_ieee_inexact 0
		.amdhsa_exception_int_div_zero 0
	.end_amdhsa_kernel
	.section	.text._ZN5aiter43moe_smooth_per_token_scaled_quant_kernel_v1IDF16_DB8_Li128ELi8ELb0ELb1ELi1024EEEvPT0_PfPT_S4_PiS7_iiiii,"axG",@progbits,_ZN5aiter43moe_smooth_per_token_scaled_quant_kernel_v1IDF16_DB8_Li128ELi8ELb0ELb1ELi1024EEEvPT0_PfPT_S4_PiS7_iiiii,comdat
.Lfunc_end150:
	.size	_ZN5aiter43moe_smooth_per_token_scaled_quant_kernel_v1IDF16_DB8_Li128ELi8ELb0ELb1ELi1024EEEvPT0_PfPT_S4_PiS7_iiiii, .Lfunc_end150-_ZN5aiter43moe_smooth_per_token_scaled_quant_kernel_v1IDF16_DB8_Li128ELi8ELb0ELb1ELi1024EEEvPT0_PfPT_S4_PiS7_iiiii
                                        ; -- End function
	.section	.AMDGPU.csdata,"",@progbits
; Kernel info:
; codeLenInByte = 1420
; NumSgprs: 32
; NumVgprs: 32
; NumAgprs: 0
; TotalNumVgprs: 32
; ScratchSize: 0
; MemoryBound: 0
; FloatMode: 240
; IeeeMode: 1
; LDSByteSize: 4104 bytes/workgroup (compile time only)
; SGPRBlocks: 3
; VGPRBlocks: 3
; NumSGPRsForWavesPerEU: 32
; NumVGPRsForWavesPerEU: 32
; AccumOffset: 32
; Occupancy: 8
; WaveLimiterHint : 0
; COMPUTE_PGM_RSRC2:SCRATCH_EN: 0
; COMPUTE_PGM_RSRC2:USER_SGPR: 6
; COMPUTE_PGM_RSRC2:TRAP_HANDLER: 0
; COMPUTE_PGM_RSRC2:TGID_X_EN: 1
; COMPUTE_PGM_RSRC2:TGID_Y_EN: 0
; COMPUTE_PGM_RSRC2:TGID_Z_EN: 0
; COMPUTE_PGM_RSRC2:TIDIG_COMP_CNT: 0
; COMPUTE_PGM_RSRC3_GFX90A:ACCUM_OFFSET: 7
; COMPUTE_PGM_RSRC3_GFX90A:TG_SPLIT: 0
	.section	.text._ZN5aiter43moe_smooth_per_token_scaled_quant_kernel_v1ItDB8_Li128ELi8ELb0ELb1ELi1024EEEvPT0_PfPT_S4_PiS7_iiiii,"axG",@progbits,_ZN5aiter43moe_smooth_per_token_scaled_quant_kernel_v1ItDB8_Li128ELi8ELb0ELb1ELi1024EEEvPT0_PfPT_S4_PiS7_iiiii,comdat
	.protected	_ZN5aiter43moe_smooth_per_token_scaled_quant_kernel_v1ItDB8_Li128ELi8ELb0ELb1ELi1024EEEvPT0_PfPT_S4_PiS7_iiiii ; -- Begin function _ZN5aiter43moe_smooth_per_token_scaled_quant_kernel_v1ItDB8_Li128ELi8ELb0ELb1ELi1024EEEvPT0_PfPT_S4_PiS7_iiiii
	.globl	_ZN5aiter43moe_smooth_per_token_scaled_quant_kernel_v1ItDB8_Li128ELi8ELb0ELb1ELi1024EEEvPT0_PfPT_S4_PiS7_iiiii
	.p2align	8
	.type	_ZN5aiter43moe_smooth_per_token_scaled_quant_kernel_v1ItDB8_Li128ELi8ELb0ELb1ELi1024EEEvPT0_PfPT_S4_PiS7_iiiii,@function
_ZN5aiter43moe_smooth_per_token_scaled_quant_kernel_v1ItDB8_Li128ELi8ELb0ELb1ELi1024EEEvPT0_PfPT_S4_PiS7_iiiii: ; @_ZN5aiter43moe_smooth_per_token_scaled_quant_kernel_v1ItDB8_Li128ELi8ELb0ELb1ELi1024EEEvPT0_PfPT_S4_PiS7_iiiii
; %bb.0:
	s_load_dwordx4 s[8:11], s[4:5], 0x34
	s_load_dwordx4 s[12:15], s[4:5], 0x20
	s_load_dwordx2 s[16:17], s[4:5], 0x10
	v_and_b32_e32 v1, 0x3c0, v0
	v_lshlrev_b32_e32 v1, 2, v1
	v_lshlrev_b32_e32 v2, 2, v0
	v_readfirstlane_b32 s7, v1
	v_add_u32_e32 v3, 0x200, v1
	s_waitcnt lgkmcnt(0)
	s_lshl_b32 s2, s11, 2
	s_and_b32 s1, s15, 0xffff
	s_mov_b32 s3, 0x20000
	s_mov_b32 s0, s14
	;;#ASMSTART
	s_mov_b32 m0 s7
	buffer_load_dword v2, s[0:3], 0 offen offset:0 lds
	
	;;#ASMEND
	v_readfirstlane_b32 s7, v3
	v_add_u32_e32 v3, 0x200, v2
	;;#ASMSTART
	s_mov_b32 m0 s7
	buffer_load_dword v3, s[0:3], 0 offen offset:0 lds
	
	;;#ASMEND
	v_add_u32_e32 v3, 0x400, v1
	v_readfirstlane_b32 s7, v3
	v_add_u32_e32 v3, 0x400, v2
	;;#ASMSTART
	s_mov_b32 m0 s7
	buffer_load_dword v3, s[0:3], 0 offen offset:0 lds
	
	;;#ASMEND
	v_add_u32_e32 v3, 0x600, v1
	;; [unrolled: 8-line block ×5, first 2 shown]
	s_mul_i32 s20, s6, s8
	v_readfirstlane_b32 s7, v3
	v_add_u32_e32 v3, 0xc00, v2
	;;#ASMSTART
	s_mov_b32 m0 s7
	buffer_load_dword v3, s[0:3], 0 offen offset:0 lds
	
	;;#ASMEND
	v_add_u32_e32 v1, 0xe00, v1
	s_ashr_i32 s21, s20, 31
	v_readfirstlane_b32 s7, v1
	v_add_u32_e32 v1, 0xe00, v2
	;;#ASMSTART
	s_mov_b32 m0 s7
	buffer_load_dword v1, s[0:3], 0 offen offset:0 lds
	
	;;#ASMEND
	s_lshl_b64 s[0:1], s[20:21], 2
	s_add_u32 s0, s12, s0
	v_and_b32_e32 v1, 63, v0
	s_addc_u32 s1, s13, s1
	s_lshl_b32 s2, s8, 2
	s_and_b32 s1, s1, 0xffff
	v_lshlrev_b32_e32 v2, 2, v1
	buffer_load_dword v16, v2, s[0:3], 0 offen
	s_mul_hi_i32 s1, s10, s6
	s_mul_i32 s0, s10, s6
	s_lshl_b64 s[0:1], s[0:1], 1
	s_add_u32 s0, s16, s0
	s_addc_u32 s1, s17, s1
	s_lshl_b32 s2, s9, 1
	s_and_b32 s1, s1, 0xffff
	v_lshlrev_b32_e32 v2, 4, v0
	buffer_load_dwordx4 v[2:5], v2, s[0:3], 0 offen
	v_cmp_gt_i32_e32 vcc, s8, v1
	s_waitcnt vmcnt(1)
	s_barrier
	v_cmp_gt_i32_e64 s[2:3], s11, v16
	v_cmp_lt_i32_e64 s[0:1], -1, v16
	s_and_b64 s[2:3], vcc, s[2:3]
	s_and_b64 s[2:3], s[2:3], s[0:1]
	s_and_saveexec_b64 s[0:1], s[2:3]
	s_cbranch_execz .LBB151_2
; %bb.1:
	v_lshlrev_b32_e32 v6, 2, v16
	ds_read_b32 v16, v6
.LBB151_2:
	s_or_b64 exec, exec, s[0:1]
	s_cmp_lt_i32 s8, 1
	s_cbranch_scc1 .LBB151_13
; %bb.3:
	s_add_i32 s2, s9, 7
	s_load_dwordx4 s[12:15], s[4:5], 0x0
	s_load_dwordx2 s[10:11], s[4:5], 0x18
	s_ashr_i32 s3, s2, 31
	s_add_i32 s4, s9, 3
	s_waitcnt vmcnt(0)
	v_cvt_f32_u32_sdwa v7, v2 dst_sel:DWORD dst_unused:UNUSED_PAD src0_sel:WORD_1
	v_cvt_f32_u32_sdwa v6, v2 dst_sel:DWORD dst_unused:UNUSED_PAD src0_sel:WORD_0
	v_cvt_f32_u32_sdwa v9, v3 dst_sel:DWORD dst_unused:UNUSED_PAD src0_sel:WORD_1
	v_cvt_f32_u32_sdwa v8, v3 dst_sel:DWORD dst_unused:UNUSED_PAD src0_sel:WORD_0
	;; [unrolled: 2-line block ×4, first 2 shown]
	s_lshr_b32 s3, s3, 29
	s_ashr_i32 s5, s4, 31
	v_cmp_eq_u32_e32 vcc, 63, v1
	v_lshrrev_b32_e32 v1, 4, v0
	v_mov_b32_e32 v4, 0x1000
	s_add_i32 s2, s2, s3
	s_lshr_b32 s5, s5, 30
	v_and_or_b32 v19, v1, 60, v4
	v_and_b32_e32 v1, 1, v0
	s_ashr_i32 s2, s2, 3
	s_add_i32 s4, s4, s5
	s_mov_b32 s21, 0xffff
	s_mov_b32 s22, s9
	v_lshlrev_b32_e32 v17, 3, v0
	s_lshl_b32 s6, s9, 2
	v_lshlrev_b32_e32 v18, 5, v0
	v_lshl_or_b32 v20, v1, 2, v4
	s_mov_b32 s23, 0
	v_cmp_eq_u32_e64 s[0:1], 0, v0
	v_cmp_gt_u32_e64 s[2:3], s2, v0
	s_and_b32 s18, s4, -4
	s_mov_b32 s7, 0x20000
	s_mov_b32 s9, 0x2edbe6ff
	v_mov_b32_e32 v21, 0
	v_mov_b32_e32 v22, 0xc3e00000
	;; [unrolled: 1-line block ×3, first 2 shown]
	s_mov_b32 s24, 0x5040100
	s_movk_i32 s25, 0xff
	s_branch .LBB151_6
.LBB151_4:                              ;   in Loop: Header=BB151_6 Depth=1
	s_or_b64 exec, exec, s[4:5]
.LBB151_5:                              ;   in Loop: Header=BB151_6 Depth=1
	s_add_i32 s23, s23, 1
	s_cmp_eq_u32 s8, s23
	s_cbranch_scc1 .LBB151_13
.LBB151_6:                              ; =>This Inner Loop Header: Depth=1
	s_waitcnt lgkmcnt(0)
	v_readlane_b32 s4, v16, s23
	s_cmp_lt_i32 s4, 0
	s_cbranch_scc1 .LBB151_5
; %bb.7:                                ;   in Loop: Header=BB151_6 Depth=1
	s_mul_i32 s4, s4, s22
	s_ashr_i32 s5, s4, 31
	s_lshl_b64 s[4:5], s[4:5], 2
	s_add_u32 s4, s10, s4
	s_addc_u32 s5, s11, s5
	s_and_b32 s5, s5, 0xffff
	buffer_load_dwordx4 v[24:27], v18, s[4:7], 0 offen
	buffer_load_dwordx4 v[28:31], v18, s[4:7], 16 offen
	s_waitcnt vmcnt(1)
	v_pk_mul_f32 v[14:15], v[24:25], v[6:7]
	v_pk_mul_f32 v[12:13], v[26:27], v[8:9]
	v_max3_f32 v24, |v14|, s9, |v15|
	s_waitcnt vmcnt(0)
	v_pk_mul_f32 v[4:5], v[28:29], v[2:3]
	v_max3_f32 v24, v24, |v12|, |v13|
	v_pk_mul_f32 v[0:1], v[30:31], v[10:11]
	v_max3_f32 v24, v24, |v4|, |v5|
	v_max3_f32 v24, v24, |v0|, |v1|
	s_nop 1
	v_mov_b32_dpp v25, v24 quad_perm:[1,0,3,2] row_mask:0xf bank_mask:0xf
	v_cmp_gt_f32_e64 s[4:5], v24, v25
	v_cndmask_b32_e64 v24, v25, v24, s[4:5]
	s_nop 1
	v_mov_b32_dpp v25, v24 quad_perm:[2,3,0,1] row_mask:0xf bank_mask:0xf
	v_cmp_gt_f32_e64 s[4:5], v24, v25
	v_cndmask_b32_e64 v24, v25, v24, s[4:5]
	s_nop 1
	v_mov_b32_dpp v25, v24 row_half_mirror row_mask:0xf bank_mask:0xf
	v_cmp_gt_f32_e64 s[4:5], v24, v25
	v_cndmask_b32_e64 v24, v25, v24, s[4:5]
	s_nop 1
	v_mov_b32_dpp v25, v24 row_mirror row_mask:0xf bank_mask:0xf
	v_cmp_gt_f32_e64 s[4:5], v24, v25
	v_cndmask_b32_e64 v24, v25, v24, s[4:5]
	s_nop 1
	v_mov_b32_dpp v25, v24 row_bcast:15 row_mask:0xf bank_mask:0xf
	v_cmp_gt_f32_e64 s[4:5], v24, v25
	v_cndmask_b32_e64 v24, v25, v24, s[4:5]
	s_nop 1
	v_mov_b32_dpp v25, v24 row_bcast:31 row_mask:0xf bank_mask:0xf
	s_and_saveexec_b64 s[16:17], vcc
	s_cbranch_execz .LBB151_9
; %bb.8:                                ;   in Loop: Header=BB151_6 Depth=1
	v_cmp_gt_f32_e64 s[4:5], v24, v25
	v_cndmask_b32_e64 v24, v25, v24, s[4:5]
	ds_write_b32 v19, v24
.LBB151_9:                              ;   in Loop: Header=BB151_6 Depth=1
	s_or_b64 exec, exec, s[16:17]
	s_waitcnt lgkmcnt(0)
	s_barrier
	ds_read_b32 v24, v20
	s_add_i32 s16, s20, s23
	s_waitcnt lgkmcnt(0)
	v_mov_b32_dpp v25, v24 quad_perm:[1,0,3,2] row_mask:0xf bank_mask:0xf
	v_cmp_gt_f32_e64 s[4:5], v24, v25
	v_cndmask_b32_e64 v24, v25, v24, s[4:5]
	v_mul_f32_e32 v24, 0x3b124925, v24
	s_and_saveexec_b64 s[4:5], s[0:1]
	s_cbranch_execz .LBB151_11
; %bb.10:                               ;   in Loop: Header=BB151_6 Depth=1
	s_ashr_i32 s17, s16, 31
	s_lshl_b64 s[26:27], s[16:17], 2
	s_add_u32 s26, s14, s26
	s_addc_u32 s27, s15, s27
	global_store_dword v21, v24, s[26:27]
.LBB151_11:                             ;   in Loop: Header=BB151_6 Depth=1
	s_or_b64 exec, exec, s[4:5]
	s_and_saveexec_b64 s[4:5], s[2:3]
	s_cbranch_execz .LBB151_4
; %bb.12:                               ;   in Loop: Header=BB151_6 Depth=1
	v_rcp_f32_e32 v24, v24
	s_mul_hi_i32 s17, s16, s22
	s_mul_i32 s16, s16, s22
	s_add_u32 s16, s12, s16
	v_mov_b32_e32 v25, v24
	;;#ASMSTART
	v_pk_mul_f32 v[14:15], v[14:15], v[24:25]
	;;#ASMEND
	;;#ASMSTART
	v_med3_f32 v14, v14, v22, v23
v_med3_f32 v15, v15, v22, v23
v_cvt_pk_fp8_f32 v26, v14, v15
	;;#ASMEND
	;;#ASMSTART
	v_pk_mul_f32 v[12:13], v[12:13], v[24:25]
	;;#ASMEND
	;;#ASMSTART
	v_med3_f32 v12, v12, v22, v23
v_med3_f32 v13, v13, v22, v23
v_cvt_pk_fp8_f32 v14, v12, v13
	;;#ASMEND
	v_perm_b32 v13, v14, v26, s24
	v_and_b32_e32 v12, 0xffffff00, v14
	v_and_b32_sdwa v14, v13, s25 dst_sel:DWORD dst_unused:UNUSED_PAD src0_sel:WORD_1 src1_sel:DWORD
	v_or_b32_sdwa v12, v14, v12 dst_sel:WORD_1 dst_unused:UNUSED_PAD src0_sel:DWORD src1_sel:DWORD
	;;#ASMSTART
	v_pk_mul_f32 v[4:5], v[4:5], v[24:25]
	;;#ASMEND
	v_and_or_b32 v12, v13, s21, v12
	;;#ASMSTART
	v_med3_f32 v4, v4, v22, v23
v_med3_f32 v5, v5, v22, v23
v_cvt_pk_fp8_f32 v13, v4, v5
	;;#ASMEND
	;;#ASMSTART
	v_pk_mul_f32 v[0:1], v[0:1], v[24:25]
	;;#ASMEND
	;;#ASMSTART
	v_med3_f32 v0, v0, v22, v23
v_med3_f32 v1, v1, v22, v23
v_cvt_pk_fp8_f32 v4, v0, v1
	;;#ASMEND
	s_addc_u32 s17, s13, s17
	v_lshlrev_b32_e32 v0, 16, v4
	s_and_b32 s17, s17, 0xffff
	s_mov_b32 s19, s7
	v_and_or_b32 v13, v13, s21, v0
	buffer_store_dwordx2 v[12:13], v17, s[16:19], 0 offen
	;;#ASMSTART
	s_nop 0
	;;#ASMEND
	s_branch .LBB151_4
.LBB151_13:
	s_endpgm
	.section	.rodata,"a",@progbits
	.p2align	6, 0x0
	.amdhsa_kernel _ZN5aiter43moe_smooth_per_token_scaled_quant_kernel_v1ItDB8_Li128ELi8ELb0ELb1ELi1024EEEvPT0_PfPT_S4_PiS7_iiiii
		.amdhsa_group_segment_fixed_size 4104
		.amdhsa_private_segment_fixed_size 0
		.amdhsa_kernarg_size 68
		.amdhsa_user_sgpr_count 6
		.amdhsa_user_sgpr_private_segment_buffer 1
		.amdhsa_user_sgpr_dispatch_ptr 0
		.amdhsa_user_sgpr_queue_ptr 0
		.amdhsa_user_sgpr_kernarg_segment_ptr 1
		.amdhsa_user_sgpr_dispatch_id 0
		.amdhsa_user_sgpr_flat_scratch_init 0
		.amdhsa_user_sgpr_kernarg_preload_length 0
		.amdhsa_user_sgpr_kernarg_preload_offset 0
		.amdhsa_user_sgpr_private_segment_size 0
		.amdhsa_uses_dynamic_stack 0
		.amdhsa_system_sgpr_private_segment_wavefront_offset 0
		.amdhsa_system_sgpr_workgroup_id_x 1
		.amdhsa_system_sgpr_workgroup_id_y 0
		.amdhsa_system_sgpr_workgroup_id_z 0
		.amdhsa_system_sgpr_workgroup_info 0
		.amdhsa_system_vgpr_workitem_id 0
		.amdhsa_next_free_vgpr 32
		.amdhsa_next_free_sgpr 28
		.amdhsa_accum_offset 32
		.amdhsa_reserve_vcc 1
		.amdhsa_reserve_flat_scratch 0
		.amdhsa_float_round_mode_32 0
		.amdhsa_float_round_mode_16_64 0
		.amdhsa_float_denorm_mode_32 3
		.amdhsa_float_denorm_mode_16_64 3
		.amdhsa_dx10_clamp 1
		.amdhsa_ieee_mode 1
		.amdhsa_fp16_overflow 0
		.amdhsa_tg_split 0
		.amdhsa_exception_fp_ieee_invalid_op 0
		.amdhsa_exception_fp_denorm_src 0
		.amdhsa_exception_fp_ieee_div_zero 0
		.amdhsa_exception_fp_ieee_overflow 0
		.amdhsa_exception_fp_ieee_underflow 0
		.amdhsa_exception_fp_ieee_inexact 0
		.amdhsa_exception_int_div_zero 0
	.end_amdhsa_kernel
	.section	.text._ZN5aiter43moe_smooth_per_token_scaled_quant_kernel_v1ItDB8_Li128ELi8ELb0ELb1ELi1024EEEvPT0_PfPT_S4_PiS7_iiiii,"axG",@progbits,_ZN5aiter43moe_smooth_per_token_scaled_quant_kernel_v1ItDB8_Li128ELi8ELb0ELb1ELi1024EEEvPT0_PfPT_S4_PiS7_iiiii,comdat
.Lfunc_end151:
	.size	_ZN5aiter43moe_smooth_per_token_scaled_quant_kernel_v1ItDB8_Li128ELi8ELb0ELb1ELi1024EEEvPT0_PfPT_S4_PiS7_iiiii, .Lfunc_end151-_ZN5aiter43moe_smooth_per_token_scaled_quant_kernel_v1ItDB8_Li128ELi8ELb0ELb1ELi1024EEEvPT0_PfPT_S4_PiS7_iiiii
                                        ; -- End function
	.section	.AMDGPU.csdata,"",@progbits
; Kernel info:
; codeLenInByte = 1436
; NumSgprs: 32
; NumVgprs: 32
; NumAgprs: 0
; TotalNumVgprs: 32
; ScratchSize: 0
; MemoryBound: 0
; FloatMode: 240
; IeeeMode: 1
; LDSByteSize: 4104 bytes/workgroup (compile time only)
; SGPRBlocks: 3
; VGPRBlocks: 3
; NumSGPRsForWavesPerEU: 32
; NumVGPRsForWavesPerEU: 32
; AccumOffset: 32
; Occupancy: 8
; WaveLimiterHint : 0
; COMPUTE_PGM_RSRC2:SCRATCH_EN: 0
; COMPUTE_PGM_RSRC2:USER_SGPR: 6
; COMPUTE_PGM_RSRC2:TRAP_HANDLER: 0
; COMPUTE_PGM_RSRC2:TGID_X_EN: 1
; COMPUTE_PGM_RSRC2:TGID_Y_EN: 0
; COMPUTE_PGM_RSRC2:TGID_Z_EN: 0
; COMPUTE_PGM_RSRC2:TIDIG_COMP_CNT: 0
; COMPUTE_PGM_RSRC3_GFX90A:ACCUM_OFFSET: 7
; COMPUTE_PGM_RSRC3_GFX90A:TG_SPLIT: 0
	.section	.text._ZN5aiter43moe_smooth_per_token_scaled_quant_kernel_v1IDF16_DB8_Li128ELi8ELb0ELb0ELi1024EEEvPT0_PfPT_S4_PiS7_iiiii,"axG",@progbits,_ZN5aiter43moe_smooth_per_token_scaled_quant_kernel_v1IDF16_DB8_Li128ELi8ELb0ELb0ELi1024EEEvPT0_PfPT_S4_PiS7_iiiii,comdat
	.protected	_ZN5aiter43moe_smooth_per_token_scaled_quant_kernel_v1IDF16_DB8_Li128ELi8ELb0ELb0ELi1024EEEvPT0_PfPT_S4_PiS7_iiiii ; -- Begin function _ZN5aiter43moe_smooth_per_token_scaled_quant_kernel_v1IDF16_DB8_Li128ELi8ELb0ELb0ELi1024EEEvPT0_PfPT_S4_PiS7_iiiii
	.globl	_ZN5aiter43moe_smooth_per_token_scaled_quant_kernel_v1IDF16_DB8_Li128ELi8ELb0ELb0ELi1024EEEvPT0_PfPT_S4_PiS7_iiiii
	.p2align	8
	.type	_ZN5aiter43moe_smooth_per_token_scaled_quant_kernel_v1IDF16_DB8_Li128ELi8ELb0ELb0ELi1024EEEvPT0_PfPT_S4_PiS7_iiiii,@function
_ZN5aiter43moe_smooth_per_token_scaled_quant_kernel_v1IDF16_DB8_Li128ELi8ELb0ELb0ELi1024EEEvPT0_PfPT_S4_PiS7_iiiii: ; @_ZN5aiter43moe_smooth_per_token_scaled_quant_kernel_v1IDF16_DB8_Li128ELi8ELb0ELb0ELi1024EEEvPT0_PfPT_S4_PiS7_iiiii
; %bb.0:
	s_load_dwordx4 s[8:11], s[4:5], 0x34
	s_load_dwordx2 s[0:1], s[4:5], 0x10
	s_load_dwordx2 s[2:3], s[4:5], 0x20
	v_and_b32_e32 v1, 63, v0
	s_mov_b32 s15, 0x20000
	s_waitcnt lgkmcnt(0)
	s_mul_i32 s20, s6, s8
	s_ashr_i32 s21, s20, 31
	s_lshl_b64 s[12:13], s[20:21], 2
	s_add_u32 s12, s2, s12
	s_addc_u32 s2, s3, s13
	s_and_b32 s13, s2, 0xffff
	s_mul_hi_i32 s3, s10, s6
	s_mul_i32 s2, s10, s6
	s_lshl_b32 s14, s8, 2
	v_lshlrev_b32_e32 v2, 2, v1
	s_lshl_b64 s[2:3], s[2:3], 1
	buffer_load_dword v16, v2, s[12:15], 0 offen
	s_add_u32 s12, s0, s2
	s_addc_u32 s0, s1, s3
	s_lshl_b32 s14, s9, 1
	s_and_b32 s13, s0, 0xffff
	v_lshlrev_b32_e32 v2, 4, v0
	buffer_load_dwordx4 v[2:5], v2, s[12:15], 0 offen
	s_mov_b32 s21, 0xffff
	s_mov_b32 s22, 0
	s_cmp_lt_i32 s8, 1
	s_waitcnt vmcnt(1)
	s_barrier
	s_cbranch_scc1 .LBB152_11
; %bb.1:
	s_add_i32 s2, s9, 7
	s_load_dwordx4 s[16:19], s[4:5], 0x0
	s_load_dwordx2 s[10:11], s[4:5], 0x18
	s_ashr_i32 s3, s2, 31
	s_add_i32 s4, s9, 3
	s_waitcnt vmcnt(0)
	v_cvt_f32_f16_sdwa v7, v2 dst_sel:DWORD dst_unused:UNUSED_PAD src0_sel:WORD_1
	v_cvt_f32_f16_e32 v6, v2
	v_cvt_f32_f16_sdwa v9, v3 dst_sel:DWORD dst_unused:UNUSED_PAD src0_sel:WORD_1
	v_cvt_f32_f16_e32 v8, v3
	v_cvt_f32_f16_sdwa v3, v4 dst_sel:DWORD dst_unused:UNUSED_PAD src0_sel:WORD_1
	v_cvt_f32_f16_e32 v2, v4
	v_cvt_f32_f16_sdwa v11, v5 dst_sel:DWORD dst_unused:UNUSED_PAD src0_sel:WORD_1
	v_cvt_f32_f16_e32 v10, v5
	s_lshr_b32 s3, s3, 29
	s_ashr_i32 s5, s4, 31
	v_cmp_eq_u32_e32 vcc, 63, v1
	v_lshrrev_b32_e32 v1, 4, v0
	s_add_i32 s2, s2, s3
	s_lshr_b32 s5, s5, 30
	v_and_b32_e32 v19, 60, v1
	v_and_b32_e32 v1, 1, v0
	s_ashr_i32 s2, s2, 3
	s_add_i32 s4, s4, s5
	s_mov_b32 s23, s9
	v_lshlrev_b32_e32 v17, 3, v0
	s_lshl_b32 s14, s9, 2
	v_lshlrev_b32_e32 v18, 5, v0
	v_lshlrev_b32_e32 v20, 2, v1
	v_cmp_eq_u32_e64 s[0:1], 0, v0
	v_cmp_gt_u32_e64 s[2:3], s2, v0
	s_and_b32 s6, s4, -4
	s_mov_b32 s9, 0x2edbe6ff
	v_mov_b32_e32 v21, 0
	v_mov_b32_e32 v22, 0xc3e00000
	;; [unrolled: 1-line block ×3, first 2 shown]
	s_mov_b32 s24, 0x5040100
	s_movk_i32 s25, 0xff
	s_branch .LBB152_4
.LBB152_2:                              ;   in Loop: Header=BB152_4 Depth=1
	s_or_b64 exec, exec, s[12:13]
.LBB152_3:                              ;   in Loop: Header=BB152_4 Depth=1
	s_add_i32 s22, s22, 1
	s_cmp_eq_u32 s8, s22
	s_cbranch_scc1 .LBB152_11
.LBB152_4:                              ; =>This Inner Loop Header: Depth=1
	v_readlane_b32 s4, v16, s22
	s_cmp_lt_i32 s4, 0
	s_cbranch_scc1 .LBB152_3
; %bb.5:                                ;   in Loop: Header=BB152_4 Depth=1
	s_mul_i32 s4, s4, s23
	s_ashr_i32 s5, s4, 31
	s_lshl_b64 s[4:5], s[4:5], 2
	s_waitcnt lgkmcnt(0)
	s_add_u32 s12, s10, s4
	s_addc_u32 s4, s11, s5
	s_and_b32 s13, s4, 0xffff
	buffer_load_dwordx4 v[24:27], v18, s[12:15], 0 offen
	buffer_load_dwordx4 v[28:31], v18, s[12:15], 16 offen
	s_waitcnt vmcnt(1)
	v_pk_mul_f32 v[14:15], v[24:25], v[6:7]
	v_pk_mul_f32 v[12:13], v[26:27], v[8:9]
	v_max3_f32 v24, |v14|, s9, |v15|
	s_waitcnt vmcnt(0)
	v_pk_mul_f32 v[4:5], v[28:29], v[2:3]
	v_max3_f32 v24, v24, |v12|, |v13|
	v_pk_mul_f32 v[0:1], v[30:31], v[10:11]
	v_max3_f32 v24, v24, |v4|, |v5|
	v_max3_f32 v24, v24, |v0|, |v1|
	s_nop 1
	v_mov_b32_dpp v25, v24 quad_perm:[1,0,3,2] row_mask:0xf bank_mask:0xf
	v_cmp_gt_f32_e64 s[4:5], v24, v25
	v_cndmask_b32_e64 v24, v25, v24, s[4:5]
	s_nop 1
	v_mov_b32_dpp v25, v24 quad_perm:[2,3,0,1] row_mask:0xf bank_mask:0xf
	v_cmp_gt_f32_e64 s[4:5], v24, v25
	v_cndmask_b32_e64 v24, v25, v24, s[4:5]
	s_nop 1
	v_mov_b32_dpp v25, v24 row_half_mirror row_mask:0xf bank_mask:0xf
	v_cmp_gt_f32_e64 s[4:5], v24, v25
	v_cndmask_b32_e64 v24, v25, v24, s[4:5]
	s_nop 1
	v_mov_b32_dpp v25, v24 row_mirror row_mask:0xf bank_mask:0xf
	v_cmp_gt_f32_e64 s[4:5], v24, v25
	v_cndmask_b32_e64 v24, v25, v24, s[4:5]
	s_nop 1
	v_mov_b32_dpp v25, v24 row_bcast:15 row_mask:0xf bank_mask:0xf
	v_cmp_gt_f32_e64 s[4:5], v24, v25
	v_cndmask_b32_e64 v24, v25, v24, s[4:5]
	s_nop 1
	v_mov_b32_dpp v25, v24 row_bcast:31 row_mask:0xf bank_mask:0xf
	s_and_saveexec_b64 s[12:13], vcc
	s_cbranch_execz .LBB152_7
; %bb.6:                                ;   in Loop: Header=BB152_4 Depth=1
	v_cmp_gt_f32_e64 s[4:5], v24, v25
	v_cndmask_b32_e64 v24, v25, v24, s[4:5]
	ds_write_b32 v19, v24
.LBB152_7:                              ;   in Loop: Header=BB152_4 Depth=1
	s_or_b64 exec, exec, s[12:13]
	s_waitcnt lgkmcnt(0)
	s_barrier
	ds_read_b32 v24, v20
	s_waitcnt lgkmcnt(0)
	s_nop 0
	v_mov_b32_dpp v25, v24 quad_perm:[1,0,3,2] row_mask:0xf bank_mask:0xf
	v_cmp_gt_f32_e64 s[4:5], v24, v25
	v_cndmask_b32_e64 v24, v25, v24, s[4:5]
	v_mul_f32_e32 v24, 0x3b124925, v24
	s_add_i32 s4, s20, s22
	s_and_saveexec_b64 s[12:13], s[0:1]
	s_cbranch_execz .LBB152_9
; %bb.8:                                ;   in Loop: Header=BB152_4 Depth=1
	s_ashr_i32 s5, s4, 31
	s_lshl_b64 s[26:27], s[4:5], 2
	s_add_u32 s26, s18, s26
	s_addc_u32 s27, s19, s27
	global_store_dword v21, v24, s[26:27]
.LBB152_9:                              ;   in Loop: Header=BB152_4 Depth=1
	s_or_b64 exec, exec, s[12:13]
	s_and_saveexec_b64 s[12:13], s[2:3]
	s_cbranch_execz .LBB152_2
; %bb.10:                               ;   in Loop: Header=BB152_4 Depth=1
	v_rcp_f32_e32 v24, v24
	s_mul_hi_i32 s5, s4, s23
	s_mul_i32 s4, s4, s23
	s_add_u32 s4, s16, s4
	v_mov_b32_e32 v25, v24
	;;#ASMSTART
	v_pk_mul_f32 v[14:15], v[14:15], v[24:25]
	;;#ASMEND
	;;#ASMSTART
	v_med3_f32 v14, v14, v22, v23
v_med3_f32 v15, v15, v22, v23
v_cvt_pk_fp8_f32 v26, v14, v15
	;;#ASMEND
	;;#ASMSTART
	v_pk_mul_f32 v[12:13], v[12:13], v[24:25]
	;;#ASMEND
	;;#ASMSTART
	v_med3_f32 v12, v12, v22, v23
v_med3_f32 v13, v13, v22, v23
v_cvt_pk_fp8_f32 v14, v12, v13
	;;#ASMEND
	v_perm_b32 v13, v14, v26, s24
	v_and_b32_e32 v12, 0xffffff00, v14
	v_and_b32_sdwa v14, v13, s25 dst_sel:DWORD dst_unused:UNUSED_PAD src0_sel:WORD_1 src1_sel:DWORD
	v_or_b32_sdwa v12, v14, v12 dst_sel:WORD_1 dst_unused:UNUSED_PAD src0_sel:DWORD src1_sel:DWORD
	;;#ASMSTART
	v_pk_mul_f32 v[4:5], v[4:5], v[24:25]
	;;#ASMEND
	v_and_or_b32 v12, v13, s21, v12
	;;#ASMSTART
	v_med3_f32 v4, v4, v22, v23
v_med3_f32 v5, v5, v22, v23
v_cvt_pk_fp8_f32 v13, v4, v5
	;;#ASMEND
	;;#ASMSTART
	v_pk_mul_f32 v[0:1], v[0:1], v[24:25]
	;;#ASMEND
	;;#ASMSTART
	v_med3_f32 v0, v0, v22, v23
v_med3_f32 v1, v1, v22, v23
v_cvt_pk_fp8_f32 v4, v0, v1
	;;#ASMEND
	s_addc_u32 s5, s17, s5
	v_lshlrev_b32_e32 v0, 16, v4
	s_and_b32 s5, s5, 0xffff
	s_mov_b32 s7, s15
	v_and_or_b32 v13, v13, s21, v0
	buffer_store_dwordx2 v[12:13], v17, s[4:7], 0 offen
	;;#ASMSTART
	s_nop 0
	;;#ASMEND
	s_branch .LBB152_2
.LBB152_11:
	s_endpgm
	.section	.rodata,"a",@progbits
	.p2align	6, 0x0
	.amdhsa_kernel _ZN5aiter43moe_smooth_per_token_scaled_quant_kernel_v1IDF16_DB8_Li128ELi8ELb0ELb0ELi1024EEEvPT0_PfPT_S4_PiS7_iiiii
		.amdhsa_group_segment_fixed_size 8
		.amdhsa_private_segment_fixed_size 0
		.amdhsa_kernarg_size 68
		.amdhsa_user_sgpr_count 6
		.amdhsa_user_sgpr_private_segment_buffer 1
		.amdhsa_user_sgpr_dispatch_ptr 0
		.amdhsa_user_sgpr_queue_ptr 0
		.amdhsa_user_sgpr_kernarg_segment_ptr 1
		.amdhsa_user_sgpr_dispatch_id 0
		.amdhsa_user_sgpr_flat_scratch_init 0
		.amdhsa_user_sgpr_kernarg_preload_length 0
		.amdhsa_user_sgpr_kernarg_preload_offset 0
		.amdhsa_user_sgpr_private_segment_size 0
		.amdhsa_uses_dynamic_stack 0
		.amdhsa_system_sgpr_private_segment_wavefront_offset 0
		.amdhsa_system_sgpr_workgroup_id_x 1
		.amdhsa_system_sgpr_workgroup_id_y 0
		.amdhsa_system_sgpr_workgroup_id_z 0
		.amdhsa_system_sgpr_workgroup_info 0
		.amdhsa_system_vgpr_workitem_id 0
		.amdhsa_next_free_vgpr 32
		.amdhsa_next_free_sgpr 28
		.amdhsa_accum_offset 32
		.amdhsa_reserve_vcc 1
		.amdhsa_reserve_flat_scratch 0
		.amdhsa_float_round_mode_32 0
		.amdhsa_float_round_mode_16_64 0
		.amdhsa_float_denorm_mode_32 3
		.amdhsa_float_denorm_mode_16_64 3
		.amdhsa_dx10_clamp 1
		.amdhsa_ieee_mode 1
		.amdhsa_fp16_overflow 0
		.amdhsa_tg_split 0
		.amdhsa_exception_fp_ieee_invalid_op 0
		.amdhsa_exception_fp_denorm_src 0
		.amdhsa_exception_fp_ieee_div_zero 0
		.amdhsa_exception_fp_ieee_overflow 0
		.amdhsa_exception_fp_ieee_underflow 0
		.amdhsa_exception_fp_ieee_inexact 0
		.amdhsa_exception_int_div_zero 0
	.end_amdhsa_kernel
	.section	.text._ZN5aiter43moe_smooth_per_token_scaled_quant_kernel_v1IDF16_DB8_Li128ELi8ELb0ELb0ELi1024EEEvPT0_PfPT_S4_PiS7_iiiii,"axG",@progbits,_ZN5aiter43moe_smooth_per_token_scaled_quant_kernel_v1IDF16_DB8_Li128ELi8ELb0ELb0ELi1024EEEvPT0_PfPT_S4_PiS7_iiiii,comdat
.Lfunc_end152:
	.size	_ZN5aiter43moe_smooth_per_token_scaled_quant_kernel_v1IDF16_DB8_Li128ELi8ELb0ELb0ELi1024EEEvPT0_PfPT_S4_PiS7_iiiii, .Lfunc_end152-_ZN5aiter43moe_smooth_per_token_scaled_quant_kernel_v1IDF16_DB8_Li128ELi8ELb0ELb0ELi1024EEEvPT0_PfPT_S4_PiS7_iiiii
                                        ; -- End function
	.section	.AMDGPU.csdata,"",@progbits
; Kernel info:
; codeLenInByte = 1044
; NumSgprs: 32
; NumVgprs: 32
; NumAgprs: 0
; TotalNumVgprs: 32
; ScratchSize: 0
; MemoryBound: 0
; FloatMode: 240
; IeeeMode: 1
; LDSByteSize: 8 bytes/workgroup (compile time only)
; SGPRBlocks: 3
; VGPRBlocks: 3
; NumSGPRsForWavesPerEU: 32
; NumVGPRsForWavesPerEU: 32
; AccumOffset: 32
; Occupancy: 8
; WaveLimiterHint : 0
; COMPUTE_PGM_RSRC2:SCRATCH_EN: 0
; COMPUTE_PGM_RSRC2:USER_SGPR: 6
; COMPUTE_PGM_RSRC2:TRAP_HANDLER: 0
; COMPUTE_PGM_RSRC2:TGID_X_EN: 1
; COMPUTE_PGM_RSRC2:TGID_Y_EN: 0
; COMPUTE_PGM_RSRC2:TGID_Z_EN: 0
; COMPUTE_PGM_RSRC2:TIDIG_COMP_CNT: 0
; COMPUTE_PGM_RSRC3_GFX90A:ACCUM_OFFSET: 7
; COMPUTE_PGM_RSRC3_GFX90A:TG_SPLIT: 0
	.section	.text._ZN5aiter43moe_smooth_per_token_scaled_quant_kernel_v1ItDB8_Li128ELi8ELb0ELb0ELi1024EEEvPT0_PfPT_S4_PiS7_iiiii,"axG",@progbits,_ZN5aiter43moe_smooth_per_token_scaled_quant_kernel_v1ItDB8_Li128ELi8ELb0ELb0ELi1024EEEvPT0_PfPT_S4_PiS7_iiiii,comdat
	.protected	_ZN5aiter43moe_smooth_per_token_scaled_quant_kernel_v1ItDB8_Li128ELi8ELb0ELb0ELi1024EEEvPT0_PfPT_S4_PiS7_iiiii ; -- Begin function _ZN5aiter43moe_smooth_per_token_scaled_quant_kernel_v1ItDB8_Li128ELi8ELb0ELb0ELi1024EEEvPT0_PfPT_S4_PiS7_iiiii
	.globl	_ZN5aiter43moe_smooth_per_token_scaled_quant_kernel_v1ItDB8_Li128ELi8ELb0ELb0ELi1024EEEvPT0_PfPT_S4_PiS7_iiiii
	.p2align	8
	.type	_ZN5aiter43moe_smooth_per_token_scaled_quant_kernel_v1ItDB8_Li128ELi8ELb0ELb0ELi1024EEEvPT0_PfPT_S4_PiS7_iiiii,@function
_ZN5aiter43moe_smooth_per_token_scaled_quant_kernel_v1ItDB8_Li128ELi8ELb0ELb0ELi1024EEEvPT0_PfPT_S4_PiS7_iiiii: ; @_ZN5aiter43moe_smooth_per_token_scaled_quant_kernel_v1ItDB8_Li128ELi8ELb0ELb0ELi1024EEEvPT0_PfPT_S4_PiS7_iiiii
; %bb.0:
	s_load_dwordx4 s[8:11], s[4:5], 0x34
	s_load_dwordx2 s[0:1], s[4:5], 0x10
	s_load_dwordx2 s[2:3], s[4:5], 0x20
	v_and_b32_e32 v1, 63, v0
	s_mov_b32 s15, 0x20000
	s_waitcnt lgkmcnt(0)
	s_mul_i32 s20, s6, s8
	s_ashr_i32 s21, s20, 31
	s_lshl_b64 s[12:13], s[20:21], 2
	s_add_u32 s12, s2, s12
	s_addc_u32 s2, s3, s13
	s_and_b32 s13, s2, 0xffff
	s_mul_hi_i32 s3, s10, s6
	s_mul_i32 s2, s10, s6
	s_lshl_b32 s14, s8, 2
	v_lshlrev_b32_e32 v2, 2, v1
	s_lshl_b64 s[2:3], s[2:3], 1
	buffer_load_dword v16, v2, s[12:15], 0 offen
	s_add_u32 s12, s0, s2
	s_addc_u32 s0, s1, s3
	s_lshl_b32 s14, s9, 1
	s_and_b32 s13, s0, 0xffff
	v_lshlrev_b32_e32 v2, 4, v0
	buffer_load_dwordx4 v[2:5], v2, s[12:15], 0 offen
	s_mov_b32 s21, 0xffff
	s_mov_b32 s22, 0
	s_cmp_lt_i32 s8, 1
	s_waitcnt vmcnt(1)
	s_barrier
	s_cbranch_scc1 .LBB153_11
; %bb.1:
	s_add_i32 s2, s9, 7
	s_load_dwordx4 s[16:19], s[4:5], 0x0
	s_load_dwordx2 s[10:11], s[4:5], 0x18
	s_ashr_i32 s3, s2, 31
	s_add_i32 s4, s9, 3
	s_waitcnt vmcnt(0)
	v_cvt_f32_u32_sdwa v7, v2 dst_sel:DWORD dst_unused:UNUSED_PAD src0_sel:WORD_1
	v_cvt_f32_u32_sdwa v6, v2 dst_sel:DWORD dst_unused:UNUSED_PAD src0_sel:WORD_0
	v_cvt_f32_u32_sdwa v9, v3 dst_sel:DWORD dst_unused:UNUSED_PAD src0_sel:WORD_1
	v_cvt_f32_u32_sdwa v8, v3 dst_sel:DWORD dst_unused:UNUSED_PAD src0_sel:WORD_0
	;; [unrolled: 2-line block ×4, first 2 shown]
	s_lshr_b32 s3, s3, 29
	s_ashr_i32 s5, s4, 31
	v_cmp_eq_u32_e32 vcc, 63, v1
	v_lshrrev_b32_e32 v1, 4, v0
	s_add_i32 s2, s2, s3
	s_lshr_b32 s5, s5, 30
	v_and_b32_e32 v19, 60, v1
	v_and_b32_e32 v1, 1, v0
	s_ashr_i32 s2, s2, 3
	s_add_i32 s4, s4, s5
	s_mov_b32 s23, s9
	v_lshlrev_b32_e32 v17, 3, v0
	s_lshl_b32 s14, s9, 2
	v_lshlrev_b32_e32 v18, 5, v0
	v_lshlrev_b32_e32 v20, 2, v1
	v_cmp_eq_u32_e64 s[0:1], 0, v0
	v_cmp_gt_u32_e64 s[2:3], s2, v0
	s_and_b32 s6, s4, -4
	s_mov_b32 s9, 0x2edbe6ff
	v_mov_b32_e32 v21, 0
	v_mov_b32_e32 v22, 0xc3e00000
	;; [unrolled: 1-line block ×3, first 2 shown]
	s_mov_b32 s24, 0x5040100
	s_movk_i32 s25, 0xff
	s_branch .LBB153_4
.LBB153_2:                              ;   in Loop: Header=BB153_4 Depth=1
	s_or_b64 exec, exec, s[12:13]
.LBB153_3:                              ;   in Loop: Header=BB153_4 Depth=1
	s_add_i32 s22, s22, 1
	s_cmp_eq_u32 s8, s22
	s_cbranch_scc1 .LBB153_11
.LBB153_4:                              ; =>This Inner Loop Header: Depth=1
	v_readlane_b32 s4, v16, s22
	s_cmp_lt_i32 s4, 0
	s_cbranch_scc1 .LBB153_3
; %bb.5:                                ;   in Loop: Header=BB153_4 Depth=1
	s_mul_i32 s4, s4, s23
	s_ashr_i32 s5, s4, 31
	s_lshl_b64 s[4:5], s[4:5], 2
	s_waitcnt lgkmcnt(0)
	s_add_u32 s12, s10, s4
	s_addc_u32 s4, s11, s5
	s_and_b32 s13, s4, 0xffff
	buffer_load_dwordx4 v[24:27], v18, s[12:15], 0 offen
	buffer_load_dwordx4 v[28:31], v18, s[12:15], 16 offen
	s_waitcnt vmcnt(1)
	v_pk_mul_f32 v[14:15], v[24:25], v[6:7]
	v_pk_mul_f32 v[12:13], v[26:27], v[8:9]
	v_max3_f32 v24, |v14|, s9, |v15|
	s_waitcnt vmcnt(0)
	v_pk_mul_f32 v[4:5], v[28:29], v[2:3]
	v_max3_f32 v24, v24, |v12|, |v13|
	v_pk_mul_f32 v[0:1], v[30:31], v[10:11]
	v_max3_f32 v24, v24, |v4|, |v5|
	v_max3_f32 v24, v24, |v0|, |v1|
	s_nop 1
	v_mov_b32_dpp v25, v24 quad_perm:[1,0,3,2] row_mask:0xf bank_mask:0xf
	v_cmp_gt_f32_e64 s[4:5], v24, v25
	v_cndmask_b32_e64 v24, v25, v24, s[4:5]
	s_nop 1
	v_mov_b32_dpp v25, v24 quad_perm:[2,3,0,1] row_mask:0xf bank_mask:0xf
	v_cmp_gt_f32_e64 s[4:5], v24, v25
	v_cndmask_b32_e64 v24, v25, v24, s[4:5]
	s_nop 1
	v_mov_b32_dpp v25, v24 row_half_mirror row_mask:0xf bank_mask:0xf
	v_cmp_gt_f32_e64 s[4:5], v24, v25
	v_cndmask_b32_e64 v24, v25, v24, s[4:5]
	s_nop 1
	v_mov_b32_dpp v25, v24 row_mirror row_mask:0xf bank_mask:0xf
	v_cmp_gt_f32_e64 s[4:5], v24, v25
	v_cndmask_b32_e64 v24, v25, v24, s[4:5]
	s_nop 1
	v_mov_b32_dpp v25, v24 row_bcast:15 row_mask:0xf bank_mask:0xf
	v_cmp_gt_f32_e64 s[4:5], v24, v25
	v_cndmask_b32_e64 v24, v25, v24, s[4:5]
	s_nop 1
	v_mov_b32_dpp v25, v24 row_bcast:31 row_mask:0xf bank_mask:0xf
	s_and_saveexec_b64 s[12:13], vcc
	s_cbranch_execz .LBB153_7
; %bb.6:                                ;   in Loop: Header=BB153_4 Depth=1
	v_cmp_gt_f32_e64 s[4:5], v24, v25
	v_cndmask_b32_e64 v24, v25, v24, s[4:5]
	ds_write_b32 v19, v24
.LBB153_7:                              ;   in Loop: Header=BB153_4 Depth=1
	s_or_b64 exec, exec, s[12:13]
	s_waitcnt lgkmcnt(0)
	s_barrier
	ds_read_b32 v24, v20
	s_waitcnt lgkmcnt(0)
	s_nop 0
	v_mov_b32_dpp v25, v24 quad_perm:[1,0,3,2] row_mask:0xf bank_mask:0xf
	v_cmp_gt_f32_e64 s[4:5], v24, v25
	v_cndmask_b32_e64 v24, v25, v24, s[4:5]
	v_mul_f32_e32 v24, 0x3b124925, v24
	s_add_i32 s4, s20, s22
	s_and_saveexec_b64 s[12:13], s[0:1]
	s_cbranch_execz .LBB153_9
; %bb.8:                                ;   in Loop: Header=BB153_4 Depth=1
	s_ashr_i32 s5, s4, 31
	s_lshl_b64 s[26:27], s[4:5], 2
	s_add_u32 s26, s18, s26
	s_addc_u32 s27, s19, s27
	global_store_dword v21, v24, s[26:27]
.LBB153_9:                              ;   in Loop: Header=BB153_4 Depth=1
	s_or_b64 exec, exec, s[12:13]
	s_and_saveexec_b64 s[12:13], s[2:3]
	s_cbranch_execz .LBB153_2
; %bb.10:                               ;   in Loop: Header=BB153_4 Depth=1
	v_rcp_f32_e32 v24, v24
	s_mul_hi_i32 s5, s4, s23
	s_mul_i32 s4, s4, s23
	s_add_u32 s4, s16, s4
	v_mov_b32_e32 v25, v24
	;;#ASMSTART
	v_pk_mul_f32 v[14:15], v[14:15], v[24:25]
	;;#ASMEND
	;;#ASMSTART
	v_med3_f32 v14, v14, v22, v23
v_med3_f32 v15, v15, v22, v23
v_cvt_pk_fp8_f32 v26, v14, v15
	;;#ASMEND
	;;#ASMSTART
	v_pk_mul_f32 v[12:13], v[12:13], v[24:25]
	;;#ASMEND
	;;#ASMSTART
	v_med3_f32 v12, v12, v22, v23
v_med3_f32 v13, v13, v22, v23
v_cvt_pk_fp8_f32 v14, v12, v13
	;;#ASMEND
	v_perm_b32 v13, v14, v26, s24
	v_and_b32_e32 v12, 0xffffff00, v14
	v_and_b32_sdwa v14, v13, s25 dst_sel:DWORD dst_unused:UNUSED_PAD src0_sel:WORD_1 src1_sel:DWORD
	v_or_b32_sdwa v12, v14, v12 dst_sel:WORD_1 dst_unused:UNUSED_PAD src0_sel:DWORD src1_sel:DWORD
	;;#ASMSTART
	v_pk_mul_f32 v[4:5], v[4:5], v[24:25]
	;;#ASMEND
	v_and_or_b32 v12, v13, s21, v12
	;;#ASMSTART
	v_med3_f32 v4, v4, v22, v23
v_med3_f32 v5, v5, v22, v23
v_cvt_pk_fp8_f32 v13, v4, v5
	;;#ASMEND
	;;#ASMSTART
	v_pk_mul_f32 v[0:1], v[0:1], v[24:25]
	;;#ASMEND
	;;#ASMSTART
	v_med3_f32 v0, v0, v22, v23
v_med3_f32 v1, v1, v22, v23
v_cvt_pk_fp8_f32 v4, v0, v1
	;;#ASMEND
	s_addc_u32 s5, s17, s5
	v_lshlrev_b32_e32 v0, 16, v4
	s_and_b32 s5, s5, 0xffff
	s_mov_b32 s7, s15
	v_and_or_b32 v13, v13, s21, v0
	buffer_store_dwordx2 v[12:13], v17, s[4:7], 0 offen
	;;#ASMSTART
	s_nop 0
	;;#ASMEND
	s_branch .LBB153_2
.LBB153_11:
	s_endpgm
	.section	.rodata,"a",@progbits
	.p2align	6, 0x0
	.amdhsa_kernel _ZN5aiter43moe_smooth_per_token_scaled_quant_kernel_v1ItDB8_Li128ELi8ELb0ELb0ELi1024EEEvPT0_PfPT_S4_PiS7_iiiii
		.amdhsa_group_segment_fixed_size 8
		.amdhsa_private_segment_fixed_size 0
		.amdhsa_kernarg_size 68
		.amdhsa_user_sgpr_count 6
		.amdhsa_user_sgpr_private_segment_buffer 1
		.amdhsa_user_sgpr_dispatch_ptr 0
		.amdhsa_user_sgpr_queue_ptr 0
		.amdhsa_user_sgpr_kernarg_segment_ptr 1
		.amdhsa_user_sgpr_dispatch_id 0
		.amdhsa_user_sgpr_flat_scratch_init 0
		.amdhsa_user_sgpr_kernarg_preload_length 0
		.amdhsa_user_sgpr_kernarg_preload_offset 0
		.amdhsa_user_sgpr_private_segment_size 0
		.amdhsa_uses_dynamic_stack 0
		.amdhsa_system_sgpr_private_segment_wavefront_offset 0
		.amdhsa_system_sgpr_workgroup_id_x 1
		.amdhsa_system_sgpr_workgroup_id_y 0
		.amdhsa_system_sgpr_workgroup_id_z 0
		.amdhsa_system_sgpr_workgroup_info 0
		.amdhsa_system_vgpr_workitem_id 0
		.amdhsa_next_free_vgpr 32
		.amdhsa_next_free_sgpr 28
		.amdhsa_accum_offset 32
		.amdhsa_reserve_vcc 1
		.amdhsa_reserve_flat_scratch 0
		.amdhsa_float_round_mode_32 0
		.amdhsa_float_round_mode_16_64 0
		.amdhsa_float_denorm_mode_32 3
		.amdhsa_float_denorm_mode_16_64 3
		.amdhsa_dx10_clamp 1
		.amdhsa_ieee_mode 1
		.amdhsa_fp16_overflow 0
		.amdhsa_tg_split 0
		.amdhsa_exception_fp_ieee_invalid_op 0
		.amdhsa_exception_fp_denorm_src 0
		.amdhsa_exception_fp_ieee_div_zero 0
		.amdhsa_exception_fp_ieee_overflow 0
		.amdhsa_exception_fp_ieee_underflow 0
		.amdhsa_exception_fp_ieee_inexact 0
		.amdhsa_exception_int_div_zero 0
	.end_amdhsa_kernel
	.section	.text._ZN5aiter43moe_smooth_per_token_scaled_quant_kernel_v1ItDB8_Li128ELi8ELb0ELb0ELi1024EEEvPT0_PfPT_S4_PiS7_iiiii,"axG",@progbits,_ZN5aiter43moe_smooth_per_token_scaled_quant_kernel_v1ItDB8_Li128ELi8ELb0ELb0ELi1024EEEvPT0_PfPT_S4_PiS7_iiiii,comdat
.Lfunc_end153:
	.size	_ZN5aiter43moe_smooth_per_token_scaled_quant_kernel_v1ItDB8_Li128ELi8ELb0ELb0ELi1024EEEvPT0_PfPT_S4_PiS7_iiiii, .Lfunc_end153-_ZN5aiter43moe_smooth_per_token_scaled_quant_kernel_v1ItDB8_Li128ELi8ELb0ELb0ELi1024EEEvPT0_PfPT_S4_PiS7_iiiii
                                        ; -- End function
	.section	.AMDGPU.csdata,"",@progbits
; Kernel info:
; codeLenInByte = 1060
; NumSgprs: 32
; NumVgprs: 32
; NumAgprs: 0
; TotalNumVgprs: 32
; ScratchSize: 0
; MemoryBound: 0
; FloatMode: 240
; IeeeMode: 1
; LDSByteSize: 8 bytes/workgroup (compile time only)
; SGPRBlocks: 3
; VGPRBlocks: 3
; NumSGPRsForWavesPerEU: 32
; NumVGPRsForWavesPerEU: 32
; AccumOffset: 32
; Occupancy: 8
; WaveLimiterHint : 0
; COMPUTE_PGM_RSRC2:SCRATCH_EN: 0
; COMPUTE_PGM_RSRC2:USER_SGPR: 6
; COMPUTE_PGM_RSRC2:TRAP_HANDLER: 0
; COMPUTE_PGM_RSRC2:TGID_X_EN: 1
; COMPUTE_PGM_RSRC2:TGID_Y_EN: 0
; COMPUTE_PGM_RSRC2:TGID_Z_EN: 0
; COMPUTE_PGM_RSRC2:TIDIG_COMP_CNT: 0
; COMPUTE_PGM_RSRC3_GFX90A:ACCUM_OFFSET: 7
; COMPUTE_PGM_RSRC3_GFX90A:TG_SPLIT: 0
	.section	.text._ZN5aiter43moe_smooth_per_token_scaled_quant_kernel_v1IDF16_DB8_Li256ELi8ELb1ELb1ELi1024EEEvPT0_PfPT_S4_PiS7_iiiii,"axG",@progbits,_ZN5aiter43moe_smooth_per_token_scaled_quant_kernel_v1IDF16_DB8_Li256ELi8ELb1ELb1ELi1024EEEvPT0_PfPT_S4_PiS7_iiiii,comdat
	.protected	_ZN5aiter43moe_smooth_per_token_scaled_quant_kernel_v1IDF16_DB8_Li256ELi8ELb1ELb1ELi1024EEEvPT0_PfPT_S4_PiS7_iiiii ; -- Begin function _ZN5aiter43moe_smooth_per_token_scaled_quant_kernel_v1IDF16_DB8_Li256ELi8ELb1ELb1ELi1024EEEvPT0_PfPT_S4_PiS7_iiiii
	.globl	_ZN5aiter43moe_smooth_per_token_scaled_quant_kernel_v1IDF16_DB8_Li256ELi8ELb1ELb1ELi1024EEEvPT0_PfPT_S4_PiS7_iiiii
	.p2align	8
	.type	_ZN5aiter43moe_smooth_per_token_scaled_quant_kernel_v1IDF16_DB8_Li256ELi8ELb1ELb1ELi1024EEEvPT0_PfPT_S4_PiS7_iiiii,@function
_ZN5aiter43moe_smooth_per_token_scaled_quant_kernel_v1IDF16_DB8_Li256ELi8ELb1ELb1ELi1024EEEvPT0_PfPT_S4_PiS7_iiiii: ; @_ZN5aiter43moe_smooth_per_token_scaled_quant_kernel_v1IDF16_DB8_Li256ELi8ELb1ELb1ELi1024EEEvPT0_PfPT_S4_PiS7_iiiii
; %bb.0:
	s_load_dword s7, s[4:5], 0x40
	s_load_dwordx8 s[8:15], s[4:5], 0x20
	s_load_dwordx2 s[16:17], s[4:5], 0x10
	v_and_b32_e32 v1, 0x3c0, v0
	v_lshlrev_b32_e32 v1, 2, v1
	v_lshlrev_b32_e32 v2, 2, v0
	s_waitcnt lgkmcnt(0)
	s_mov_b32 s0, s10
	v_readfirstlane_b32 s10, v1
	v_add_u32_e32 v3, 0x400, v1
	s_lshl_b32 s2, s7, 2
	s_and_b32 s1, s11, 0xffff
	s_mov_b32 s3, 0x20000
	;;#ASMSTART
	s_mov_b32 m0 s10
	buffer_load_dword v2, s[0:3], 0 offen offset:0 lds
	
	;;#ASMEND
	v_readfirstlane_b32 s10, v3
	v_add_u32_e32 v3, 0x400, v2
	;;#ASMSTART
	s_mov_b32 m0 s10
	buffer_load_dword v3, s[0:3], 0 offen offset:0 lds
	
	;;#ASMEND
	v_add_u32_e32 v3, 0x800, v1
	v_readfirstlane_b32 s10, v3
	v_add_u32_e32 v3, 0x800, v2
	;;#ASMSTART
	s_mov_b32 m0 s10
	buffer_load_dword v3, s[0:3], 0 offen offset:0 lds
	
	;;#ASMEND
	v_add_u32_e32 v1, 0xc00, v1
	v_readfirstlane_b32 s10, v1
	v_add_u32_e32 v1, 0xc00, v2
	;;#ASMSTART
	s_mov_b32 m0 s10
	buffer_load_dword v1, s[0:3], 0 offen offset:0 lds
	
	;;#ASMEND
	s_mul_i32 s0, s6, s13
	s_ashr_i32 s1, s0, 31
	s_lshl_b64 s[0:1], s[0:1], 2
	s_add_u32 s0, s8, s0
	v_and_b32_e32 v1, 63, v0
	s_addc_u32 s1, s9, s1
	s_lshl_b32 s2, s13, 2
	s_and_b32 s1, s1, 0xffff
	v_lshlrev_b32_e32 v2, 2, v1
	buffer_load_dword v16, v2, s[0:3], 0 offen
	s_mul_hi_i32 s1, s15, s6
	s_mul_i32 s0, s15, s6
	s_lshl_b64 s[0:1], s[0:1], 1
	s_add_u32 s0, s16, s0
	s_addc_u32 s1, s17, s1
	s_lshl_b32 s2, s14, 1
	s_and_b32 s1, s1, 0xffff
	v_lshlrev_b32_e32 v2, 4, v0
	buffer_load_dwordx4 v[2:5], v2, s[0:3], 0 offen
	v_cmp_gt_i32_e32 vcc, s13, v1
	s_waitcnt vmcnt(1)
	s_barrier
	v_cmp_gt_i32_e64 s[2:3], s7, v16
	v_cmp_lt_i32_e64 s[0:1], -1, v16
	s_and_b64 s[2:3], vcc, s[2:3]
	s_and_b64 s[2:3], s[2:3], s[0:1]
	s_and_saveexec_b64 s[0:1], s[2:3]
	s_cbranch_execz .LBB154_2
; %bb.1:
	v_lshlrev_b32_e32 v6, 2, v16
	ds_read_b32 v16, v6
.LBB154_2:
	s_or_b64 exec, exec, s[0:1]
	s_cmp_lt_i32 s13, 1
	s_cbranch_scc1 .LBB154_13
; %bb.3:
	s_add_i32 s2, s14, 7
	s_load_dwordx4 s[8:11], s[4:5], 0x0
	s_load_dwordx2 s[24:25], s[4:5], 0x18
	s_ashr_i32 s3, s2, 31
	s_add_i32 s4, s14, 3
	s_waitcnt vmcnt(0)
	v_cvt_f32_f16_sdwa v7, v2 dst_sel:DWORD dst_unused:UNUSED_PAD src0_sel:WORD_1
	v_cvt_f32_f16_e32 v6, v2
	v_cvt_f32_f16_sdwa v9, v3 dst_sel:DWORD dst_unused:UNUSED_PAD src0_sel:WORD_1
	v_cvt_f32_f16_e32 v8, v3
	;; [unrolled: 2-line block ×4, first 2 shown]
	s_lshr_b32 s3, s3, 29
	s_ashr_i32 s5, s4, 31
	v_cmp_eq_u32_e32 vcc, 63, v1
	v_lshrrev_b32_e32 v1, 4, v0
	v_mov_b32_e32 v4, 0x1000
	s_add_i32 s2, s2, s3
	s_lshr_b32 s5, s5, 30
	v_and_or_b32 v19, v1, 60, v4
	v_and_b32_e32 v1, 3, v0
	s_ashr_i32 s2, s2, 3
	s_add_i32 s4, s4, s5
	v_lshlrev_b32_e32 v17, 3, v0
	s_lshl_b32 s18, s14, 2
	v_lshlrev_b32_e32 v18, 5, v0
	v_lshl_or_b32 v20, v1, 2, v4
	s_mov_b32 s15, 0
	v_cmp_eq_u32_e64 s[0:1], 0, v0
	v_cmp_gt_u32_e64 s[2:3], s2, v0
	s_and_b32 s22, s4, -4
	s_mov_b32 s26, 0xffff
	s_mov_b32 s19, 0x20000
	;; [unrolled: 1-line block ×3, first 2 shown]
	v_mov_b32_e32 v21, 0
	v_mov_b32_e32 v22, 0xc3e00000
	;; [unrolled: 1-line block ×3, first 2 shown]
	s_mov_b32 s28, 0x5040100
	s_movk_i32 s29, 0xff
	s_branch .LBB154_6
.LBB154_4:                              ;   in Loop: Header=BB154_6 Depth=1
	s_or_b64 exec, exec, s[4:5]
.LBB154_5:                              ;   in Loop: Header=BB154_6 Depth=1
	s_add_i32 s15, s15, 1
	s_add_i32 s6, s6, s12
	s_cmp_eq_u32 s13, s15
	s_cbranch_scc1 .LBB154_13
.LBB154_6:                              ; =>This Inner Loop Header: Depth=1
	s_waitcnt lgkmcnt(0)
	v_readlane_b32 s4, v16, s15
	s_cmp_lt_i32 s4, 0
	s_cbranch_scc1 .LBB154_5
; %bb.7:                                ;   in Loop: Header=BB154_6 Depth=1
	s_mul_i32 s4, s4, s14
	s_ashr_i32 s5, s4, 31
	s_lshl_b64 s[4:5], s[4:5], 2
	s_add_u32 s16, s24, s4
	s_addc_u32 s4, s25, s5
	s_and_b32 s17, s4, 0xffff
	buffer_load_dwordx4 v[24:27], v18, s[16:19], 0 offen
	buffer_load_dwordx4 v[28:31], v18, s[16:19], 16 offen
	s_waitcnt vmcnt(1)
	v_pk_mul_f32 v[14:15], v[24:25], v[6:7]
	v_pk_mul_f32 v[12:13], v[26:27], v[8:9]
	v_max3_f32 v24, |v14|, s27, |v15|
	s_waitcnt vmcnt(0)
	v_pk_mul_f32 v[4:5], v[28:29], v[2:3]
	v_max3_f32 v24, v24, |v12|, |v13|
	v_pk_mul_f32 v[0:1], v[30:31], v[10:11]
	v_max3_f32 v24, v24, |v4|, |v5|
	v_max3_f32 v24, v24, |v0|, |v1|
	s_nop 1
	v_mov_b32_dpp v25, v24 quad_perm:[1,0,3,2] row_mask:0xf bank_mask:0xf
	v_cmp_gt_f32_e64 s[4:5], v24, v25
	v_cndmask_b32_e64 v24, v25, v24, s[4:5]
	s_nop 1
	v_mov_b32_dpp v25, v24 quad_perm:[2,3,0,1] row_mask:0xf bank_mask:0xf
	v_cmp_gt_f32_e64 s[4:5], v24, v25
	v_cndmask_b32_e64 v24, v25, v24, s[4:5]
	s_nop 1
	v_mov_b32_dpp v25, v24 row_half_mirror row_mask:0xf bank_mask:0xf
	v_cmp_gt_f32_e64 s[4:5], v24, v25
	v_cndmask_b32_e64 v24, v25, v24, s[4:5]
	s_nop 1
	v_mov_b32_dpp v25, v24 row_mirror row_mask:0xf bank_mask:0xf
	v_cmp_gt_f32_e64 s[4:5], v24, v25
	v_cndmask_b32_e64 v24, v25, v24, s[4:5]
	s_nop 1
	v_mov_b32_dpp v25, v24 row_bcast:15 row_mask:0xf bank_mask:0xf
	v_cmp_gt_f32_e64 s[4:5], v24, v25
	v_cndmask_b32_e64 v24, v25, v24, s[4:5]
	s_nop 1
	v_mov_b32_dpp v25, v24 row_bcast:31 row_mask:0xf bank_mask:0xf
	s_and_saveexec_b64 s[16:17], vcc
	s_cbranch_execz .LBB154_9
; %bb.8:                                ;   in Loop: Header=BB154_6 Depth=1
	v_cmp_gt_f32_e64 s[4:5], v24, v25
	v_cndmask_b32_e64 v24, v25, v24, s[4:5]
	ds_write_b32 v19, v24
.LBB154_9:                              ;   in Loop: Header=BB154_6 Depth=1
	s_or_b64 exec, exec, s[16:17]
	s_waitcnt lgkmcnt(0)
	s_barrier
	ds_read_b32 v24, v20
	s_waitcnt lgkmcnt(0)
	s_nop 0
	v_mov_b32_dpp v25, v24 quad_perm:[1,0,3,2] row_mask:0xf bank_mask:0xf
	v_cmp_gt_f32_e64 s[4:5], v24, v25
	v_cndmask_b32_e64 v24, v25, v24, s[4:5]
	s_nop 1
	v_mov_b32_dpp v25, v24 quad_perm:[2,3,0,1] row_mask:0xf bank_mask:0xf
	v_cmp_gt_f32_e64 s[4:5], v24, v25
	v_cndmask_b32_e64 v24, v25, v24, s[4:5]
	v_mul_f32_e32 v24, 0x3b124925, v24
	s_and_saveexec_b64 s[4:5], s[0:1]
	s_cbranch_execz .LBB154_11
; %bb.10:                               ;   in Loop: Header=BB154_6 Depth=1
	s_ashr_i32 s7, s6, 31
	s_lshl_b64 s[16:17], s[6:7], 2
	s_add_u32 s16, s10, s16
	s_addc_u32 s17, s11, s17
	global_store_dword v21, v24, s[16:17]
.LBB154_11:                             ;   in Loop: Header=BB154_6 Depth=1
	s_or_b64 exec, exec, s[4:5]
	s_and_saveexec_b64 s[4:5], s[2:3]
	s_cbranch_execz .LBB154_4
; %bb.12:                               ;   in Loop: Header=BB154_6 Depth=1
	v_rcp_f32_e32 v24, v24
	s_mul_i32 s16, s6, s14
	s_mul_hi_i32 s7, s6, s14
	s_add_u32 s20, s8, s16
	v_mov_b32_e32 v25, v24
	;;#ASMSTART
	v_pk_mul_f32 v[14:15], v[14:15], v[24:25]
	;;#ASMEND
	;;#ASMSTART
	v_med3_f32 v14, v14, v22, v23
v_med3_f32 v15, v15, v22, v23
v_cvt_pk_fp8_f32 v26, v14, v15
	;;#ASMEND
	;;#ASMSTART
	v_pk_mul_f32 v[12:13], v[12:13], v[24:25]
	;;#ASMEND
	;;#ASMSTART
	v_med3_f32 v12, v12, v22, v23
v_med3_f32 v13, v13, v22, v23
v_cvt_pk_fp8_f32 v14, v12, v13
	;;#ASMEND
	v_perm_b32 v13, v14, v26, s28
	v_and_b32_e32 v12, 0xffffff00, v14
	v_and_b32_sdwa v14, v13, s29 dst_sel:DWORD dst_unused:UNUSED_PAD src0_sel:WORD_1 src1_sel:DWORD
	v_or_b32_sdwa v12, v14, v12 dst_sel:WORD_1 dst_unused:UNUSED_PAD src0_sel:DWORD src1_sel:DWORD
	;;#ASMSTART
	v_pk_mul_f32 v[4:5], v[4:5], v[24:25]
	;;#ASMEND
	v_and_or_b32 v12, v13, s26, v12
	;;#ASMSTART
	v_med3_f32 v4, v4, v22, v23
v_med3_f32 v5, v5, v22, v23
v_cvt_pk_fp8_f32 v13, v4, v5
	;;#ASMEND
	;;#ASMSTART
	v_pk_mul_f32 v[0:1], v[0:1], v[24:25]
	;;#ASMEND
	;;#ASMSTART
	v_med3_f32 v0, v0, v22, v23
v_med3_f32 v1, v1, v22, v23
v_cvt_pk_fp8_f32 v4, v0, v1
	;;#ASMEND
	s_addc_u32 s7, s9, s7
	v_lshlrev_b32_e32 v0, 16, v4
	s_and_b32 s21, s7, 0xffff
	s_mov_b32 s23, s19
	v_and_or_b32 v13, v13, s26, v0
	buffer_store_dwordx2 v[12:13], v17, s[20:23], 0 offen
	;;#ASMSTART
	s_nop 0
	;;#ASMEND
	s_branch .LBB154_4
.LBB154_13:
	s_endpgm
	.section	.rodata,"a",@progbits
	.p2align	6, 0x0
	.amdhsa_kernel _ZN5aiter43moe_smooth_per_token_scaled_quant_kernel_v1IDF16_DB8_Li256ELi8ELb1ELb1ELi1024EEEvPT0_PfPT_S4_PiS7_iiiii
		.amdhsa_group_segment_fixed_size 4112
		.amdhsa_private_segment_fixed_size 0
		.amdhsa_kernarg_size 68
		.amdhsa_user_sgpr_count 6
		.amdhsa_user_sgpr_private_segment_buffer 1
		.amdhsa_user_sgpr_dispatch_ptr 0
		.amdhsa_user_sgpr_queue_ptr 0
		.amdhsa_user_sgpr_kernarg_segment_ptr 1
		.amdhsa_user_sgpr_dispatch_id 0
		.amdhsa_user_sgpr_flat_scratch_init 0
		.amdhsa_user_sgpr_kernarg_preload_length 0
		.amdhsa_user_sgpr_kernarg_preload_offset 0
		.amdhsa_user_sgpr_private_segment_size 0
		.amdhsa_uses_dynamic_stack 0
		.amdhsa_system_sgpr_private_segment_wavefront_offset 0
		.amdhsa_system_sgpr_workgroup_id_x 1
		.amdhsa_system_sgpr_workgroup_id_y 0
		.amdhsa_system_sgpr_workgroup_id_z 0
		.amdhsa_system_sgpr_workgroup_info 0
		.amdhsa_system_vgpr_workitem_id 0
		.amdhsa_next_free_vgpr 32
		.amdhsa_next_free_sgpr 30
		.amdhsa_accum_offset 32
		.amdhsa_reserve_vcc 1
		.amdhsa_reserve_flat_scratch 0
		.amdhsa_float_round_mode_32 0
		.amdhsa_float_round_mode_16_64 0
		.amdhsa_float_denorm_mode_32 3
		.amdhsa_float_denorm_mode_16_64 3
		.amdhsa_dx10_clamp 1
		.amdhsa_ieee_mode 1
		.amdhsa_fp16_overflow 0
		.amdhsa_tg_split 0
		.amdhsa_exception_fp_ieee_invalid_op 0
		.amdhsa_exception_fp_denorm_src 0
		.amdhsa_exception_fp_ieee_div_zero 0
		.amdhsa_exception_fp_ieee_overflow 0
		.amdhsa_exception_fp_ieee_underflow 0
		.amdhsa_exception_fp_ieee_inexact 0
		.amdhsa_exception_int_div_zero 0
	.end_amdhsa_kernel
	.section	.text._ZN5aiter43moe_smooth_per_token_scaled_quant_kernel_v1IDF16_DB8_Li256ELi8ELb1ELb1ELi1024EEEvPT0_PfPT_S4_PiS7_iiiii,"axG",@progbits,_ZN5aiter43moe_smooth_per_token_scaled_quant_kernel_v1IDF16_DB8_Li256ELi8ELb1ELb1ELi1024EEEvPT0_PfPT_S4_PiS7_iiiii,comdat
.Lfunc_end154:
	.size	_ZN5aiter43moe_smooth_per_token_scaled_quant_kernel_v1IDF16_DB8_Li256ELi8ELb1ELb1ELi1024EEEvPT0_PfPT_S4_PiS7_iiiii, .Lfunc_end154-_ZN5aiter43moe_smooth_per_token_scaled_quant_kernel_v1IDF16_DB8_Li256ELi8ELb1ELb1ELi1024EEEvPT0_PfPT_S4_PiS7_iiiii
                                        ; -- End function
	.section	.AMDGPU.csdata,"",@progbits
; Kernel info:
; codeLenInByte = 1304
; NumSgprs: 34
; NumVgprs: 32
; NumAgprs: 0
; TotalNumVgprs: 32
; ScratchSize: 0
; MemoryBound: 0
; FloatMode: 240
; IeeeMode: 1
; LDSByteSize: 4112 bytes/workgroup (compile time only)
; SGPRBlocks: 4
; VGPRBlocks: 3
; NumSGPRsForWavesPerEU: 34
; NumVGPRsForWavesPerEU: 32
; AccumOffset: 32
; Occupancy: 8
; WaveLimiterHint : 0
; COMPUTE_PGM_RSRC2:SCRATCH_EN: 0
; COMPUTE_PGM_RSRC2:USER_SGPR: 6
; COMPUTE_PGM_RSRC2:TRAP_HANDLER: 0
; COMPUTE_PGM_RSRC2:TGID_X_EN: 1
; COMPUTE_PGM_RSRC2:TGID_Y_EN: 0
; COMPUTE_PGM_RSRC2:TGID_Z_EN: 0
; COMPUTE_PGM_RSRC2:TIDIG_COMP_CNT: 0
; COMPUTE_PGM_RSRC3_GFX90A:ACCUM_OFFSET: 7
; COMPUTE_PGM_RSRC3_GFX90A:TG_SPLIT: 0
	.section	.text._ZN5aiter43moe_smooth_per_token_scaled_quant_kernel_v1ItDB8_Li256ELi8ELb1ELb1ELi1024EEEvPT0_PfPT_S4_PiS7_iiiii,"axG",@progbits,_ZN5aiter43moe_smooth_per_token_scaled_quant_kernel_v1ItDB8_Li256ELi8ELb1ELb1ELi1024EEEvPT0_PfPT_S4_PiS7_iiiii,comdat
	.protected	_ZN5aiter43moe_smooth_per_token_scaled_quant_kernel_v1ItDB8_Li256ELi8ELb1ELb1ELi1024EEEvPT0_PfPT_S4_PiS7_iiiii ; -- Begin function _ZN5aiter43moe_smooth_per_token_scaled_quant_kernel_v1ItDB8_Li256ELi8ELb1ELb1ELi1024EEEvPT0_PfPT_S4_PiS7_iiiii
	.globl	_ZN5aiter43moe_smooth_per_token_scaled_quant_kernel_v1ItDB8_Li256ELi8ELb1ELb1ELi1024EEEvPT0_PfPT_S4_PiS7_iiiii
	.p2align	8
	.type	_ZN5aiter43moe_smooth_per_token_scaled_quant_kernel_v1ItDB8_Li256ELi8ELb1ELb1ELi1024EEEvPT0_PfPT_S4_PiS7_iiiii,@function
_ZN5aiter43moe_smooth_per_token_scaled_quant_kernel_v1ItDB8_Li256ELi8ELb1ELb1ELi1024EEEvPT0_PfPT_S4_PiS7_iiiii: ; @_ZN5aiter43moe_smooth_per_token_scaled_quant_kernel_v1ItDB8_Li256ELi8ELb1ELb1ELi1024EEEvPT0_PfPT_S4_PiS7_iiiii
; %bb.0:
	s_load_dword s7, s[4:5], 0x40
	s_load_dwordx8 s[8:15], s[4:5], 0x20
	s_load_dwordx2 s[16:17], s[4:5], 0x10
	v_and_b32_e32 v1, 0x3c0, v0
	v_lshlrev_b32_e32 v1, 2, v1
	v_lshlrev_b32_e32 v2, 2, v0
	s_waitcnt lgkmcnt(0)
	s_mov_b32 s0, s10
	v_readfirstlane_b32 s10, v1
	v_add_u32_e32 v3, 0x400, v1
	s_lshl_b32 s2, s7, 2
	s_and_b32 s1, s11, 0xffff
	s_mov_b32 s3, 0x20000
	;;#ASMSTART
	s_mov_b32 m0 s10
	buffer_load_dword v2, s[0:3], 0 offen offset:0 lds
	
	;;#ASMEND
	v_readfirstlane_b32 s10, v3
	v_add_u32_e32 v3, 0x400, v2
	;;#ASMSTART
	s_mov_b32 m0 s10
	buffer_load_dword v3, s[0:3], 0 offen offset:0 lds
	
	;;#ASMEND
	v_add_u32_e32 v3, 0x800, v1
	v_readfirstlane_b32 s10, v3
	v_add_u32_e32 v3, 0x800, v2
	;;#ASMSTART
	s_mov_b32 m0 s10
	buffer_load_dword v3, s[0:3], 0 offen offset:0 lds
	
	;;#ASMEND
	v_add_u32_e32 v1, 0xc00, v1
	v_readfirstlane_b32 s10, v1
	v_add_u32_e32 v1, 0xc00, v2
	;;#ASMSTART
	s_mov_b32 m0 s10
	buffer_load_dword v1, s[0:3], 0 offen offset:0 lds
	
	;;#ASMEND
	s_mul_i32 s0, s6, s13
	s_ashr_i32 s1, s0, 31
	s_lshl_b64 s[0:1], s[0:1], 2
	s_add_u32 s0, s8, s0
	v_and_b32_e32 v1, 63, v0
	s_addc_u32 s1, s9, s1
	s_lshl_b32 s2, s13, 2
	s_and_b32 s1, s1, 0xffff
	v_lshlrev_b32_e32 v2, 2, v1
	buffer_load_dword v16, v2, s[0:3], 0 offen
	s_mul_hi_i32 s1, s15, s6
	s_mul_i32 s0, s15, s6
	s_lshl_b64 s[0:1], s[0:1], 1
	s_add_u32 s0, s16, s0
	s_addc_u32 s1, s17, s1
	s_lshl_b32 s2, s14, 1
	s_and_b32 s1, s1, 0xffff
	v_lshlrev_b32_e32 v2, 4, v0
	buffer_load_dwordx4 v[2:5], v2, s[0:3], 0 offen
	v_cmp_gt_i32_e32 vcc, s13, v1
	s_waitcnt vmcnt(1)
	s_barrier
	v_cmp_gt_i32_e64 s[2:3], s7, v16
	v_cmp_lt_i32_e64 s[0:1], -1, v16
	s_and_b64 s[2:3], vcc, s[2:3]
	s_and_b64 s[2:3], s[2:3], s[0:1]
	s_and_saveexec_b64 s[0:1], s[2:3]
	s_cbranch_execz .LBB155_2
; %bb.1:
	v_lshlrev_b32_e32 v6, 2, v16
	ds_read_b32 v16, v6
.LBB155_2:
	s_or_b64 exec, exec, s[0:1]
	s_cmp_lt_i32 s13, 1
	s_cbranch_scc1 .LBB155_13
; %bb.3:
	s_add_i32 s2, s14, 7
	s_load_dwordx4 s[8:11], s[4:5], 0x0
	s_load_dwordx2 s[24:25], s[4:5], 0x18
	s_ashr_i32 s3, s2, 31
	s_add_i32 s4, s14, 3
	s_waitcnt vmcnt(0)
	v_cvt_f32_u32_sdwa v7, v2 dst_sel:DWORD dst_unused:UNUSED_PAD src0_sel:WORD_1
	v_cvt_f32_u32_sdwa v6, v2 dst_sel:DWORD dst_unused:UNUSED_PAD src0_sel:WORD_0
	v_cvt_f32_u32_sdwa v9, v3 dst_sel:DWORD dst_unused:UNUSED_PAD src0_sel:WORD_1
	v_cvt_f32_u32_sdwa v8, v3 dst_sel:DWORD dst_unused:UNUSED_PAD src0_sel:WORD_0
	;; [unrolled: 2-line block ×4, first 2 shown]
	s_lshr_b32 s3, s3, 29
	s_ashr_i32 s5, s4, 31
	v_cmp_eq_u32_e32 vcc, 63, v1
	v_lshrrev_b32_e32 v1, 4, v0
	v_mov_b32_e32 v4, 0x1000
	s_add_i32 s2, s2, s3
	s_lshr_b32 s5, s5, 30
	v_and_or_b32 v19, v1, 60, v4
	v_and_b32_e32 v1, 3, v0
	s_ashr_i32 s2, s2, 3
	s_add_i32 s4, s4, s5
	s_mov_b32 s15, 0xffff
	v_lshlrev_b32_e32 v17, 3, v0
	s_lshl_b32 s18, s14, 2
	v_lshlrev_b32_e32 v18, 5, v0
	v_lshl_or_b32 v20, v1, 2, v4
	s_mov_b32 s26, 0
	v_cmp_eq_u32_e64 s[0:1], 0, v0
	v_cmp_gt_u32_e64 s[2:3], s2, v0
	s_and_b32 s22, s4, -4
	s_mov_b32 s19, 0x20000
	s_mov_b32 s27, 0x2edbe6ff
	v_mov_b32_e32 v21, 0
	v_mov_b32_e32 v22, 0xc3e00000
	;; [unrolled: 1-line block ×3, first 2 shown]
	s_mov_b32 s28, 0x5040100
	s_movk_i32 s29, 0xff
	s_branch .LBB155_6
.LBB155_4:                              ;   in Loop: Header=BB155_6 Depth=1
	s_or_b64 exec, exec, s[4:5]
.LBB155_5:                              ;   in Loop: Header=BB155_6 Depth=1
	s_add_i32 s26, s26, 1
	s_add_i32 s6, s6, s12
	s_cmp_eq_u32 s13, s26
	s_cbranch_scc1 .LBB155_13
.LBB155_6:                              ; =>This Inner Loop Header: Depth=1
	s_waitcnt lgkmcnt(0)
	v_readlane_b32 s4, v16, s26
	s_cmp_lt_i32 s4, 0
	s_cbranch_scc1 .LBB155_5
; %bb.7:                                ;   in Loop: Header=BB155_6 Depth=1
	s_mul_i32 s4, s4, s14
	s_ashr_i32 s5, s4, 31
	s_lshl_b64 s[4:5], s[4:5], 2
	s_add_u32 s16, s24, s4
	s_addc_u32 s4, s25, s5
	s_and_b32 s17, s4, 0xffff
	buffer_load_dwordx4 v[24:27], v18, s[16:19], 0 offen
	buffer_load_dwordx4 v[28:31], v18, s[16:19], 16 offen
	s_waitcnt vmcnt(1)
	v_pk_mul_f32 v[14:15], v[24:25], v[6:7]
	v_pk_mul_f32 v[12:13], v[26:27], v[8:9]
	v_max3_f32 v24, |v14|, s27, |v15|
	s_waitcnt vmcnt(0)
	v_pk_mul_f32 v[4:5], v[28:29], v[2:3]
	v_max3_f32 v24, v24, |v12|, |v13|
	v_pk_mul_f32 v[0:1], v[30:31], v[10:11]
	v_max3_f32 v24, v24, |v4|, |v5|
	v_max3_f32 v24, v24, |v0|, |v1|
	s_nop 1
	v_mov_b32_dpp v25, v24 quad_perm:[1,0,3,2] row_mask:0xf bank_mask:0xf
	v_cmp_gt_f32_e64 s[4:5], v24, v25
	v_cndmask_b32_e64 v24, v25, v24, s[4:5]
	s_nop 1
	v_mov_b32_dpp v25, v24 quad_perm:[2,3,0,1] row_mask:0xf bank_mask:0xf
	v_cmp_gt_f32_e64 s[4:5], v24, v25
	v_cndmask_b32_e64 v24, v25, v24, s[4:5]
	s_nop 1
	v_mov_b32_dpp v25, v24 row_half_mirror row_mask:0xf bank_mask:0xf
	v_cmp_gt_f32_e64 s[4:5], v24, v25
	v_cndmask_b32_e64 v24, v25, v24, s[4:5]
	s_nop 1
	v_mov_b32_dpp v25, v24 row_mirror row_mask:0xf bank_mask:0xf
	v_cmp_gt_f32_e64 s[4:5], v24, v25
	v_cndmask_b32_e64 v24, v25, v24, s[4:5]
	s_nop 1
	v_mov_b32_dpp v25, v24 row_bcast:15 row_mask:0xf bank_mask:0xf
	v_cmp_gt_f32_e64 s[4:5], v24, v25
	v_cndmask_b32_e64 v24, v25, v24, s[4:5]
	s_nop 1
	v_mov_b32_dpp v25, v24 row_bcast:31 row_mask:0xf bank_mask:0xf
	s_and_saveexec_b64 s[16:17], vcc
	s_cbranch_execz .LBB155_9
; %bb.8:                                ;   in Loop: Header=BB155_6 Depth=1
	v_cmp_gt_f32_e64 s[4:5], v24, v25
	v_cndmask_b32_e64 v24, v25, v24, s[4:5]
	ds_write_b32 v19, v24
.LBB155_9:                              ;   in Loop: Header=BB155_6 Depth=1
	s_or_b64 exec, exec, s[16:17]
	s_waitcnt lgkmcnt(0)
	s_barrier
	ds_read_b32 v24, v20
	s_waitcnt lgkmcnt(0)
	s_nop 0
	v_mov_b32_dpp v25, v24 quad_perm:[1,0,3,2] row_mask:0xf bank_mask:0xf
	v_cmp_gt_f32_e64 s[4:5], v24, v25
	v_cndmask_b32_e64 v24, v25, v24, s[4:5]
	s_nop 1
	v_mov_b32_dpp v25, v24 quad_perm:[2,3,0,1] row_mask:0xf bank_mask:0xf
	v_cmp_gt_f32_e64 s[4:5], v24, v25
	v_cndmask_b32_e64 v24, v25, v24, s[4:5]
	v_mul_f32_e32 v24, 0x3b124925, v24
	s_and_saveexec_b64 s[4:5], s[0:1]
	s_cbranch_execz .LBB155_11
; %bb.10:                               ;   in Loop: Header=BB155_6 Depth=1
	s_ashr_i32 s7, s6, 31
	s_lshl_b64 s[16:17], s[6:7], 2
	s_add_u32 s16, s10, s16
	s_addc_u32 s17, s11, s17
	global_store_dword v21, v24, s[16:17]
.LBB155_11:                             ;   in Loop: Header=BB155_6 Depth=1
	s_or_b64 exec, exec, s[4:5]
	s_and_saveexec_b64 s[4:5], s[2:3]
	s_cbranch_execz .LBB155_4
; %bb.12:                               ;   in Loop: Header=BB155_6 Depth=1
	v_rcp_f32_e32 v24, v24
	s_mul_i32 s16, s6, s14
	s_mul_hi_i32 s7, s6, s14
	s_add_u32 s20, s8, s16
	v_mov_b32_e32 v25, v24
	;;#ASMSTART
	v_pk_mul_f32 v[14:15], v[14:15], v[24:25]
	;;#ASMEND
	;;#ASMSTART
	v_med3_f32 v14, v14, v22, v23
v_med3_f32 v15, v15, v22, v23
v_cvt_pk_fp8_f32 v26, v14, v15
	;;#ASMEND
	;;#ASMSTART
	v_pk_mul_f32 v[12:13], v[12:13], v[24:25]
	;;#ASMEND
	;;#ASMSTART
	v_med3_f32 v12, v12, v22, v23
v_med3_f32 v13, v13, v22, v23
v_cvt_pk_fp8_f32 v14, v12, v13
	;;#ASMEND
	v_perm_b32 v13, v14, v26, s28
	v_and_b32_e32 v12, 0xffffff00, v14
	v_and_b32_sdwa v14, v13, s29 dst_sel:DWORD dst_unused:UNUSED_PAD src0_sel:WORD_1 src1_sel:DWORD
	v_or_b32_sdwa v12, v14, v12 dst_sel:WORD_1 dst_unused:UNUSED_PAD src0_sel:DWORD src1_sel:DWORD
	;;#ASMSTART
	v_pk_mul_f32 v[4:5], v[4:5], v[24:25]
	;;#ASMEND
	v_and_or_b32 v12, v13, s15, v12
	;;#ASMSTART
	v_med3_f32 v4, v4, v22, v23
v_med3_f32 v5, v5, v22, v23
v_cvt_pk_fp8_f32 v13, v4, v5
	;;#ASMEND
	;;#ASMSTART
	v_pk_mul_f32 v[0:1], v[0:1], v[24:25]
	;;#ASMEND
	;;#ASMSTART
	v_med3_f32 v0, v0, v22, v23
v_med3_f32 v1, v1, v22, v23
v_cvt_pk_fp8_f32 v4, v0, v1
	;;#ASMEND
	s_addc_u32 s7, s9, s7
	v_lshlrev_b32_e32 v0, 16, v4
	s_and_b32 s21, s7, 0xffff
	s_mov_b32 s23, s19
	v_and_or_b32 v13, v13, s15, v0
	buffer_store_dwordx2 v[12:13], v17, s[20:23], 0 offen
	;;#ASMSTART
	s_nop 0
	;;#ASMEND
	s_branch .LBB155_4
.LBB155_13:
	s_endpgm
	.section	.rodata,"a",@progbits
	.p2align	6, 0x0
	.amdhsa_kernel _ZN5aiter43moe_smooth_per_token_scaled_quant_kernel_v1ItDB8_Li256ELi8ELb1ELb1ELi1024EEEvPT0_PfPT_S4_PiS7_iiiii
		.amdhsa_group_segment_fixed_size 4112
		.amdhsa_private_segment_fixed_size 0
		.amdhsa_kernarg_size 68
		.amdhsa_user_sgpr_count 6
		.amdhsa_user_sgpr_private_segment_buffer 1
		.amdhsa_user_sgpr_dispatch_ptr 0
		.amdhsa_user_sgpr_queue_ptr 0
		.amdhsa_user_sgpr_kernarg_segment_ptr 1
		.amdhsa_user_sgpr_dispatch_id 0
		.amdhsa_user_sgpr_flat_scratch_init 0
		.amdhsa_user_sgpr_kernarg_preload_length 0
		.amdhsa_user_sgpr_kernarg_preload_offset 0
		.amdhsa_user_sgpr_private_segment_size 0
		.amdhsa_uses_dynamic_stack 0
		.amdhsa_system_sgpr_private_segment_wavefront_offset 0
		.amdhsa_system_sgpr_workgroup_id_x 1
		.amdhsa_system_sgpr_workgroup_id_y 0
		.amdhsa_system_sgpr_workgroup_id_z 0
		.amdhsa_system_sgpr_workgroup_info 0
		.amdhsa_system_vgpr_workitem_id 0
		.amdhsa_next_free_vgpr 32
		.amdhsa_next_free_sgpr 30
		.amdhsa_accum_offset 32
		.amdhsa_reserve_vcc 1
		.amdhsa_reserve_flat_scratch 0
		.amdhsa_float_round_mode_32 0
		.amdhsa_float_round_mode_16_64 0
		.amdhsa_float_denorm_mode_32 3
		.amdhsa_float_denorm_mode_16_64 3
		.amdhsa_dx10_clamp 1
		.amdhsa_ieee_mode 1
		.amdhsa_fp16_overflow 0
		.amdhsa_tg_split 0
		.amdhsa_exception_fp_ieee_invalid_op 0
		.amdhsa_exception_fp_denorm_src 0
		.amdhsa_exception_fp_ieee_div_zero 0
		.amdhsa_exception_fp_ieee_overflow 0
		.amdhsa_exception_fp_ieee_underflow 0
		.amdhsa_exception_fp_ieee_inexact 0
		.amdhsa_exception_int_div_zero 0
	.end_amdhsa_kernel
	.section	.text._ZN5aiter43moe_smooth_per_token_scaled_quant_kernel_v1ItDB8_Li256ELi8ELb1ELb1ELi1024EEEvPT0_PfPT_S4_PiS7_iiiii,"axG",@progbits,_ZN5aiter43moe_smooth_per_token_scaled_quant_kernel_v1ItDB8_Li256ELi8ELb1ELb1ELi1024EEEvPT0_PfPT_S4_PiS7_iiiii,comdat
.Lfunc_end155:
	.size	_ZN5aiter43moe_smooth_per_token_scaled_quant_kernel_v1ItDB8_Li256ELi8ELb1ELb1ELi1024EEEvPT0_PfPT_S4_PiS7_iiiii, .Lfunc_end155-_ZN5aiter43moe_smooth_per_token_scaled_quant_kernel_v1ItDB8_Li256ELi8ELb1ELb1ELi1024EEEvPT0_PfPT_S4_PiS7_iiiii
                                        ; -- End function
	.section	.AMDGPU.csdata,"",@progbits
; Kernel info:
; codeLenInByte = 1320
; NumSgprs: 34
; NumVgprs: 32
; NumAgprs: 0
; TotalNumVgprs: 32
; ScratchSize: 0
; MemoryBound: 0
; FloatMode: 240
; IeeeMode: 1
; LDSByteSize: 4112 bytes/workgroup (compile time only)
; SGPRBlocks: 4
; VGPRBlocks: 3
; NumSGPRsForWavesPerEU: 34
; NumVGPRsForWavesPerEU: 32
; AccumOffset: 32
; Occupancy: 8
; WaveLimiterHint : 0
; COMPUTE_PGM_RSRC2:SCRATCH_EN: 0
; COMPUTE_PGM_RSRC2:USER_SGPR: 6
; COMPUTE_PGM_RSRC2:TRAP_HANDLER: 0
; COMPUTE_PGM_RSRC2:TGID_X_EN: 1
; COMPUTE_PGM_RSRC2:TGID_Y_EN: 0
; COMPUTE_PGM_RSRC2:TGID_Z_EN: 0
; COMPUTE_PGM_RSRC2:TIDIG_COMP_CNT: 0
; COMPUTE_PGM_RSRC3_GFX90A:ACCUM_OFFSET: 7
; COMPUTE_PGM_RSRC3_GFX90A:TG_SPLIT: 0
	.section	.text._ZN5aiter43moe_smooth_per_token_scaled_quant_kernel_v1IDF16_DB8_Li256ELi8ELb1ELb0ELi1024EEEvPT0_PfPT_S4_PiS7_iiiii,"axG",@progbits,_ZN5aiter43moe_smooth_per_token_scaled_quant_kernel_v1IDF16_DB8_Li256ELi8ELb1ELb0ELi1024EEEvPT0_PfPT_S4_PiS7_iiiii,comdat
	.protected	_ZN5aiter43moe_smooth_per_token_scaled_quant_kernel_v1IDF16_DB8_Li256ELi8ELb1ELb0ELi1024EEEvPT0_PfPT_S4_PiS7_iiiii ; -- Begin function _ZN5aiter43moe_smooth_per_token_scaled_quant_kernel_v1IDF16_DB8_Li256ELi8ELb1ELb0ELi1024EEEvPT0_PfPT_S4_PiS7_iiiii
	.globl	_ZN5aiter43moe_smooth_per_token_scaled_quant_kernel_v1IDF16_DB8_Li256ELi8ELb1ELb0ELi1024EEEvPT0_PfPT_S4_PiS7_iiiii
	.p2align	8
	.type	_ZN5aiter43moe_smooth_per_token_scaled_quant_kernel_v1IDF16_DB8_Li256ELi8ELb1ELb0ELi1024EEEvPT0_PfPT_S4_PiS7_iiiii,@function
_ZN5aiter43moe_smooth_per_token_scaled_quant_kernel_v1IDF16_DB8_Li256ELi8ELb1ELb0ELi1024EEEvPT0_PfPT_S4_PiS7_iiiii: ; @_ZN5aiter43moe_smooth_per_token_scaled_quant_kernel_v1IDF16_DB8_Li256ELi8ELb1ELb0ELi1024EEEvPT0_PfPT_S4_PiS7_iiiii
; %bb.0:
	s_load_dwordx4 s[8:11], s[4:5], 0x30
	s_load_dwordx2 s[0:1], s[4:5], 0x10
	s_load_dwordx2 s[2:3], s[4:5], 0x20
	v_and_b32_e32 v1, 63, v0
	s_mov_b32 s15, 0x20000
	s_waitcnt lgkmcnt(0)
	s_mul_i32 s12, s6, s9
	s_ashr_i32 s13, s12, 31
	s_lshl_b64 s[12:13], s[12:13], 2
	s_add_u32 s12, s2, s12
	s_addc_u32 s2, s3, s13
	s_and_b32 s13, s2, 0xffff
	s_mul_hi_i32 s3, s11, s6
	s_mul_i32 s2, s11, s6
	s_lshl_b32 s14, s9, 2
	v_lshlrev_b32_e32 v2, 2, v1
	s_lshl_b64 s[2:3], s[2:3], 1
	buffer_load_dword v16, v2, s[12:15], 0 offen
	s_add_u32 s12, s0, s2
	s_addc_u32 s0, s1, s3
	s_lshl_b32 s14, s10, 1
	s_and_b32 s13, s0, 0xffff
	v_lshlrev_b32_e32 v2, 4, v0
	buffer_load_dwordx4 v[2:5], v2, s[12:15], 0 offen
	s_mov_b32 s11, 0xffff
	s_mov_b32 s26, 0
	s_cmp_lt_i32 s9, 1
	s_waitcnt vmcnt(1)
	s_barrier
	s_cbranch_scc1 .LBB156_11
; %bb.1:
	s_add_i32 s2, s10, 7
	s_load_dwordx4 s[16:19], s[4:5], 0x0
	s_load_dwordx2 s[24:25], s[4:5], 0x18
	s_ashr_i32 s3, s2, 31
	s_add_i32 s4, s10, 3
	s_waitcnt vmcnt(0)
	v_cvt_f32_f16_sdwa v7, v2 dst_sel:DWORD dst_unused:UNUSED_PAD src0_sel:WORD_1
	v_cvt_f32_f16_e32 v6, v2
	v_cvt_f32_f16_sdwa v9, v3 dst_sel:DWORD dst_unused:UNUSED_PAD src0_sel:WORD_1
	v_cvt_f32_f16_e32 v8, v3
	;; [unrolled: 2-line block ×4, first 2 shown]
	s_lshr_b32 s3, s3, 29
	s_ashr_i32 s5, s4, 31
	v_cmp_eq_u32_e32 vcc, 63, v1
	v_lshrrev_b32_e32 v1, 4, v0
	s_add_i32 s2, s2, s3
	s_lshr_b32 s5, s5, 30
	v_and_b32_e32 v19, 60, v1
	v_and_b32_e32 v1, 3, v0
	s_ashr_i32 s2, s2, 3
	s_add_i32 s4, s4, s5
	v_lshlrev_b32_e32 v17, 3, v0
	s_lshl_b32 s14, s10, 2
	v_lshlrev_b32_e32 v18, 5, v0
	v_lshlrev_b32_e32 v20, 2, v1
	v_cmp_eq_u32_e64 s[0:1], 0, v0
	v_cmp_gt_u32_e64 s[2:3], s2, v0
	s_and_b32 s22, s4, -4
	s_mov_b32 s27, 0x2edbe6ff
	v_mov_b32_e32 v21, 0
	v_mov_b32_e32 v22, 0xc3e00000
	;; [unrolled: 1-line block ×3, first 2 shown]
	s_mov_b32 s28, 0x5040100
	s_movk_i32 s29, 0xff
	s_branch .LBB156_4
.LBB156_2:                              ;   in Loop: Header=BB156_4 Depth=1
	s_or_b64 exec, exec, s[4:5]
.LBB156_3:                              ;   in Loop: Header=BB156_4 Depth=1
	s_add_i32 s26, s26, 1
	s_add_i32 s6, s6, s8
	s_cmp_eq_u32 s9, s26
	s_cbranch_scc1 .LBB156_11
.LBB156_4:                              ; =>This Inner Loop Header: Depth=1
	v_readlane_b32 s4, v16, s26
	s_cmp_lt_i32 s4, 0
	s_cbranch_scc1 .LBB156_3
; %bb.5:                                ;   in Loop: Header=BB156_4 Depth=1
	s_mul_i32 s4, s4, s10
	s_ashr_i32 s5, s4, 31
	s_lshl_b64 s[4:5], s[4:5], 2
	s_waitcnt lgkmcnt(0)
	s_add_u32 s12, s24, s4
	s_addc_u32 s4, s25, s5
	s_and_b32 s13, s4, 0xffff
	buffer_load_dwordx4 v[24:27], v18, s[12:15], 0 offen
	buffer_load_dwordx4 v[28:31], v18, s[12:15], 16 offen
	s_waitcnt vmcnt(1)
	v_pk_mul_f32 v[14:15], v[24:25], v[6:7]
	v_pk_mul_f32 v[12:13], v[26:27], v[8:9]
	v_max3_f32 v24, |v14|, s27, |v15|
	s_waitcnt vmcnt(0)
	v_pk_mul_f32 v[4:5], v[28:29], v[2:3]
	v_max3_f32 v24, v24, |v12|, |v13|
	v_pk_mul_f32 v[0:1], v[30:31], v[10:11]
	v_max3_f32 v24, v24, |v4|, |v5|
	v_max3_f32 v24, v24, |v0|, |v1|
	s_nop 1
	v_mov_b32_dpp v25, v24 quad_perm:[1,0,3,2] row_mask:0xf bank_mask:0xf
	v_cmp_gt_f32_e64 s[4:5], v24, v25
	v_cndmask_b32_e64 v24, v25, v24, s[4:5]
	s_nop 1
	v_mov_b32_dpp v25, v24 quad_perm:[2,3,0,1] row_mask:0xf bank_mask:0xf
	v_cmp_gt_f32_e64 s[4:5], v24, v25
	v_cndmask_b32_e64 v24, v25, v24, s[4:5]
	s_nop 1
	v_mov_b32_dpp v25, v24 row_half_mirror row_mask:0xf bank_mask:0xf
	v_cmp_gt_f32_e64 s[4:5], v24, v25
	v_cndmask_b32_e64 v24, v25, v24, s[4:5]
	s_nop 1
	v_mov_b32_dpp v25, v24 row_mirror row_mask:0xf bank_mask:0xf
	v_cmp_gt_f32_e64 s[4:5], v24, v25
	v_cndmask_b32_e64 v24, v25, v24, s[4:5]
	s_nop 1
	v_mov_b32_dpp v25, v24 row_bcast:15 row_mask:0xf bank_mask:0xf
	v_cmp_gt_f32_e64 s[4:5], v24, v25
	v_cndmask_b32_e64 v24, v25, v24, s[4:5]
	s_nop 1
	v_mov_b32_dpp v25, v24 row_bcast:31 row_mask:0xf bank_mask:0xf
	s_and_saveexec_b64 s[12:13], vcc
	s_cbranch_execz .LBB156_7
; %bb.6:                                ;   in Loop: Header=BB156_4 Depth=1
	v_cmp_gt_f32_e64 s[4:5], v24, v25
	v_cndmask_b32_e64 v24, v25, v24, s[4:5]
	ds_write_b32 v19, v24
.LBB156_7:                              ;   in Loop: Header=BB156_4 Depth=1
	s_or_b64 exec, exec, s[12:13]
	s_waitcnt lgkmcnt(0)
	s_barrier
	ds_read_b32 v24, v20
	s_waitcnt lgkmcnt(0)
	s_nop 0
	v_mov_b32_dpp v25, v24 quad_perm:[1,0,3,2] row_mask:0xf bank_mask:0xf
	v_cmp_gt_f32_e64 s[4:5], v24, v25
	v_cndmask_b32_e64 v24, v25, v24, s[4:5]
	s_nop 1
	v_mov_b32_dpp v25, v24 quad_perm:[2,3,0,1] row_mask:0xf bank_mask:0xf
	v_cmp_gt_f32_e64 s[4:5], v24, v25
	v_cndmask_b32_e64 v24, v25, v24, s[4:5]
	v_mul_f32_e32 v24, 0x3b124925, v24
	s_and_saveexec_b64 s[4:5], s[0:1]
	s_cbranch_execz .LBB156_9
; %bb.8:                                ;   in Loop: Header=BB156_4 Depth=1
	s_ashr_i32 s7, s6, 31
	s_lshl_b64 s[12:13], s[6:7], 2
	s_add_u32 s12, s18, s12
	s_addc_u32 s13, s19, s13
	global_store_dword v21, v24, s[12:13]
.LBB156_9:                              ;   in Loop: Header=BB156_4 Depth=1
	s_or_b64 exec, exec, s[4:5]
	s_and_saveexec_b64 s[4:5], s[2:3]
	s_cbranch_execz .LBB156_2
; %bb.10:                               ;   in Loop: Header=BB156_4 Depth=1
	v_rcp_f32_e32 v24, v24
	s_mul_i32 s12, s6, s10
	s_mul_hi_i32 s7, s6, s10
	s_add_u32 s20, s16, s12
	v_mov_b32_e32 v25, v24
	;;#ASMSTART
	v_pk_mul_f32 v[14:15], v[14:15], v[24:25]
	;;#ASMEND
	;;#ASMSTART
	v_med3_f32 v14, v14, v22, v23
v_med3_f32 v15, v15, v22, v23
v_cvt_pk_fp8_f32 v26, v14, v15
	;;#ASMEND
	;;#ASMSTART
	v_pk_mul_f32 v[12:13], v[12:13], v[24:25]
	;;#ASMEND
	;;#ASMSTART
	v_med3_f32 v12, v12, v22, v23
v_med3_f32 v13, v13, v22, v23
v_cvt_pk_fp8_f32 v14, v12, v13
	;;#ASMEND
	v_perm_b32 v13, v14, v26, s28
	v_and_b32_e32 v12, 0xffffff00, v14
	v_and_b32_sdwa v14, v13, s29 dst_sel:DWORD dst_unused:UNUSED_PAD src0_sel:WORD_1 src1_sel:DWORD
	v_or_b32_sdwa v12, v14, v12 dst_sel:WORD_1 dst_unused:UNUSED_PAD src0_sel:DWORD src1_sel:DWORD
	;;#ASMSTART
	v_pk_mul_f32 v[4:5], v[4:5], v[24:25]
	;;#ASMEND
	v_and_or_b32 v12, v13, s11, v12
	;;#ASMSTART
	v_med3_f32 v4, v4, v22, v23
v_med3_f32 v5, v5, v22, v23
v_cvt_pk_fp8_f32 v13, v4, v5
	;;#ASMEND
	;;#ASMSTART
	v_pk_mul_f32 v[0:1], v[0:1], v[24:25]
	;;#ASMEND
	;;#ASMSTART
	v_med3_f32 v0, v0, v22, v23
v_med3_f32 v1, v1, v22, v23
v_cvt_pk_fp8_f32 v4, v0, v1
	;;#ASMEND
	s_addc_u32 s7, s17, s7
	v_lshlrev_b32_e32 v0, 16, v4
	s_and_b32 s21, s7, 0xffff
	s_mov_b32 s23, s15
	v_and_or_b32 v13, v13, s11, v0
	buffer_store_dwordx2 v[12:13], v17, s[20:23], 0 offen
	;;#ASMSTART
	s_nop 0
	;;#ASMEND
	s_branch .LBB156_2
.LBB156_11:
	s_endpgm
	.section	.rodata,"a",@progbits
	.p2align	6, 0x0
	.amdhsa_kernel _ZN5aiter43moe_smooth_per_token_scaled_quant_kernel_v1IDF16_DB8_Li256ELi8ELb1ELb0ELi1024EEEvPT0_PfPT_S4_PiS7_iiiii
		.amdhsa_group_segment_fixed_size 16
		.amdhsa_private_segment_fixed_size 0
		.amdhsa_kernarg_size 68
		.amdhsa_user_sgpr_count 6
		.amdhsa_user_sgpr_private_segment_buffer 1
		.amdhsa_user_sgpr_dispatch_ptr 0
		.amdhsa_user_sgpr_queue_ptr 0
		.amdhsa_user_sgpr_kernarg_segment_ptr 1
		.amdhsa_user_sgpr_dispatch_id 0
		.amdhsa_user_sgpr_flat_scratch_init 0
		.amdhsa_user_sgpr_kernarg_preload_length 0
		.amdhsa_user_sgpr_kernarg_preload_offset 0
		.amdhsa_user_sgpr_private_segment_size 0
		.amdhsa_uses_dynamic_stack 0
		.amdhsa_system_sgpr_private_segment_wavefront_offset 0
		.amdhsa_system_sgpr_workgroup_id_x 1
		.amdhsa_system_sgpr_workgroup_id_y 0
		.amdhsa_system_sgpr_workgroup_id_z 0
		.amdhsa_system_sgpr_workgroup_info 0
		.amdhsa_system_vgpr_workitem_id 0
		.amdhsa_next_free_vgpr 32
		.amdhsa_next_free_sgpr 30
		.amdhsa_accum_offset 32
		.amdhsa_reserve_vcc 1
		.amdhsa_reserve_flat_scratch 0
		.amdhsa_float_round_mode_32 0
		.amdhsa_float_round_mode_16_64 0
		.amdhsa_float_denorm_mode_32 3
		.amdhsa_float_denorm_mode_16_64 3
		.amdhsa_dx10_clamp 1
		.amdhsa_ieee_mode 1
		.amdhsa_fp16_overflow 0
		.amdhsa_tg_split 0
		.amdhsa_exception_fp_ieee_invalid_op 0
		.amdhsa_exception_fp_denorm_src 0
		.amdhsa_exception_fp_ieee_div_zero 0
		.amdhsa_exception_fp_ieee_overflow 0
		.amdhsa_exception_fp_ieee_underflow 0
		.amdhsa_exception_fp_ieee_inexact 0
		.amdhsa_exception_int_div_zero 0
	.end_amdhsa_kernel
	.section	.text._ZN5aiter43moe_smooth_per_token_scaled_quant_kernel_v1IDF16_DB8_Li256ELi8ELb1ELb0ELi1024EEEvPT0_PfPT_S4_PiS7_iiiii,"axG",@progbits,_ZN5aiter43moe_smooth_per_token_scaled_quant_kernel_v1IDF16_DB8_Li256ELi8ELb1ELb0ELi1024EEEvPT0_PfPT_S4_PiS7_iiiii,comdat
.Lfunc_end156:
	.size	_ZN5aiter43moe_smooth_per_token_scaled_quant_kernel_v1IDF16_DB8_Li256ELi8ELb1ELb0ELi1024EEEvPT0_PfPT_S4_PiS7_iiiii, .Lfunc_end156-_ZN5aiter43moe_smooth_per_token_scaled_quant_kernel_v1IDF16_DB8_Li256ELi8ELb1ELb0ELi1024EEEvPT0_PfPT_S4_PiS7_iiiii
                                        ; -- End function
	.section	.AMDGPU.csdata,"",@progbits
; Kernel info:
; codeLenInByte = 1068
; NumSgprs: 34
; NumVgprs: 32
; NumAgprs: 0
; TotalNumVgprs: 32
; ScratchSize: 0
; MemoryBound: 0
; FloatMode: 240
; IeeeMode: 1
; LDSByteSize: 16 bytes/workgroup (compile time only)
; SGPRBlocks: 4
; VGPRBlocks: 3
; NumSGPRsForWavesPerEU: 34
; NumVGPRsForWavesPerEU: 32
; AccumOffset: 32
; Occupancy: 8
; WaveLimiterHint : 0
; COMPUTE_PGM_RSRC2:SCRATCH_EN: 0
; COMPUTE_PGM_RSRC2:USER_SGPR: 6
; COMPUTE_PGM_RSRC2:TRAP_HANDLER: 0
; COMPUTE_PGM_RSRC2:TGID_X_EN: 1
; COMPUTE_PGM_RSRC2:TGID_Y_EN: 0
; COMPUTE_PGM_RSRC2:TGID_Z_EN: 0
; COMPUTE_PGM_RSRC2:TIDIG_COMP_CNT: 0
; COMPUTE_PGM_RSRC3_GFX90A:ACCUM_OFFSET: 7
; COMPUTE_PGM_RSRC3_GFX90A:TG_SPLIT: 0
	.section	.text._ZN5aiter43moe_smooth_per_token_scaled_quant_kernel_v1ItDB8_Li256ELi8ELb1ELb0ELi1024EEEvPT0_PfPT_S4_PiS7_iiiii,"axG",@progbits,_ZN5aiter43moe_smooth_per_token_scaled_quant_kernel_v1ItDB8_Li256ELi8ELb1ELb0ELi1024EEEvPT0_PfPT_S4_PiS7_iiiii,comdat
	.protected	_ZN5aiter43moe_smooth_per_token_scaled_quant_kernel_v1ItDB8_Li256ELi8ELb1ELb0ELi1024EEEvPT0_PfPT_S4_PiS7_iiiii ; -- Begin function _ZN5aiter43moe_smooth_per_token_scaled_quant_kernel_v1ItDB8_Li256ELi8ELb1ELb0ELi1024EEEvPT0_PfPT_S4_PiS7_iiiii
	.globl	_ZN5aiter43moe_smooth_per_token_scaled_quant_kernel_v1ItDB8_Li256ELi8ELb1ELb0ELi1024EEEvPT0_PfPT_S4_PiS7_iiiii
	.p2align	8
	.type	_ZN5aiter43moe_smooth_per_token_scaled_quant_kernel_v1ItDB8_Li256ELi8ELb1ELb0ELi1024EEEvPT0_PfPT_S4_PiS7_iiiii,@function
_ZN5aiter43moe_smooth_per_token_scaled_quant_kernel_v1ItDB8_Li256ELi8ELb1ELb0ELi1024EEEvPT0_PfPT_S4_PiS7_iiiii: ; @_ZN5aiter43moe_smooth_per_token_scaled_quant_kernel_v1ItDB8_Li256ELi8ELb1ELb0ELi1024EEEvPT0_PfPT_S4_PiS7_iiiii
; %bb.0:
	s_load_dwordx4 s[8:11], s[4:5], 0x30
	s_load_dwordx2 s[0:1], s[4:5], 0x10
	s_load_dwordx2 s[2:3], s[4:5], 0x20
	v_and_b32_e32 v1, 63, v0
	s_mov_b32 s15, 0x20000
	s_waitcnt lgkmcnt(0)
	s_mul_i32 s12, s6, s9
	s_ashr_i32 s13, s12, 31
	s_lshl_b64 s[12:13], s[12:13], 2
	s_add_u32 s12, s2, s12
	s_addc_u32 s2, s3, s13
	s_and_b32 s13, s2, 0xffff
	s_mul_hi_i32 s3, s11, s6
	s_mul_i32 s2, s11, s6
	s_lshl_b32 s14, s9, 2
	v_lshlrev_b32_e32 v2, 2, v1
	s_lshl_b64 s[2:3], s[2:3], 1
	buffer_load_dword v16, v2, s[12:15], 0 offen
	s_add_u32 s12, s0, s2
	s_addc_u32 s0, s1, s3
	s_lshl_b32 s14, s10, 1
	s_and_b32 s13, s0, 0xffff
	v_lshlrev_b32_e32 v2, 4, v0
	buffer_load_dwordx4 v[2:5], v2, s[12:15], 0 offen
	s_mov_b32 s11, 0xffff
	s_mov_b32 s26, 0
	s_cmp_lt_i32 s9, 1
	s_waitcnt vmcnt(1)
	s_barrier
	s_cbranch_scc1 .LBB157_11
; %bb.1:
	s_add_i32 s2, s10, 7
	s_load_dwordx4 s[16:19], s[4:5], 0x0
	s_load_dwordx2 s[24:25], s[4:5], 0x18
	s_ashr_i32 s3, s2, 31
	s_add_i32 s4, s10, 3
	s_waitcnt vmcnt(0)
	v_cvt_f32_u32_sdwa v7, v2 dst_sel:DWORD dst_unused:UNUSED_PAD src0_sel:WORD_1
	v_cvt_f32_u32_sdwa v6, v2 dst_sel:DWORD dst_unused:UNUSED_PAD src0_sel:WORD_0
	v_cvt_f32_u32_sdwa v9, v3 dst_sel:DWORD dst_unused:UNUSED_PAD src0_sel:WORD_1
	v_cvt_f32_u32_sdwa v8, v3 dst_sel:DWORD dst_unused:UNUSED_PAD src0_sel:WORD_0
	;; [unrolled: 2-line block ×4, first 2 shown]
	s_lshr_b32 s3, s3, 29
	s_ashr_i32 s5, s4, 31
	v_cmp_eq_u32_e32 vcc, 63, v1
	v_lshrrev_b32_e32 v1, 4, v0
	s_add_i32 s2, s2, s3
	s_lshr_b32 s5, s5, 30
	v_and_b32_e32 v19, 60, v1
	v_and_b32_e32 v1, 3, v0
	s_ashr_i32 s2, s2, 3
	s_add_i32 s4, s4, s5
	v_lshlrev_b32_e32 v17, 3, v0
	s_lshl_b32 s14, s10, 2
	v_lshlrev_b32_e32 v18, 5, v0
	v_lshlrev_b32_e32 v20, 2, v1
	v_cmp_eq_u32_e64 s[0:1], 0, v0
	v_cmp_gt_u32_e64 s[2:3], s2, v0
	s_and_b32 s22, s4, -4
	s_mov_b32 s27, 0x2edbe6ff
	v_mov_b32_e32 v21, 0
	v_mov_b32_e32 v22, 0xc3e00000
	;; [unrolled: 1-line block ×3, first 2 shown]
	s_mov_b32 s28, 0x5040100
	s_movk_i32 s29, 0xff
	s_branch .LBB157_4
.LBB157_2:                              ;   in Loop: Header=BB157_4 Depth=1
	s_or_b64 exec, exec, s[4:5]
.LBB157_3:                              ;   in Loop: Header=BB157_4 Depth=1
	s_add_i32 s26, s26, 1
	s_add_i32 s6, s6, s8
	s_cmp_eq_u32 s9, s26
	s_cbranch_scc1 .LBB157_11
.LBB157_4:                              ; =>This Inner Loop Header: Depth=1
	v_readlane_b32 s4, v16, s26
	s_cmp_lt_i32 s4, 0
	s_cbranch_scc1 .LBB157_3
; %bb.5:                                ;   in Loop: Header=BB157_4 Depth=1
	s_mul_i32 s4, s4, s10
	s_ashr_i32 s5, s4, 31
	s_lshl_b64 s[4:5], s[4:5], 2
	s_waitcnt lgkmcnt(0)
	s_add_u32 s12, s24, s4
	s_addc_u32 s4, s25, s5
	s_and_b32 s13, s4, 0xffff
	buffer_load_dwordx4 v[24:27], v18, s[12:15], 0 offen
	buffer_load_dwordx4 v[28:31], v18, s[12:15], 16 offen
	s_waitcnt vmcnt(1)
	v_pk_mul_f32 v[14:15], v[24:25], v[6:7]
	v_pk_mul_f32 v[12:13], v[26:27], v[8:9]
	v_max3_f32 v24, |v14|, s27, |v15|
	s_waitcnt vmcnt(0)
	v_pk_mul_f32 v[4:5], v[28:29], v[2:3]
	v_max3_f32 v24, v24, |v12|, |v13|
	v_pk_mul_f32 v[0:1], v[30:31], v[10:11]
	v_max3_f32 v24, v24, |v4|, |v5|
	v_max3_f32 v24, v24, |v0|, |v1|
	s_nop 1
	v_mov_b32_dpp v25, v24 quad_perm:[1,0,3,2] row_mask:0xf bank_mask:0xf
	v_cmp_gt_f32_e64 s[4:5], v24, v25
	v_cndmask_b32_e64 v24, v25, v24, s[4:5]
	s_nop 1
	v_mov_b32_dpp v25, v24 quad_perm:[2,3,0,1] row_mask:0xf bank_mask:0xf
	v_cmp_gt_f32_e64 s[4:5], v24, v25
	v_cndmask_b32_e64 v24, v25, v24, s[4:5]
	s_nop 1
	v_mov_b32_dpp v25, v24 row_half_mirror row_mask:0xf bank_mask:0xf
	v_cmp_gt_f32_e64 s[4:5], v24, v25
	v_cndmask_b32_e64 v24, v25, v24, s[4:5]
	s_nop 1
	v_mov_b32_dpp v25, v24 row_mirror row_mask:0xf bank_mask:0xf
	v_cmp_gt_f32_e64 s[4:5], v24, v25
	v_cndmask_b32_e64 v24, v25, v24, s[4:5]
	s_nop 1
	v_mov_b32_dpp v25, v24 row_bcast:15 row_mask:0xf bank_mask:0xf
	v_cmp_gt_f32_e64 s[4:5], v24, v25
	v_cndmask_b32_e64 v24, v25, v24, s[4:5]
	s_nop 1
	v_mov_b32_dpp v25, v24 row_bcast:31 row_mask:0xf bank_mask:0xf
	s_and_saveexec_b64 s[12:13], vcc
	s_cbranch_execz .LBB157_7
; %bb.6:                                ;   in Loop: Header=BB157_4 Depth=1
	v_cmp_gt_f32_e64 s[4:5], v24, v25
	v_cndmask_b32_e64 v24, v25, v24, s[4:5]
	ds_write_b32 v19, v24
.LBB157_7:                              ;   in Loop: Header=BB157_4 Depth=1
	s_or_b64 exec, exec, s[12:13]
	s_waitcnt lgkmcnt(0)
	s_barrier
	ds_read_b32 v24, v20
	s_waitcnt lgkmcnt(0)
	s_nop 0
	v_mov_b32_dpp v25, v24 quad_perm:[1,0,3,2] row_mask:0xf bank_mask:0xf
	v_cmp_gt_f32_e64 s[4:5], v24, v25
	v_cndmask_b32_e64 v24, v25, v24, s[4:5]
	s_nop 1
	v_mov_b32_dpp v25, v24 quad_perm:[2,3,0,1] row_mask:0xf bank_mask:0xf
	v_cmp_gt_f32_e64 s[4:5], v24, v25
	v_cndmask_b32_e64 v24, v25, v24, s[4:5]
	v_mul_f32_e32 v24, 0x3b124925, v24
	s_and_saveexec_b64 s[4:5], s[0:1]
	s_cbranch_execz .LBB157_9
; %bb.8:                                ;   in Loop: Header=BB157_4 Depth=1
	s_ashr_i32 s7, s6, 31
	s_lshl_b64 s[12:13], s[6:7], 2
	s_add_u32 s12, s18, s12
	s_addc_u32 s13, s19, s13
	global_store_dword v21, v24, s[12:13]
.LBB157_9:                              ;   in Loop: Header=BB157_4 Depth=1
	s_or_b64 exec, exec, s[4:5]
	s_and_saveexec_b64 s[4:5], s[2:3]
	s_cbranch_execz .LBB157_2
; %bb.10:                               ;   in Loop: Header=BB157_4 Depth=1
	v_rcp_f32_e32 v24, v24
	s_mul_i32 s12, s6, s10
	s_mul_hi_i32 s7, s6, s10
	s_add_u32 s20, s16, s12
	v_mov_b32_e32 v25, v24
	;;#ASMSTART
	v_pk_mul_f32 v[14:15], v[14:15], v[24:25]
	;;#ASMEND
	;;#ASMSTART
	v_med3_f32 v14, v14, v22, v23
v_med3_f32 v15, v15, v22, v23
v_cvt_pk_fp8_f32 v26, v14, v15
	;;#ASMEND
	;;#ASMSTART
	v_pk_mul_f32 v[12:13], v[12:13], v[24:25]
	;;#ASMEND
	;;#ASMSTART
	v_med3_f32 v12, v12, v22, v23
v_med3_f32 v13, v13, v22, v23
v_cvt_pk_fp8_f32 v14, v12, v13
	;;#ASMEND
	v_perm_b32 v13, v14, v26, s28
	v_and_b32_e32 v12, 0xffffff00, v14
	v_and_b32_sdwa v14, v13, s29 dst_sel:DWORD dst_unused:UNUSED_PAD src0_sel:WORD_1 src1_sel:DWORD
	v_or_b32_sdwa v12, v14, v12 dst_sel:WORD_1 dst_unused:UNUSED_PAD src0_sel:DWORD src1_sel:DWORD
	;;#ASMSTART
	v_pk_mul_f32 v[4:5], v[4:5], v[24:25]
	;;#ASMEND
	v_and_or_b32 v12, v13, s11, v12
	;;#ASMSTART
	v_med3_f32 v4, v4, v22, v23
v_med3_f32 v5, v5, v22, v23
v_cvt_pk_fp8_f32 v13, v4, v5
	;;#ASMEND
	;;#ASMSTART
	v_pk_mul_f32 v[0:1], v[0:1], v[24:25]
	;;#ASMEND
	;;#ASMSTART
	v_med3_f32 v0, v0, v22, v23
v_med3_f32 v1, v1, v22, v23
v_cvt_pk_fp8_f32 v4, v0, v1
	;;#ASMEND
	s_addc_u32 s7, s17, s7
	v_lshlrev_b32_e32 v0, 16, v4
	s_and_b32 s21, s7, 0xffff
	s_mov_b32 s23, s15
	v_and_or_b32 v13, v13, s11, v0
	buffer_store_dwordx2 v[12:13], v17, s[20:23], 0 offen
	;;#ASMSTART
	s_nop 0
	;;#ASMEND
	s_branch .LBB157_2
.LBB157_11:
	s_endpgm
	.section	.rodata,"a",@progbits
	.p2align	6, 0x0
	.amdhsa_kernel _ZN5aiter43moe_smooth_per_token_scaled_quant_kernel_v1ItDB8_Li256ELi8ELb1ELb0ELi1024EEEvPT0_PfPT_S4_PiS7_iiiii
		.amdhsa_group_segment_fixed_size 16
		.amdhsa_private_segment_fixed_size 0
		.amdhsa_kernarg_size 68
		.amdhsa_user_sgpr_count 6
		.amdhsa_user_sgpr_private_segment_buffer 1
		.amdhsa_user_sgpr_dispatch_ptr 0
		.amdhsa_user_sgpr_queue_ptr 0
		.amdhsa_user_sgpr_kernarg_segment_ptr 1
		.amdhsa_user_sgpr_dispatch_id 0
		.amdhsa_user_sgpr_flat_scratch_init 0
		.amdhsa_user_sgpr_kernarg_preload_length 0
		.amdhsa_user_sgpr_kernarg_preload_offset 0
		.amdhsa_user_sgpr_private_segment_size 0
		.amdhsa_uses_dynamic_stack 0
		.amdhsa_system_sgpr_private_segment_wavefront_offset 0
		.amdhsa_system_sgpr_workgroup_id_x 1
		.amdhsa_system_sgpr_workgroup_id_y 0
		.amdhsa_system_sgpr_workgroup_id_z 0
		.amdhsa_system_sgpr_workgroup_info 0
		.amdhsa_system_vgpr_workitem_id 0
		.amdhsa_next_free_vgpr 32
		.amdhsa_next_free_sgpr 30
		.amdhsa_accum_offset 32
		.amdhsa_reserve_vcc 1
		.amdhsa_reserve_flat_scratch 0
		.amdhsa_float_round_mode_32 0
		.amdhsa_float_round_mode_16_64 0
		.amdhsa_float_denorm_mode_32 3
		.amdhsa_float_denorm_mode_16_64 3
		.amdhsa_dx10_clamp 1
		.amdhsa_ieee_mode 1
		.amdhsa_fp16_overflow 0
		.amdhsa_tg_split 0
		.amdhsa_exception_fp_ieee_invalid_op 0
		.amdhsa_exception_fp_denorm_src 0
		.amdhsa_exception_fp_ieee_div_zero 0
		.amdhsa_exception_fp_ieee_overflow 0
		.amdhsa_exception_fp_ieee_underflow 0
		.amdhsa_exception_fp_ieee_inexact 0
		.amdhsa_exception_int_div_zero 0
	.end_amdhsa_kernel
	.section	.text._ZN5aiter43moe_smooth_per_token_scaled_quant_kernel_v1ItDB8_Li256ELi8ELb1ELb0ELi1024EEEvPT0_PfPT_S4_PiS7_iiiii,"axG",@progbits,_ZN5aiter43moe_smooth_per_token_scaled_quant_kernel_v1ItDB8_Li256ELi8ELb1ELb0ELi1024EEEvPT0_PfPT_S4_PiS7_iiiii,comdat
.Lfunc_end157:
	.size	_ZN5aiter43moe_smooth_per_token_scaled_quant_kernel_v1ItDB8_Li256ELi8ELb1ELb0ELi1024EEEvPT0_PfPT_S4_PiS7_iiiii, .Lfunc_end157-_ZN5aiter43moe_smooth_per_token_scaled_quant_kernel_v1ItDB8_Li256ELi8ELb1ELb0ELi1024EEEvPT0_PfPT_S4_PiS7_iiiii
                                        ; -- End function
	.section	.AMDGPU.csdata,"",@progbits
; Kernel info:
; codeLenInByte = 1084
; NumSgprs: 34
; NumVgprs: 32
; NumAgprs: 0
; TotalNumVgprs: 32
; ScratchSize: 0
; MemoryBound: 0
; FloatMode: 240
; IeeeMode: 1
; LDSByteSize: 16 bytes/workgroup (compile time only)
; SGPRBlocks: 4
; VGPRBlocks: 3
; NumSGPRsForWavesPerEU: 34
; NumVGPRsForWavesPerEU: 32
; AccumOffset: 32
; Occupancy: 8
; WaveLimiterHint : 0
; COMPUTE_PGM_RSRC2:SCRATCH_EN: 0
; COMPUTE_PGM_RSRC2:USER_SGPR: 6
; COMPUTE_PGM_RSRC2:TRAP_HANDLER: 0
; COMPUTE_PGM_RSRC2:TGID_X_EN: 1
; COMPUTE_PGM_RSRC2:TGID_Y_EN: 0
; COMPUTE_PGM_RSRC2:TGID_Z_EN: 0
; COMPUTE_PGM_RSRC2:TIDIG_COMP_CNT: 0
; COMPUTE_PGM_RSRC3_GFX90A:ACCUM_OFFSET: 7
; COMPUTE_PGM_RSRC3_GFX90A:TG_SPLIT: 0
	.section	.text._ZN5aiter43moe_smooth_per_token_scaled_quant_kernel_v1IDF16_DB8_Li256ELi8ELb0ELb1ELi1024EEEvPT0_PfPT_S4_PiS7_iiiii,"axG",@progbits,_ZN5aiter43moe_smooth_per_token_scaled_quant_kernel_v1IDF16_DB8_Li256ELi8ELb0ELb1ELi1024EEEvPT0_PfPT_S4_PiS7_iiiii,comdat
	.protected	_ZN5aiter43moe_smooth_per_token_scaled_quant_kernel_v1IDF16_DB8_Li256ELi8ELb0ELb1ELi1024EEEvPT0_PfPT_S4_PiS7_iiiii ; -- Begin function _ZN5aiter43moe_smooth_per_token_scaled_quant_kernel_v1IDF16_DB8_Li256ELi8ELb0ELb1ELi1024EEEvPT0_PfPT_S4_PiS7_iiiii
	.globl	_ZN5aiter43moe_smooth_per_token_scaled_quant_kernel_v1IDF16_DB8_Li256ELi8ELb0ELb1ELi1024EEEvPT0_PfPT_S4_PiS7_iiiii
	.p2align	8
	.type	_ZN5aiter43moe_smooth_per_token_scaled_quant_kernel_v1IDF16_DB8_Li256ELi8ELb0ELb1ELi1024EEEvPT0_PfPT_S4_PiS7_iiiii,@function
_ZN5aiter43moe_smooth_per_token_scaled_quant_kernel_v1IDF16_DB8_Li256ELi8ELb0ELb1ELi1024EEEvPT0_PfPT_S4_PiS7_iiiii: ; @_ZN5aiter43moe_smooth_per_token_scaled_quant_kernel_v1IDF16_DB8_Li256ELi8ELb0ELb1ELi1024EEEvPT0_PfPT_S4_PiS7_iiiii
; %bb.0:
	s_load_dwordx4 s[8:11], s[4:5], 0x34
	s_load_dwordx4 s[12:15], s[4:5], 0x20
	s_load_dwordx2 s[16:17], s[4:5], 0x10
	v_and_b32_e32 v1, 0x3c0, v0
	v_lshlrev_b32_e32 v1, 2, v1
	v_lshlrev_b32_e32 v2, 2, v0
	v_readfirstlane_b32 s7, v1
	v_add_u32_e32 v3, 0x400, v1
	s_waitcnt lgkmcnt(0)
	s_lshl_b32 s2, s11, 2
	s_and_b32 s1, s15, 0xffff
	s_mov_b32 s3, 0x20000
	s_mov_b32 s0, s14
	;;#ASMSTART
	s_mov_b32 m0 s7
	buffer_load_dword v2, s[0:3], 0 offen offset:0 lds
	
	;;#ASMEND
	v_readfirstlane_b32 s7, v3
	v_add_u32_e32 v3, 0x400, v2
	;;#ASMSTART
	s_mov_b32 m0 s7
	buffer_load_dword v3, s[0:3], 0 offen offset:0 lds
	
	;;#ASMEND
	v_add_u32_e32 v3, 0x800, v1
	s_mul_i32 s20, s6, s8
	v_readfirstlane_b32 s7, v3
	v_add_u32_e32 v3, 0x800, v2
	;;#ASMSTART
	s_mov_b32 m0 s7
	buffer_load_dword v3, s[0:3], 0 offen offset:0 lds
	
	;;#ASMEND
	v_add_u32_e32 v1, 0xc00, v1
	s_ashr_i32 s21, s20, 31
	v_readfirstlane_b32 s7, v1
	v_add_u32_e32 v1, 0xc00, v2
	;;#ASMSTART
	s_mov_b32 m0 s7
	buffer_load_dword v1, s[0:3], 0 offen offset:0 lds
	
	;;#ASMEND
	s_lshl_b64 s[0:1], s[20:21], 2
	s_add_u32 s0, s12, s0
	v_and_b32_e32 v1, 63, v0
	s_addc_u32 s1, s13, s1
	s_lshl_b32 s2, s8, 2
	s_and_b32 s1, s1, 0xffff
	v_lshlrev_b32_e32 v2, 2, v1
	buffer_load_dword v16, v2, s[0:3], 0 offen
	s_mul_hi_i32 s1, s10, s6
	s_mul_i32 s0, s10, s6
	s_lshl_b64 s[0:1], s[0:1], 1
	s_add_u32 s0, s16, s0
	s_addc_u32 s1, s17, s1
	s_lshl_b32 s2, s9, 1
	s_and_b32 s1, s1, 0xffff
	v_lshlrev_b32_e32 v2, 4, v0
	buffer_load_dwordx4 v[2:5], v2, s[0:3], 0 offen
	v_cmp_gt_i32_e32 vcc, s8, v1
	s_waitcnt vmcnt(1)
	s_barrier
	v_cmp_gt_i32_e64 s[2:3], s11, v16
	v_cmp_lt_i32_e64 s[0:1], -1, v16
	s_and_b64 s[2:3], vcc, s[2:3]
	s_and_b64 s[2:3], s[2:3], s[0:1]
	s_and_saveexec_b64 s[0:1], s[2:3]
	s_cbranch_execz .LBB158_2
; %bb.1:
	v_lshlrev_b32_e32 v6, 2, v16
	ds_read_b32 v16, v6
.LBB158_2:
	s_or_b64 exec, exec, s[0:1]
	s_cmp_lt_i32 s8, 1
	s_cbranch_scc1 .LBB158_13
; %bb.3:
	s_add_i32 s2, s9, 7
	s_load_dwordx4 s[12:15], s[4:5], 0x0
	s_load_dwordx2 s[10:11], s[4:5], 0x18
	s_ashr_i32 s3, s2, 31
	s_add_i32 s4, s9, 3
	s_waitcnt vmcnt(0)
	v_cvt_f32_f16_sdwa v7, v2 dst_sel:DWORD dst_unused:UNUSED_PAD src0_sel:WORD_1
	v_cvt_f32_f16_e32 v6, v2
	v_cvt_f32_f16_sdwa v9, v3 dst_sel:DWORD dst_unused:UNUSED_PAD src0_sel:WORD_1
	v_cvt_f32_f16_e32 v8, v3
	;; [unrolled: 2-line block ×4, first 2 shown]
	s_lshr_b32 s3, s3, 29
	s_ashr_i32 s5, s4, 31
	v_cmp_eq_u32_e32 vcc, 63, v1
	v_lshrrev_b32_e32 v1, 4, v0
	v_mov_b32_e32 v4, 0x1000
	s_add_i32 s2, s2, s3
	s_lshr_b32 s5, s5, 30
	v_and_or_b32 v19, v1, 60, v4
	v_and_b32_e32 v1, 3, v0
	s_ashr_i32 s2, s2, 3
	s_add_i32 s4, s4, s5
	s_mov_b32 s21, s9
	v_lshlrev_b32_e32 v17, 3, v0
	s_lshl_b32 s6, s9, 2
	v_lshlrev_b32_e32 v18, 5, v0
	v_lshl_or_b32 v20, v1, 2, v4
	s_mov_b32 s22, 0
	v_cmp_eq_u32_e64 s[0:1], 0, v0
	v_cmp_gt_u32_e64 s[2:3], s2, v0
	s_and_b32 s18, s4, -4
	s_mov_b32 s9, 0xffff
	s_mov_b32 s7, 0x20000
	;; [unrolled: 1-line block ×3, first 2 shown]
	v_mov_b32_e32 v21, 0
	v_mov_b32_e32 v22, 0xc3e00000
	;; [unrolled: 1-line block ×3, first 2 shown]
	s_mov_b32 s24, 0x5040100
	s_movk_i32 s25, 0xff
	s_branch .LBB158_6
.LBB158_4:                              ;   in Loop: Header=BB158_6 Depth=1
	s_or_b64 exec, exec, s[4:5]
.LBB158_5:                              ;   in Loop: Header=BB158_6 Depth=1
	s_add_i32 s22, s22, 1
	s_cmp_eq_u32 s8, s22
	s_cbranch_scc1 .LBB158_13
.LBB158_6:                              ; =>This Inner Loop Header: Depth=1
	s_waitcnt lgkmcnt(0)
	v_readlane_b32 s4, v16, s22
	s_cmp_lt_i32 s4, 0
	s_cbranch_scc1 .LBB158_5
; %bb.7:                                ;   in Loop: Header=BB158_6 Depth=1
	s_mul_i32 s4, s4, s21
	s_ashr_i32 s5, s4, 31
	s_lshl_b64 s[4:5], s[4:5], 2
	s_add_u32 s4, s10, s4
	s_addc_u32 s5, s11, s5
	s_and_b32 s5, s5, 0xffff
	buffer_load_dwordx4 v[24:27], v18, s[4:7], 0 offen
	buffer_load_dwordx4 v[28:31], v18, s[4:7], 16 offen
	s_waitcnt vmcnt(1)
	v_pk_mul_f32 v[14:15], v[24:25], v[6:7]
	v_pk_mul_f32 v[12:13], v[26:27], v[8:9]
	v_max3_f32 v24, |v14|, s23, |v15|
	s_waitcnt vmcnt(0)
	v_pk_mul_f32 v[4:5], v[28:29], v[2:3]
	v_max3_f32 v24, v24, |v12|, |v13|
	v_pk_mul_f32 v[0:1], v[30:31], v[10:11]
	v_max3_f32 v24, v24, |v4|, |v5|
	v_max3_f32 v24, v24, |v0|, |v1|
	s_nop 1
	v_mov_b32_dpp v25, v24 quad_perm:[1,0,3,2] row_mask:0xf bank_mask:0xf
	v_cmp_gt_f32_e64 s[4:5], v24, v25
	v_cndmask_b32_e64 v24, v25, v24, s[4:5]
	s_nop 1
	v_mov_b32_dpp v25, v24 quad_perm:[2,3,0,1] row_mask:0xf bank_mask:0xf
	v_cmp_gt_f32_e64 s[4:5], v24, v25
	v_cndmask_b32_e64 v24, v25, v24, s[4:5]
	s_nop 1
	v_mov_b32_dpp v25, v24 row_half_mirror row_mask:0xf bank_mask:0xf
	v_cmp_gt_f32_e64 s[4:5], v24, v25
	v_cndmask_b32_e64 v24, v25, v24, s[4:5]
	s_nop 1
	v_mov_b32_dpp v25, v24 row_mirror row_mask:0xf bank_mask:0xf
	v_cmp_gt_f32_e64 s[4:5], v24, v25
	v_cndmask_b32_e64 v24, v25, v24, s[4:5]
	s_nop 1
	v_mov_b32_dpp v25, v24 row_bcast:15 row_mask:0xf bank_mask:0xf
	v_cmp_gt_f32_e64 s[4:5], v24, v25
	v_cndmask_b32_e64 v24, v25, v24, s[4:5]
	s_nop 1
	v_mov_b32_dpp v25, v24 row_bcast:31 row_mask:0xf bank_mask:0xf
	s_and_saveexec_b64 s[16:17], vcc
	s_cbranch_execz .LBB158_9
; %bb.8:                                ;   in Loop: Header=BB158_6 Depth=1
	v_cmp_gt_f32_e64 s[4:5], v24, v25
	v_cndmask_b32_e64 v24, v25, v24, s[4:5]
	ds_write_b32 v19, v24
.LBB158_9:                              ;   in Loop: Header=BB158_6 Depth=1
	s_or_b64 exec, exec, s[16:17]
	s_waitcnt lgkmcnt(0)
	s_barrier
	ds_read_b32 v24, v20
	s_add_i32 s16, s20, s22
	s_waitcnt lgkmcnt(0)
	v_mov_b32_dpp v25, v24 quad_perm:[1,0,3,2] row_mask:0xf bank_mask:0xf
	v_cmp_gt_f32_e64 s[4:5], v24, v25
	v_cndmask_b32_e64 v24, v25, v24, s[4:5]
	s_nop 1
	v_mov_b32_dpp v25, v24 quad_perm:[2,3,0,1] row_mask:0xf bank_mask:0xf
	v_cmp_gt_f32_e64 s[4:5], v24, v25
	v_cndmask_b32_e64 v24, v25, v24, s[4:5]
	v_mul_f32_e32 v24, 0x3b124925, v24
	s_and_saveexec_b64 s[4:5], s[0:1]
	s_cbranch_execz .LBB158_11
; %bb.10:                               ;   in Loop: Header=BB158_6 Depth=1
	s_ashr_i32 s17, s16, 31
	s_lshl_b64 s[26:27], s[16:17], 2
	s_add_u32 s26, s14, s26
	s_addc_u32 s27, s15, s27
	global_store_dword v21, v24, s[26:27]
.LBB158_11:                             ;   in Loop: Header=BB158_6 Depth=1
	s_or_b64 exec, exec, s[4:5]
	s_and_saveexec_b64 s[4:5], s[2:3]
	s_cbranch_execz .LBB158_4
; %bb.12:                               ;   in Loop: Header=BB158_6 Depth=1
	v_rcp_f32_e32 v24, v24
	s_mul_hi_i32 s17, s16, s21
	s_mul_i32 s16, s16, s21
	s_add_u32 s16, s12, s16
	v_mov_b32_e32 v25, v24
	;;#ASMSTART
	v_pk_mul_f32 v[14:15], v[14:15], v[24:25]
	;;#ASMEND
	;;#ASMSTART
	v_med3_f32 v14, v14, v22, v23
v_med3_f32 v15, v15, v22, v23
v_cvt_pk_fp8_f32 v26, v14, v15
	;;#ASMEND
	;;#ASMSTART
	v_pk_mul_f32 v[12:13], v[12:13], v[24:25]
	;;#ASMEND
	;;#ASMSTART
	v_med3_f32 v12, v12, v22, v23
v_med3_f32 v13, v13, v22, v23
v_cvt_pk_fp8_f32 v14, v12, v13
	;;#ASMEND
	v_perm_b32 v13, v14, v26, s24
	v_and_b32_e32 v12, 0xffffff00, v14
	v_and_b32_sdwa v14, v13, s25 dst_sel:DWORD dst_unused:UNUSED_PAD src0_sel:WORD_1 src1_sel:DWORD
	v_or_b32_sdwa v12, v14, v12 dst_sel:WORD_1 dst_unused:UNUSED_PAD src0_sel:DWORD src1_sel:DWORD
	;;#ASMSTART
	v_pk_mul_f32 v[4:5], v[4:5], v[24:25]
	;;#ASMEND
	v_and_or_b32 v12, v13, s9, v12
	;;#ASMSTART
	v_med3_f32 v4, v4, v22, v23
v_med3_f32 v5, v5, v22, v23
v_cvt_pk_fp8_f32 v13, v4, v5
	;;#ASMEND
	;;#ASMSTART
	v_pk_mul_f32 v[0:1], v[0:1], v[24:25]
	;;#ASMEND
	;;#ASMSTART
	v_med3_f32 v0, v0, v22, v23
v_med3_f32 v1, v1, v22, v23
v_cvt_pk_fp8_f32 v4, v0, v1
	;;#ASMEND
	s_addc_u32 s17, s13, s17
	v_lshlrev_b32_e32 v0, 16, v4
	s_and_b32 s17, s17, 0xffff
	s_mov_b32 s19, s7
	v_and_or_b32 v13, v13, s9, v0
	buffer_store_dwordx2 v[12:13], v17, s[16:19], 0 offen
	;;#ASMSTART
	s_nop 0
	;;#ASMEND
	s_branch .LBB158_4
.LBB158_13:
	s_endpgm
	.section	.rodata,"a",@progbits
	.p2align	6, 0x0
	.amdhsa_kernel _ZN5aiter43moe_smooth_per_token_scaled_quant_kernel_v1IDF16_DB8_Li256ELi8ELb0ELb1ELi1024EEEvPT0_PfPT_S4_PiS7_iiiii
		.amdhsa_group_segment_fixed_size 4112
		.amdhsa_private_segment_fixed_size 0
		.amdhsa_kernarg_size 68
		.amdhsa_user_sgpr_count 6
		.amdhsa_user_sgpr_private_segment_buffer 1
		.amdhsa_user_sgpr_dispatch_ptr 0
		.amdhsa_user_sgpr_queue_ptr 0
		.amdhsa_user_sgpr_kernarg_segment_ptr 1
		.amdhsa_user_sgpr_dispatch_id 0
		.amdhsa_user_sgpr_flat_scratch_init 0
		.amdhsa_user_sgpr_kernarg_preload_length 0
		.amdhsa_user_sgpr_kernarg_preload_offset 0
		.amdhsa_user_sgpr_private_segment_size 0
		.amdhsa_uses_dynamic_stack 0
		.amdhsa_system_sgpr_private_segment_wavefront_offset 0
		.amdhsa_system_sgpr_workgroup_id_x 1
		.amdhsa_system_sgpr_workgroup_id_y 0
		.amdhsa_system_sgpr_workgroup_id_z 0
		.amdhsa_system_sgpr_workgroup_info 0
		.amdhsa_system_vgpr_workitem_id 0
		.amdhsa_next_free_vgpr 32
		.amdhsa_next_free_sgpr 28
		.amdhsa_accum_offset 32
		.amdhsa_reserve_vcc 1
		.amdhsa_reserve_flat_scratch 0
		.amdhsa_float_round_mode_32 0
		.amdhsa_float_round_mode_16_64 0
		.amdhsa_float_denorm_mode_32 3
		.amdhsa_float_denorm_mode_16_64 3
		.amdhsa_dx10_clamp 1
		.amdhsa_ieee_mode 1
		.amdhsa_fp16_overflow 0
		.amdhsa_tg_split 0
		.amdhsa_exception_fp_ieee_invalid_op 0
		.amdhsa_exception_fp_denorm_src 0
		.amdhsa_exception_fp_ieee_div_zero 0
		.amdhsa_exception_fp_ieee_overflow 0
		.amdhsa_exception_fp_ieee_underflow 0
		.amdhsa_exception_fp_ieee_inexact 0
		.amdhsa_exception_int_div_zero 0
	.end_amdhsa_kernel
	.section	.text._ZN5aiter43moe_smooth_per_token_scaled_quant_kernel_v1IDF16_DB8_Li256ELi8ELb0ELb1ELi1024EEEvPT0_PfPT_S4_PiS7_iiiii,"axG",@progbits,_ZN5aiter43moe_smooth_per_token_scaled_quant_kernel_v1IDF16_DB8_Li256ELi8ELb0ELb1ELi1024EEEvPT0_PfPT_S4_PiS7_iiiii,comdat
.Lfunc_end158:
	.size	_ZN5aiter43moe_smooth_per_token_scaled_quant_kernel_v1IDF16_DB8_Li256ELi8ELb0ELb1ELi1024EEEvPT0_PfPT_S4_PiS7_iiiii, .Lfunc_end158-_ZN5aiter43moe_smooth_per_token_scaled_quant_kernel_v1IDF16_DB8_Li256ELi8ELb0ELb1ELi1024EEEvPT0_PfPT_S4_PiS7_iiiii
                                        ; -- End function
	.section	.AMDGPU.csdata,"",@progbits
; Kernel info:
; codeLenInByte = 1304
; NumSgprs: 32
; NumVgprs: 32
; NumAgprs: 0
; TotalNumVgprs: 32
; ScratchSize: 0
; MemoryBound: 0
; FloatMode: 240
; IeeeMode: 1
; LDSByteSize: 4112 bytes/workgroup (compile time only)
; SGPRBlocks: 3
; VGPRBlocks: 3
; NumSGPRsForWavesPerEU: 32
; NumVGPRsForWavesPerEU: 32
; AccumOffset: 32
; Occupancy: 8
; WaveLimiterHint : 0
; COMPUTE_PGM_RSRC2:SCRATCH_EN: 0
; COMPUTE_PGM_RSRC2:USER_SGPR: 6
; COMPUTE_PGM_RSRC2:TRAP_HANDLER: 0
; COMPUTE_PGM_RSRC2:TGID_X_EN: 1
; COMPUTE_PGM_RSRC2:TGID_Y_EN: 0
; COMPUTE_PGM_RSRC2:TGID_Z_EN: 0
; COMPUTE_PGM_RSRC2:TIDIG_COMP_CNT: 0
; COMPUTE_PGM_RSRC3_GFX90A:ACCUM_OFFSET: 7
; COMPUTE_PGM_RSRC3_GFX90A:TG_SPLIT: 0
	.section	.text._ZN5aiter43moe_smooth_per_token_scaled_quant_kernel_v1ItDB8_Li256ELi8ELb0ELb1ELi1024EEEvPT0_PfPT_S4_PiS7_iiiii,"axG",@progbits,_ZN5aiter43moe_smooth_per_token_scaled_quant_kernel_v1ItDB8_Li256ELi8ELb0ELb1ELi1024EEEvPT0_PfPT_S4_PiS7_iiiii,comdat
	.protected	_ZN5aiter43moe_smooth_per_token_scaled_quant_kernel_v1ItDB8_Li256ELi8ELb0ELb1ELi1024EEEvPT0_PfPT_S4_PiS7_iiiii ; -- Begin function _ZN5aiter43moe_smooth_per_token_scaled_quant_kernel_v1ItDB8_Li256ELi8ELb0ELb1ELi1024EEEvPT0_PfPT_S4_PiS7_iiiii
	.globl	_ZN5aiter43moe_smooth_per_token_scaled_quant_kernel_v1ItDB8_Li256ELi8ELb0ELb1ELi1024EEEvPT0_PfPT_S4_PiS7_iiiii
	.p2align	8
	.type	_ZN5aiter43moe_smooth_per_token_scaled_quant_kernel_v1ItDB8_Li256ELi8ELb0ELb1ELi1024EEEvPT0_PfPT_S4_PiS7_iiiii,@function
_ZN5aiter43moe_smooth_per_token_scaled_quant_kernel_v1ItDB8_Li256ELi8ELb0ELb1ELi1024EEEvPT0_PfPT_S4_PiS7_iiiii: ; @_ZN5aiter43moe_smooth_per_token_scaled_quant_kernel_v1ItDB8_Li256ELi8ELb0ELb1ELi1024EEEvPT0_PfPT_S4_PiS7_iiiii
; %bb.0:
	s_load_dwordx4 s[8:11], s[4:5], 0x34
	s_load_dwordx4 s[12:15], s[4:5], 0x20
	s_load_dwordx2 s[16:17], s[4:5], 0x10
	v_and_b32_e32 v1, 0x3c0, v0
	v_lshlrev_b32_e32 v1, 2, v1
	v_lshlrev_b32_e32 v2, 2, v0
	v_readfirstlane_b32 s7, v1
	v_add_u32_e32 v3, 0x400, v1
	s_waitcnt lgkmcnt(0)
	s_lshl_b32 s2, s11, 2
	s_and_b32 s1, s15, 0xffff
	s_mov_b32 s3, 0x20000
	s_mov_b32 s0, s14
	;;#ASMSTART
	s_mov_b32 m0 s7
	buffer_load_dword v2, s[0:3], 0 offen offset:0 lds
	
	;;#ASMEND
	v_readfirstlane_b32 s7, v3
	v_add_u32_e32 v3, 0x400, v2
	;;#ASMSTART
	s_mov_b32 m0 s7
	buffer_load_dword v3, s[0:3], 0 offen offset:0 lds
	
	;;#ASMEND
	v_add_u32_e32 v3, 0x800, v1
	s_mul_i32 s20, s6, s8
	v_readfirstlane_b32 s7, v3
	v_add_u32_e32 v3, 0x800, v2
	;;#ASMSTART
	s_mov_b32 m0 s7
	buffer_load_dword v3, s[0:3], 0 offen offset:0 lds
	
	;;#ASMEND
	v_add_u32_e32 v1, 0xc00, v1
	s_ashr_i32 s21, s20, 31
	v_readfirstlane_b32 s7, v1
	v_add_u32_e32 v1, 0xc00, v2
	;;#ASMSTART
	s_mov_b32 m0 s7
	buffer_load_dword v1, s[0:3], 0 offen offset:0 lds
	
	;;#ASMEND
	s_lshl_b64 s[0:1], s[20:21], 2
	s_add_u32 s0, s12, s0
	v_and_b32_e32 v1, 63, v0
	s_addc_u32 s1, s13, s1
	s_lshl_b32 s2, s8, 2
	s_and_b32 s1, s1, 0xffff
	v_lshlrev_b32_e32 v2, 2, v1
	buffer_load_dword v16, v2, s[0:3], 0 offen
	s_mul_hi_i32 s1, s10, s6
	s_mul_i32 s0, s10, s6
	s_lshl_b64 s[0:1], s[0:1], 1
	s_add_u32 s0, s16, s0
	s_addc_u32 s1, s17, s1
	s_lshl_b32 s2, s9, 1
	s_and_b32 s1, s1, 0xffff
	v_lshlrev_b32_e32 v2, 4, v0
	buffer_load_dwordx4 v[2:5], v2, s[0:3], 0 offen
	v_cmp_gt_i32_e32 vcc, s8, v1
	s_waitcnt vmcnt(1)
	s_barrier
	v_cmp_gt_i32_e64 s[2:3], s11, v16
	v_cmp_lt_i32_e64 s[0:1], -1, v16
	s_and_b64 s[2:3], vcc, s[2:3]
	s_and_b64 s[2:3], s[2:3], s[0:1]
	s_and_saveexec_b64 s[0:1], s[2:3]
	s_cbranch_execz .LBB159_2
; %bb.1:
	v_lshlrev_b32_e32 v6, 2, v16
	ds_read_b32 v16, v6
.LBB159_2:
	s_or_b64 exec, exec, s[0:1]
	s_cmp_lt_i32 s8, 1
	s_cbranch_scc1 .LBB159_13
; %bb.3:
	s_add_i32 s2, s9, 7
	s_load_dwordx4 s[12:15], s[4:5], 0x0
	s_load_dwordx2 s[10:11], s[4:5], 0x18
	s_ashr_i32 s3, s2, 31
	s_add_i32 s4, s9, 3
	s_waitcnt vmcnt(0)
	v_cvt_f32_u32_sdwa v7, v2 dst_sel:DWORD dst_unused:UNUSED_PAD src0_sel:WORD_1
	v_cvt_f32_u32_sdwa v6, v2 dst_sel:DWORD dst_unused:UNUSED_PAD src0_sel:WORD_0
	v_cvt_f32_u32_sdwa v9, v3 dst_sel:DWORD dst_unused:UNUSED_PAD src0_sel:WORD_1
	v_cvt_f32_u32_sdwa v8, v3 dst_sel:DWORD dst_unused:UNUSED_PAD src0_sel:WORD_0
	;; [unrolled: 2-line block ×4, first 2 shown]
	s_lshr_b32 s3, s3, 29
	s_ashr_i32 s5, s4, 31
	v_cmp_eq_u32_e32 vcc, 63, v1
	v_lshrrev_b32_e32 v1, 4, v0
	v_mov_b32_e32 v4, 0x1000
	s_add_i32 s2, s2, s3
	s_lshr_b32 s5, s5, 30
	v_and_or_b32 v19, v1, 60, v4
	v_and_b32_e32 v1, 3, v0
	s_ashr_i32 s2, s2, 3
	s_add_i32 s4, s4, s5
	s_mov_b32 s21, 0xffff
	s_mov_b32 s22, s9
	v_lshlrev_b32_e32 v17, 3, v0
	s_lshl_b32 s6, s9, 2
	v_lshlrev_b32_e32 v18, 5, v0
	v_lshl_or_b32 v20, v1, 2, v4
	s_mov_b32 s23, 0
	v_cmp_eq_u32_e64 s[0:1], 0, v0
	v_cmp_gt_u32_e64 s[2:3], s2, v0
	s_and_b32 s18, s4, -4
	s_mov_b32 s7, 0x20000
	s_mov_b32 s9, 0x2edbe6ff
	v_mov_b32_e32 v21, 0
	v_mov_b32_e32 v22, 0xc3e00000
	;; [unrolled: 1-line block ×3, first 2 shown]
	s_mov_b32 s24, 0x5040100
	s_movk_i32 s25, 0xff
	s_branch .LBB159_6
.LBB159_4:                              ;   in Loop: Header=BB159_6 Depth=1
	s_or_b64 exec, exec, s[4:5]
.LBB159_5:                              ;   in Loop: Header=BB159_6 Depth=1
	s_add_i32 s23, s23, 1
	s_cmp_eq_u32 s8, s23
	s_cbranch_scc1 .LBB159_13
.LBB159_6:                              ; =>This Inner Loop Header: Depth=1
	s_waitcnt lgkmcnt(0)
	v_readlane_b32 s4, v16, s23
	s_cmp_lt_i32 s4, 0
	s_cbranch_scc1 .LBB159_5
; %bb.7:                                ;   in Loop: Header=BB159_6 Depth=1
	s_mul_i32 s4, s4, s22
	s_ashr_i32 s5, s4, 31
	s_lshl_b64 s[4:5], s[4:5], 2
	s_add_u32 s4, s10, s4
	s_addc_u32 s5, s11, s5
	s_and_b32 s5, s5, 0xffff
	buffer_load_dwordx4 v[24:27], v18, s[4:7], 0 offen
	buffer_load_dwordx4 v[28:31], v18, s[4:7], 16 offen
	s_waitcnt vmcnt(1)
	v_pk_mul_f32 v[14:15], v[24:25], v[6:7]
	v_pk_mul_f32 v[12:13], v[26:27], v[8:9]
	v_max3_f32 v24, |v14|, s9, |v15|
	s_waitcnt vmcnt(0)
	v_pk_mul_f32 v[4:5], v[28:29], v[2:3]
	v_max3_f32 v24, v24, |v12|, |v13|
	v_pk_mul_f32 v[0:1], v[30:31], v[10:11]
	v_max3_f32 v24, v24, |v4|, |v5|
	v_max3_f32 v24, v24, |v0|, |v1|
	s_nop 1
	v_mov_b32_dpp v25, v24 quad_perm:[1,0,3,2] row_mask:0xf bank_mask:0xf
	v_cmp_gt_f32_e64 s[4:5], v24, v25
	v_cndmask_b32_e64 v24, v25, v24, s[4:5]
	s_nop 1
	v_mov_b32_dpp v25, v24 quad_perm:[2,3,0,1] row_mask:0xf bank_mask:0xf
	v_cmp_gt_f32_e64 s[4:5], v24, v25
	v_cndmask_b32_e64 v24, v25, v24, s[4:5]
	s_nop 1
	v_mov_b32_dpp v25, v24 row_half_mirror row_mask:0xf bank_mask:0xf
	v_cmp_gt_f32_e64 s[4:5], v24, v25
	v_cndmask_b32_e64 v24, v25, v24, s[4:5]
	s_nop 1
	v_mov_b32_dpp v25, v24 row_mirror row_mask:0xf bank_mask:0xf
	v_cmp_gt_f32_e64 s[4:5], v24, v25
	v_cndmask_b32_e64 v24, v25, v24, s[4:5]
	s_nop 1
	v_mov_b32_dpp v25, v24 row_bcast:15 row_mask:0xf bank_mask:0xf
	v_cmp_gt_f32_e64 s[4:5], v24, v25
	v_cndmask_b32_e64 v24, v25, v24, s[4:5]
	s_nop 1
	v_mov_b32_dpp v25, v24 row_bcast:31 row_mask:0xf bank_mask:0xf
	s_and_saveexec_b64 s[16:17], vcc
	s_cbranch_execz .LBB159_9
; %bb.8:                                ;   in Loop: Header=BB159_6 Depth=1
	v_cmp_gt_f32_e64 s[4:5], v24, v25
	v_cndmask_b32_e64 v24, v25, v24, s[4:5]
	ds_write_b32 v19, v24
.LBB159_9:                              ;   in Loop: Header=BB159_6 Depth=1
	s_or_b64 exec, exec, s[16:17]
	s_waitcnt lgkmcnt(0)
	s_barrier
	ds_read_b32 v24, v20
	s_add_i32 s16, s20, s23
	s_waitcnt lgkmcnt(0)
	v_mov_b32_dpp v25, v24 quad_perm:[1,0,3,2] row_mask:0xf bank_mask:0xf
	v_cmp_gt_f32_e64 s[4:5], v24, v25
	v_cndmask_b32_e64 v24, v25, v24, s[4:5]
	s_nop 1
	v_mov_b32_dpp v25, v24 quad_perm:[2,3,0,1] row_mask:0xf bank_mask:0xf
	v_cmp_gt_f32_e64 s[4:5], v24, v25
	v_cndmask_b32_e64 v24, v25, v24, s[4:5]
	v_mul_f32_e32 v24, 0x3b124925, v24
	s_and_saveexec_b64 s[4:5], s[0:1]
	s_cbranch_execz .LBB159_11
; %bb.10:                               ;   in Loop: Header=BB159_6 Depth=1
	s_ashr_i32 s17, s16, 31
	s_lshl_b64 s[26:27], s[16:17], 2
	s_add_u32 s26, s14, s26
	s_addc_u32 s27, s15, s27
	global_store_dword v21, v24, s[26:27]
.LBB159_11:                             ;   in Loop: Header=BB159_6 Depth=1
	s_or_b64 exec, exec, s[4:5]
	s_and_saveexec_b64 s[4:5], s[2:3]
	s_cbranch_execz .LBB159_4
; %bb.12:                               ;   in Loop: Header=BB159_6 Depth=1
	v_rcp_f32_e32 v24, v24
	s_mul_hi_i32 s17, s16, s22
	s_mul_i32 s16, s16, s22
	s_add_u32 s16, s12, s16
	v_mov_b32_e32 v25, v24
	;;#ASMSTART
	v_pk_mul_f32 v[14:15], v[14:15], v[24:25]
	;;#ASMEND
	;;#ASMSTART
	v_med3_f32 v14, v14, v22, v23
v_med3_f32 v15, v15, v22, v23
v_cvt_pk_fp8_f32 v26, v14, v15
	;;#ASMEND
	;;#ASMSTART
	v_pk_mul_f32 v[12:13], v[12:13], v[24:25]
	;;#ASMEND
	;;#ASMSTART
	v_med3_f32 v12, v12, v22, v23
v_med3_f32 v13, v13, v22, v23
v_cvt_pk_fp8_f32 v14, v12, v13
	;;#ASMEND
	v_perm_b32 v13, v14, v26, s24
	v_and_b32_e32 v12, 0xffffff00, v14
	v_and_b32_sdwa v14, v13, s25 dst_sel:DWORD dst_unused:UNUSED_PAD src0_sel:WORD_1 src1_sel:DWORD
	v_or_b32_sdwa v12, v14, v12 dst_sel:WORD_1 dst_unused:UNUSED_PAD src0_sel:DWORD src1_sel:DWORD
	;;#ASMSTART
	v_pk_mul_f32 v[4:5], v[4:5], v[24:25]
	;;#ASMEND
	v_and_or_b32 v12, v13, s21, v12
	;;#ASMSTART
	v_med3_f32 v4, v4, v22, v23
v_med3_f32 v5, v5, v22, v23
v_cvt_pk_fp8_f32 v13, v4, v5
	;;#ASMEND
	;;#ASMSTART
	v_pk_mul_f32 v[0:1], v[0:1], v[24:25]
	;;#ASMEND
	;;#ASMSTART
	v_med3_f32 v0, v0, v22, v23
v_med3_f32 v1, v1, v22, v23
v_cvt_pk_fp8_f32 v4, v0, v1
	;;#ASMEND
	s_addc_u32 s17, s13, s17
	v_lshlrev_b32_e32 v0, 16, v4
	s_and_b32 s17, s17, 0xffff
	s_mov_b32 s19, s7
	v_and_or_b32 v13, v13, s21, v0
	buffer_store_dwordx2 v[12:13], v17, s[16:19], 0 offen
	;;#ASMSTART
	s_nop 0
	;;#ASMEND
	s_branch .LBB159_4
.LBB159_13:
	s_endpgm
	.section	.rodata,"a",@progbits
	.p2align	6, 0x0
	.amdhsa_kernel _ZN5aiter43moe_smooth_per_token_scaled_quant_kernel_v1ItDB8_Li256ELi8ELb0ELb1ELi1024EEEvPT0_PfPT_S4_PiS7_iiiii
		.amdhsa_group_segment_fixed_size 4112
		.amdhsa_private_segment_fixed_size 0
		.amdhsa_kernarg_size 68
		.amdhsa_user_sgpr_count 6
		.amdhsa_user_sgpr_private_segment_buffer 1
		.amdhsa_user_sgpr_dispatch_ptr 0
		.amdhsa_user_sgpr_queue_ptr 0
		.amdhsa_user_sgpr_kernarg_segment_ptr 1
		.amdhsa_user_sgpr_dispatch_id 0
		.amdhsa_user_sgpr_flat_scratch_init 0
		.amdhsa_user_sgpr_kernarg_preload_length 0
		.amdhsa_user_sgpr_kernarg_preload_offset 0
		.amdhsa_user_sgpr_private_segment_size 0
		.amdhsa_uses_dynamic_stack 0
		.amdhsa_system_sgpr_private_segment_wavefront_offset 0
		.amdhsa_system_sgpr_workgroup_id_x 1
		.amdhsa_system_sgpr_workgroup_id_y 0
		.amdhsa_system_sgpr_workgroup_id_z 0
		.amdhsa_system_sgpr_workgroup_info 0
		.amdhsa_system_vgpr_workitem_id 0
		.amdhsa_next_free_vgpr 32
		.amdhsa_next_free_sgpr 28
		.amdhsa_accum_offset 32
		.amdhsa_reserve_vcc 1
		.amdhsa_reserve_flat_scratch 0
		.amdhsa_float_round_mode_32 0
		.amdhsa_float_round_mode_16_64 0
		.amdhsa_float_denorm_mode_32 3
		.amdhsa_float_denorm_mode_16_64 3
		.amdhsa_dx10_clamp 1
		.amdhsa_ieee_mode 1
		.amdhsa_fp16_overflow 0
		.amdhsa_tg_split 0
		.amdhsa_exception_fp_ieee_invalid_op 0
		.amdhsa_exception_fp_denorm_src 0
		.amdhsa_exception_fp_ieee_div_zero 0
		.amdhsa_exception_fp_ieee_overflow 0
		.amdhsa_exception_fp_ieee_underflow 0
		.amdhsa_exception_fp_ieee_inexact 0
		.amdhsa_exception_int_div_zero 0
	.end_amdhsa_kernel
	.section	.text._ZN5aiter43moe_smooth_per_token_scaled_quant_kernel_v1ItDB8_Li256ELi8ELb0ELb1ELi1024EEEvPT0_PfPT_S4_PiS7_iiiii,"axG",@progbits,_ZN5aiter43moe_smooth_per_token_scaled_quant_kernel_v1ItDB8_Li256ELi8ELb0ELb1ELi1024EEEvPT0_PfPT_S4_PiS7_iiiii,comdat
.Lfunc_end159:
	.size	_ZN5aiter43moe_smooth_per_token_scaled_quant_kernel_v1ItDB8_Li256ELi8ELb0ELb1ELi1024EEEvPT0_PfPT_S4_PiS7_iiiii, .Lfunc_end159-_ZN5aiter43moe_smooth_per_token_scaled_quant_kernel_v1ItDB8_Li256ELi8ELb0ELb1ELi1024EEEvPT0_PfPT_S4_PiS7_iiiii
                                        ; -- End function
	.section	.AMDGPU.csdata,"",@progbits
; Kernel info:
; codeLenInByte = 1320
; NumSgprs: 32
; NumVgprs: 32
; NumAgprs: 0
; TotalNumVgprs: 32
; ScratchSize: 0
; MemoryBound: 0
; FloatMode: 240
; IeeeMode: 1
; LDSByteSize: 4112 bytes/workgroup (compile time only)
; SGPRBlocks: 3
; VGPRBlocks: 3
; NumSGPRsForWavesPerEU: 32
; NumVGPRsForWavesPerEU: 32
; AccumOffset: 32
; Occupancy: 8
; WaveLimiterHint : 0
; COMPUTE_PGM_RSRC2:SCRATCH_EN: 0
; COMPUTE_PGM_RSRC2:USER_SGPR: 6
; COMPUTE_PGM_RSRC2:TRAP_HANDLER: 0
; COMPUTE_PGM_RSRC2:TGID_X_EN: 1
; COMPUTE_PGM_RSRC2:TGID_Y_EN: 0
; COMPUTE_PGM_RSRC2:TGID_Z_EN: 0
; COMPUTE_PGM_RSRC2:TIDIG_COMP_CNT: 0
; COMPUTE_PGM_RSRC3_GFX90A:ACCUM_OFFSET: 7
; COMPUTE_PGM_RSRC3_GFX90A:TG_SPLIT: 0
	.section	.text._ZN5aiter43moe_smooth_per_token_scaled_quant_kernel_v1IDF16_DB8_Li256ELi8ELb0ELb0ELi1024EEEvPT0_PfPT_S4_PiS7_iiiii,"axG",@progbits,_ZN5aiter43moe_smooth_per_token_scaled_quant_kernel_v1IDF16_DB8_Li256ELi8ELb0ELb0ELi1024EEEvPT0_PfPT_S4_PiS7_iiiii,comdat
	.protected	_ZN5aiter43moe_smooth_per_token_scaled_quant_kernel_v1IDF16_DB8_Li256ELi8ELb0ELb0ELi1024EEEvPT0_PfPT_S4_PiS7_iiiii ; -- Begin function _ZN5aiter43moe_smooth_per_token_scaled_quant_kernel_v1IDF16_DB8_Li256ELi8ELb0ELb0ELi1024EEEvPT0_PfPT_S4_PiS7_iiiii
	.globl	_ZN5aiter43moe_smooth_per_token_scaled_quant_kernel_v1IDF16_DB8_Li256ELi8ELb0ELb0ELi1024EEEvPT0_PfPT_S4_PiS7_iiiii
	.p2align	8
	.type	_ZN5aiter43moe_smooth_per_token_scaled_quant_kernel_v1IDF16_DB8_Li256ELi8ELb0ELb0ELi1024EEEvPT0_PfPT_S4_PiS7_iiiii,@function
_ZN5aiter43moe_smooth_per_token_scaled_quant_kernel_v1IDF16_DB8_Li256ELi8ELb0ELb0ELi1024EEEvPT0_PfPT_S4_PiS7_iiiii: ; @_ZN5aiter43moe_smooth_per_token_scaled_quant_kernel_v1IDF16_DB8_Li256ELi8ELb0ELb0ELi1024EEEvPT0_PfPT_S4_PiS7_iiiii
; %bb.0:
	s_load_dwordx4 s[8:11], s[4:5], 0x34
	s_load_dwordx2 s[0:1], s[4:5], 0x10
	s_load_dwordx2 s[2:3], s[4:5], 0x20
	v_and_b32_e32 v1, 63, v0
	s_mov_b32 s15, 0x20000
	s_waitcnt lgkmcnt(0)
	s_mul_i32 s20, s6, s8
	s_ashr_i32 s21, s20, 31
	s_lshl_b64 s[12:13], s[20:21], 2
	s_add_u32 s12, s2, s12
	s_addc_u32 s2, s3, s13
	s_and_b32 s13, s2, 0xffff
	s_mul_hi_i32 s3, s10, s6
	s_mul_i32 s2, s10, s6
	s_lshl_b32 s14, s8, 2
	v_lshlrev_b32_e32 v2, 2, v1
	s_lshl_b64 s[2:3], s[2:3], 1
	buffer_load_dword v16, v2, s[12:15], 0 offen
	s_add_u32 s12, s0, s2
	s_addc_u32 s0, s1, s3
	s_lshl_b32 s14, s9, 1
	s_and_b32 s13, s0, 0xffff
	v_lshlrev_b32_e32 v2, 4, v0
	buffer_load_dwordx4 v[2:5], v2, s[12:15], 0 offen
	s_mov_b32 s21, 0xffff
	s_mov_b32 s22, 0
	s_cmp_lt_i32 s8, 1
	s_waitcnt vmcnt(1)
	s_barrier
	s_cbranch_scc1 .LBB160_11
; %bb.1:
	s_add_i32 s2, s9, 7
	s_load_dwordx4 s[16:19], s[4:5], 0x0
	s_load_dwordx2 s[10:11], s[4:5], 0x18
	s_ashr_i32 s3, s2, 31
	s_add_i32 s4, s9, 3
	s_waitcnt vmcnt(0)
	v_cvt_f32_f16_sdwa v7, v2 dst_sel:DWORD dst_unused:UNUSED_PAD src0_sel:WORD_1
	v_cvt_f32_f16_e32 v6, v2
	v_cvt_f32_f16_sdwa v9, v3 dst_sel:DWORD dst_unused:UNUSED_PAD src0_sel:WORD_1
	v_cvt_f32_f16_e32 v8, v3
	;; [unrolled: 2-line block ×4, first 2 shown]
	s_lshr_b32 s3, s3, 29
	s_ashr_i32 s5, s4, 31
	v_cmp_eq_u32_e32 vcc, 63, v1
	v_lshrrev_b32_e32 v1, 4, v0
	s_add_i32 s2, s2, s3
	s_lshr_b32 s5, s5, 30
	v_and_b32_e32 v19, 60, v1
	v_and_b32_e32 v1, 3, v0
	s_ashr_i32 s2, s2, 3
	s_add_i32 s4, s4, s5
	s_mov_b32 s23, s9
	v_lshlrev_b32_e32 v17, 3, v0
	s_lshl_b32 s14, s9, 2
	v_lshlrev_b32_e32 v18, 5, v0
	v_lshlrev_b32_e32 v20, 2, v1
	v_cmp_eq_u32_e64 s[0:1], 0, v0
	v_cmp_gt_u32_e64 s[2:3], s2, v0
	s_and_b32 s6, s4, -4
	s_mov_b32 s9, 0x2edbe6ff
	v_mov_b32_e32 v21, 0
	v_mov_b32_e32 v22, 0xc3e00000
	;; [unrolled: 1-line block ×3, first 2 shown]
	s_mov_b32 s24, 0x5040100
	s_movk_i32 s25, 0xff
	s_branch .LBB160_4
.LBB160_2:                              ;   in Loop: Header=BB160_4 Depth=1
	s_or_b64 exec, exec, s[12:13]
.LBB160_3:                              ;   in Loop: Header=BB160_4 Depth=1
	s_add_i32 s22, s22, 1
	s_cmp_eq_u32 s8, s22
	s_cbranch_scc1 .LBB160_11
.LBB160_4:                              ; =>This Inner Loop Header: Depth=1
	v_readlane_b32 s4, v16, s22
	s_cmp_lt_i32 s4, 0
	s_cbranch_scc1 .LBB160_3
; %bb.5:                                ;   in Loop: Header=BB160_4 Depth=1
	s_mul_i32 s4, s4, s23
	s_ashr_i32 s5, s4, 31
	s_lshl_b64 s[4:5], s[4:5], 2
	s_waitcnt lgkmcnt(0)
	s_add_u32 s12, s10, s4
	s_addc_u32 s4, s11, s5
	s_and_b32 s13, s4, 0xffff
	buffer_load_dwordx4 v[24:27], v18, s[12:15], 0 offen
	buffer_load_dwordx4 v[28:31], v18, s[12:15], 16 offen
	s_waitcnt vmcnt(1)
	v_pk_mul_f32 v[14:15], v[24:25], v[6:7]
	v_pk_mul_f32 v[12:13], v[26:27], v[8:9]
	v_max3_f32 v24, |v14|, s9, |v15|
	s_waitcnt vmcnt(0)
	v_pk_mul_f32 v[4:5], v[28:29], v[2:3]
	v_max3_f32 v24, v24, |v12|, |v13|
	v_pk_mul_f32 v[0:1], v[30:31], v[10:11]
	v_max3_f32 v24, v24, |v4|, |v5|
	v_max3_f32 v24, v24, |v0|, |v1|
	s_nop 1
	v_mov_b32_dpp v25, v24 quad_perm:[1,0,3,2] row_mask:0xf bank_mask:0xf
	v_cmp_gt_f32_e64 s[4:5], v24, v25
	v_cndmask_b32_e64 v24, v25, v24, s[4:5]
	s_nop 1
	v_mov_b32_dpp v25, v24 quad_perm:[2,3,0,1] row_mask:0xf bank_mask:0xf
	v_cmp_gt_f32_e64 s[4:5], v24, v25
	v_cndmask_b32_e64 v24, v25, v24, s[4:5]
	s_nop 1
	v_mov_b32_dpp v25, v24 row_half_mirror row_mask:0xf bank_mask:0xf
	v_cmp_gt_f32_e64 s[4:5], v24, v25
	v_cndmask_b32_e64 v24, v25, v24, s[4:5]
	s_nop 1
	v_mov_b32_dpp v25, v24 row_mirror row_mask:0xf bank_mask:0xf
	v_cmp_gt_f32_e64 s[4:5], v24, v25
	v_cndmask_b32_e64 v24, v25, v24, s[4:5]
	s_nop 1
	v_mov_b32_dpp v25, v24 row_bcast:15 row_mask:0xf bank_mask:0xf
	v_cmp_gt_f32_e64 s[4:5], v24, v25
	v_cndmask_b32_e64 v24, v25, v24, s[4:5]
	s_nop 1
	v_mov_b32_dpp v25, v24 row_bcast:31 row_mask:0xf bank_mask:0xf
	s_and_saveexec_b64 s[12:13], vcc
	s_cbranch_execz .LBB160_7
; %bb.6:                                ;   in Loop: Header=BB160_4 Depth=1
	v_cmp_gt_f32_e64 s[4:5], v24, v25
	v_cndmask_b32_e64 v24, v25, v24, s[4:5]
	ds_write_b32 v19, v24
.LBB160_7:                              ;   in Loop: Header=BB160_4 Depth=1
	s_or_b64 exec, exec, s[12:13]
	s_waitcnt lgkmcnt(0)
	s_barrier
	ds_read_b32 v24, v20
	s_waitcnt lgkmcnt(0)
	s_nop 0
	v_mov_b32_dpp v25, v24 quad_perm:[1,0,3,2] row_mask:0xf bank_mask:0xf
	v_cmp_gt_f32_e64 s[4:5], v24, v25
	v_cndmask_b32_e64 v24, v25, v24, s[4:5]
	s_nop 1
	v_mov_b32_dpp v25, v24 quad_perm:[2,3,0,1] row_mask:0xf bank_mask:0xf
	v_cmp_gt_f32_e64 s[4:5], v24, v25
	v_cndmask_b32_e64 v24, v25, v24, s[4:5]
	v_mul_f32_e32 v24, 0x3b124925, v24
	s_add_i32 s4, s20, s22
	s_and_saveexec_b64 s[12:13], s[0:1]
	s_cbranch_execz .LBB160_9
; %bb.8:                                ;   in Loop: Header=BB160_4 Depth=1
	s_ashr_i32 s5, s4, 31
	s_lshl_b64 s[26:27], s[4:5], 2
	s_add_u32 s26, s18, s26
	s_addc_u32 s27, s19, s27
	global_store_dword v21, v24, s[26:27]
.LBB160_9:                              ;   in Loop: Header=BB160_4 Depth=1
	s_or_b64 exec, exec, s[12:13]
	s_and_saveexec_b64 s[12:13], s[2:3]
	s_cbranch_execz .LBB160_2
; %bb.10:                               ;   in Loop: Header=BB160_4 Depth=1
	v_rcp_f32_e32 v24, v24
	s_mul_hi_i32 s5, s4, s23
	s_mul_i32 s4, s4, s23
	s_add_u32 s4, s16, s4
	v_mov_b32_e32 v25, v24
	;;#ASMSTART
	v_pk_mul_f32 v[14:15], v[14:15], v[24:25]
	;;#ASMEND
	;;#ASMSTART
	v_med3_f32 v14, v14, v22, v23
v_med3_f32 v15, v15, v22, v23
v_cvt_pk_fp8_f32 v26, v14, v15
	;;#ASMEND
	;;#ASMSTART
	v_pk_mul_f32 v[12:13], v[12:13], v[24:25]
	;;#ASMEND
	;;#ASMSTART
	v_med3_f32 v12, v12, v22, v23
v_med3_f32 v13, v13, v22, v23
v_cvt_pk_fp8_f32 v14, v12, v13
	;;#ASMEND
	v_perm_b32 v13, v14, v26, s24
	v_and_b32_e32 v12, 0xffffff00, v14
	v_and_b32_sdwa v14, v13, s25 dst_sel:DWORD dst_unused:UNUSED_PAD src0_sel:WORD_1 src1_sel:DWORD
	v_or_b32_sdwa v12, v14, v12 dst_sel:WORD_1 dst_unused:UNUSED_PAD src0_sel:DWORD src1_sel:DWORD
	;;#ASMSTART
	v_pk_mul_f32 v[4:5], v[4:5], v[24:25]
	;;#ASMEND
	v_and_or_b32 v12, v13, s21, v12
	;;#ASMSTART
	v_med3_f32 v4, v4, v22, v23
v_med3_f32 v5, v5, v22, v23
v_cvt_pk_fp8_f32 v13, v4, v5
	;;#ASMEND
	;;#ASMSTART
	v_pk_mul_f32 v[0:1], v[0:1], v[24:25]
	;;#ASMEND
	;;#ASMSTART
	v_med3_f32 v0, v0, v22, v23
v_med3_f32 v1, v1, v22, v23
v_cvt_pk_fp8_f32 v4, v0, v1
	;;#ASMEND
	s_addc_u32 s5, s17, s5
	v_lshlrev_b32_e32 v0, 16, v4
	s_and_b32 s5, s5, 0xffff
	s_mov_b32 s7, s15
	v_and_or_b32 v13, v13, s21, v0
	buffer_store_dwordx2 v[12:13], v17, s[4:7], 0 offen
	;;#ASMSTART
	s_nop 0
	;;#ASMEND
	s_branch .LBB160_2
.LBB160_11:
	s_endpgm
	.section	.rodata,"a",@progbits
	.p2align	6, 0x0
	.amdhsa_kernel _ZN5aiter43moe_smooth_per_token_scaled_quant_kernel_v1IDF16_DB8_Li256ELi8ELb0ELb0ELi1024EEEvPT0_PfPT_S4_PiS7_iiiii
		.amdhsa_group_segment_fixed_size 16
		.amdhsa_private_segment_fixed_size 0
		.amdhsa_kernarg_size 68
		.amdhsa_user_sgpr_count 6
		.amdhsa_user_sgpr_private_segment_buffer 1
		.amdhsa_user_sgpr_dispatch_ptr 0
		.amdhsa_user_sgpr_queue_ptr 0
		.amdhsa_user_sgpr_kernarg_segment_ptr 1
		.amdhsa_user_sgpr_dispatch_id 0
		.amdhsa_user_sgpr_flat_scratch_init 0
		.amdhsa_user_sgpr_kernarg_preload_length 0
		.amdhsa_user_sgpr_kernarg_preload_offset 0
		.amdhsa_user_sgpr_private_segment_size 0
		.amdhsa_uses_dynamic_stack 0
		.amdhsa_system_sgpr_private_segment_wavefront_offset 0
		.amdhsa_system_sgpr_workgroup_id_x 1
		.amdhsa_system_sgpr_workgroup_id_y 0
		.amdhsa_system_sgpr_workgroup_id_z 0
		.amdhsa_system_sgpr_workgroup_info 0
		.amdhsa_system_vgpr_workitem_id 0
		.amdhsa_next_free_vgpr 32
		.amdhsa_next_free_sgpr 28
		.amdhsa_accum_offset 32
		.amdhsa_reserve_vcc 1
		.amdhsa_reserve_flat_scratch 0
		.amdhsa_float_round_mode_32 0
		.amdhsa_float_round_mode_16_64 0
		.amdhsa_float_denorm_mode_32 3
		.amdhsa_float_denorm_mode_16_64 3
		.amdhsa_dx10_clamp 1
		.amdhsa_ieee_mode 1
		.amdhsa_fp16_overflow 0
		.amdhsa_tg_split 0
		.amdhsa_exception_fp_ieee_invalid_op 0
		.amdhsa_exception_fp_denorm_src 0
		.amdhsa_exception_fp_ieee_div_zero 0
		.amdhsa_exception_fp_ieee_overflow 0
		.amdhsa_exception_fp_ieee_underflow 0
		.amdhsa_exception_fp_ieee_inexact 0
		.amdhsa_exception_int_div_zero 0
	.end_amdhsa_kernel
	.section	.text._ZN5aiter43moe_smooth_per_token_scaled_quant_kernel_v1IDF16_DB8_Li256ELi8ELb0ELb0ELi1024EEEvPT0_PfPT_S4_PiS7_iiiii,"axG",@progbits,_ZN5aiter43moe_smooth_per_token_scaled_quant_kernel_v1IDF16_DB8_Li256ELi8ELb0ELb0ELi1024EEEvPT0_PfPT_S4_PiS7_iiiii,comdat
.Lfunc_end160:
	.size	_ZN5aiter43moe_smooth_per_token_scaled_quant_kernel_v1IDF16_DB8_Li256ELi8ELb0ELb0ELi1024EEEvPT0_PfPT_S4_PiS7_iiiii, .Lfunc_end160-_ZN5aiter43moe_smooth_per_token_scaled_quant_kernel_v1IDF16_DB8_Li256ELi8ELb0ELb0ELi1024EEEvPT0_PfPT_S4_PiS7_iiiii
                                        ; -- End function
	.section	.AMDGPU.csdata,"",@progbits
; Kernel info:
; codeLenInByte = 1072
; NumSgprs: 32
; NumVgprs: 32
; NumAgprs: 0
; TotalNumVgprs: 32
; ScratchSize: 0
; MemoryBound: 0
; FloatMode: 240
; IeeeMode: 1
; LDSByteSize: 16 bytes/workgroup (compile time only)
; SGPRBlocks: 3
; VGPRBlocks: 3
; NumSGPRsForWavesPerEU: 32
; NumVGPRsForWavesPerEU: 32
; AccumOffset: 32
; Occupancy: 8
; WaveLimiterHint : 0
; COMPUTE_PGM_RSRC2:SCRATCH_EN: 0
; COMPUTE_PGM_RSRC2:USER_SGPR: 6
; COMPUTE_PGM_RSRC2:TRAP_HANDLER: 0
; COMPUTE_PGM_RSRC2:TGID_X_EN: 1
; COMPUTE_PGM_RSRC2:TGID_Y_EN: 0
; COMPUTE_PGM_RSRC2:TGID_Z_EN: 0
; COMPUTE_PGM_RSRC2:TIDIG_COMP_CNT: 0
; COMPUTE_PGM_RSRC3_GFX90A:ACCUM_OFFSET: 7
; COMPUTE_PGM_RSRC3_GFX90A:TG_SPLIT: 0
	.section	.text._ZN5aiter43moe_smooth_per_token_scaled_quant_kernel_v1ItDB8_Li256ELi8ELb0ELb0ELi1024EEEvPT0_PfPT_S4_PiS7_iiiii,"axG",@progbits,_ZN5aiter43moe_smooth_per_token_scaled_quant_kernel_v1ItDB8_Li256ELi8ELb0ELb0ELi1024EEEvPT0_PfPT_S4_PiS7_iiiii,comdat
	.protected	_ZN5aiter43moe_smooth_per_token_scaled_quant_kernel_v1ItDB8_Li256ELi8ELb0ELb0ELi1024EEEvPT0_PfPT_S4_PiS7_iiiii ; -- Begin function _ZN5aiter43moe_smooth_per_token_scaled_quant_kernel_v1ItDB8_Li256ELi8ELb0ELb0ELi1024EEEvPT0_PfPT_S4_PiS7_iiiii
	.globl	_ZN5aiter43moe_smooth_per_token_scaled_quant_kernel_v1ItDB8_Li256ELi8ELb0ELb0ELi1024EEEvPT0_PfPT_S4_PiS7_iiiii
	.p2align	8
	.type	_ZN5aiter43moe_smooth_per_token_scaled_quant_kernel_v1ItDB8_Li256ELi8ELb0ELb0ELi1024EEEvPT0_PfPT_S4_PiS7_iiiii,@function
_ZN5aiter43moe_smooth_per_token_scaled_quant_kernel_v1ItDB8_Li256ELi8ELb0ELb0ELi1024EEEvPT0_PfPT_S4_PiS7_iiiii: ; @_ZN5aiter43moe_smooth_per_token_scaled_quant_kernel_v1ItDB8_Li256ELi8ELb0ELb0ELi1024EEEvPT0_PfPT_S4_PiS7_iiiii
; %bb.0:
	s_load_dwordx4 s[8:11], s[4:5], 0x34
	s_load_dwordx2 s[0:1], s[4:5], 0x10
	s_load_dwordx2 s[2:3], s[4:5], 0x20
	v_and_b32_e32 v1, 63, v0
	s_mov_b32 s15, 0x20000
	s_waitcnt lgkmcnt(0)
	s_mul_i32 s20, s6, s8
	s_ashr_i32 s21, s20, 31
	s_lshl_b64 s[12:13], s[20:21], 2
	s_add_u32 s12, s2, s12
	s_addc_u32 s2, s3, s13
	s_and_b32 s13, s2, 0xffff
	s_mul_hi_i32 s3, s10, s6
	s_mul_i32 s2, s10, s6
	s_lshl_b32 s14, s8, 2
	v_lshlrev_b32_e32 v2, 2, v1
	s_lshl_b64 s[2:3], s[2:3], 1
	buffer_load_dword v16, v2, s[12:15], 0 offen
	s_add_u32 s12, s0, s2
	s_addc_u32 s0, s1, s3
	s_lshl_b32 s14, s9, 1
	s_and_b32 s13, s0, 0xffff
	v_lshlrev_b32_e32 v2, 4, v0
	buffer_load_dwordx4 v[2:5], v2, s[12:15], 0 offen
	s_mov_b32 s21, 0xffff
	s_mov_b32 s22, 0
	s_cmp_lt_i32 s8, 1
	s_waitcnt vmcnt(1)
	s_barrier
	s_cbranch_scc1 .LBB161_11
; %bb.1:
	s_add_i32 s2, s9, 7
	s_load_dwordx4 s[16:19], s[4:5], 0x0
	s_load_dwordx2 s[10:11], s[4:5], 0x18
	s_ashr_i32 s3, s2, 31
	s_add_i32 s4, s9, 3
	s_waitcnt vmcnt(0)
	v_cvt_f32_u32_sdwa v7, v2 dst_sel:DWORD dst_unused:UNUSED_PAD src0_sel:WORD_1
	v_cvt_f32_u32_sdwa v6, v2 dst_sel:DWORD dst_unused:UNUSED_PAD src0_sel:WORD_0
	v_cvt_f32_u32_sdwa v9, v3 dst_sel:DWORD dst_unused:UNUSED_PAD src0_sel:WORD_1
	v_cvt_f32_u32_sdwa v8, v3 dst_sel:DWORD dst_unused:UNUSED_PAD src0_sel:WORD_0
	;; [unrolled: 2-line block ×4, first 2 shown]
	s_lshr_b32 s3, s3, 29
	s_ashr_i32 s5, s4, 31
	v_cmp_eq_u32_e32 vcc, 63, v1
	v_lshrrev_b32_e32 v1, 4, v0
	s_add_i32 s2, s2, s3
	s_lshr_b32 s5, s5, 30
	v_and_b32_e32 v19, 60, v1
	v_and_b32_e32 v1, 3, v0
	s_ashr_i32 s2, s2, 3
	s_add_i32 s4, s4, s5
	s_mov_b32 s23, s9
	v_lshlrev_b32_e32 v17, 3, v0
	s_lshl_b32 s14, s9, 2
	v_lshlrev_b32_e32 v18, 5, v0
	v_lshlrev_b32_e32 v20, 2, v1
	v_cmp_eq_u32_e64 s[0:1], 0, v0
	v_cmp_gt_u32_e64 s[2:3], s2, v0
	s_and_b32 s6, s4, -4
	s_mov_b32 s9, 0x2edbe6ff
	v_mov_b32_e32 v21, 0
	v_mov_b32_e32 v22, 0xc3e00000
	;; [unrolled: 1-line block ×3, first 2 shown]
	s_mov_b32 s24, 0x5040100
	s_movk_i32 s25, 0xff
	s_branch .LBB161_4
.LBB161_2:                              ;   in Loop: Header=BB161_4 Depth=1
	s_or_b64 exec, exec, s[12:13]
.LBB161_3:                              ;   in Loop: Header=BB161_4 Depth=1
	s_add_i32 s22, s22, 1
	s_cmp_eq_u32 s8, s22
	s_cbranch_scc1 .LBB161_11
.LBB161_4:                              ; =>This Inner Loop Header: Depth=1
	v_readlane_b32 s4, v16, s22
	s_cmp_lt_i32 s4, 0
	s_cbranch_scc1 .LBB161_3
; %bb.5:                                ;   in Loop: Header=BB161_4 Depth=1
	s_mul_i32 s4, s4, s23
	s_ashr_i32 s5, s4, 31
	s_lshl_b64 s[4:5], s[4:5], 2
	s_waitcnt lgkmcnt(0)
	s_add_u32 s12, s10, s4
	s_addc_u32 s4, s11, s5
	s_and_b32 s13, s4, 0xffff
	buffer_load_dwordx4 v[24:27], v18, s[12:15], 0 offen
	buffer_load_dwordx4 v[28:31], v18, s[12:15], 16 offen
	s_waitcnt vmcnt(1)
	v_pk_mul_f32 v[14:15], v[24:25], v[6:7]
	v_pk_mul_f32 v[12:13], v[26:27], v[8:9]
	v_max3_f32 v24, |v14|, s9, |v15|
	s_waitcnt vmcnt(0)
	v_pk_mul_f32 v[4:5], v[28:29], v[2:3]
	v_max3_f32 v24, v24, |v12|, |v13|
	v_pk_mul_f32 v[0:1], v[30:31], v[10:11]
	v_max3_f32 v24, v24, |v4|, |v5|
	v_max3_f32 v24, v24, |v0|, |v1|
	s_nop 1
	v_mov_b32_dpp v25, v24 quad_perm:[1,0,3,2] row_mask:0xf bank_mask:0xf
	v_cmp_gt_f32_e64 s[4:5], v24, v25
	v_cndmask_b32_e64 v24, v25, v24, s[4:5]
	s_nop 1
	v_mov_b32_dpp v25, v24 quad_perm:[2,3,0,1] row_mask:0xf bank_mask:0xf
	v_cmp_gt_f32_e64 s[4:5], v24, v25
	v_cndmask_b32_e64 v24, v25, v24, s[4:5]
	s_nop 1
	v_mov_b32_dpp v25, v24 row_half_mirror row_mask:0xf bank_mask:0xf
	v_cmp_gt_f32_e64 s[4:5], v24, v25
	v_cndmask_b32_e64 v24, v25, v24, s[4:5]
	s_nop 1
	v_mov_b32_dpp v25, v24 row_mirror row_mask:0xf bank_mask:0xf
	v_cmp_gt_f32_e64 s[4:5], v24, v25
	v_cndmask_b32_e64 v24, v25, v24, s[4:5]
	s_nop 1
	v_mov_b32_dpp v25, v24 row_bcast:15 row_mask:0xf bank_mask:0xf
	v_cmp_gt_f32_e64 s[4:5], v24, v25
	v_cndmask_b32_e64 v24, v25, v24, s[4:5]
	s_nop 1
	v_mov_b32_dpp v25, v24 row_bcast:31 row_mask:0xf bank_mask:0xf
	s_and_saveexec_b64 s[12:13], vcc
	s_cbranch_execz .LBB161_7
; %bb.6:                                ;   in Loop: Header=BB161_4 Depth=1
	v_cmp_gt_f32_e64 s[4:5], v24, v25
	v_cndmask_b32_e64 v24, v25, v24, s[4:5]
	ds_write_b32 v19, v24
.LBB161_7:                              ;   in Loop: Header=BB161_4 Depth=1
	s_or_b64 exec, exec, s[12:13]
	s_waitcnt lgkmcnt(0)
	s_barrier
	ds_read_b32 v24, v20
	s_waitcnt lgkmcnt(0)
	s_nop 0
	v_mov_b32_dpp v25, v24 quad_perm:[1,0,3,2] row_mask:0xf bank_mask:0xf
	v_cmp_gt_f32_e64 s[4:5], v24, v25
	v_cndmask_b32_e64 v24, v25, v24, s[4:5]
	s_nop 1
	v_mov_b32_dpp v25, v24 quad_perm:[2,3,0,1] row_mask:0xf bank_mask:0xf
	v_cmp_gt_f32_e64 s[4:5], v24, v25
	v_cndmask_b32_e64 v24, v25, v24, s[4:5]
	v_mul_f32_e32 v24, 0x3b124925, v24
	s_add_i32 s4, s20, s22
	s_and_saveexec_b64 s[12:13], s[0:1]
	s_cbranch_execz .LBB161_9
; %bb.8:                                ;   in Loop: Header=BB161_4 Depth=1
	s_ashr_i32 s5, s4, 31
	s_lshl_b64 s[26:27], s[4:5], 2
	s_add_u32 s26, s18, s26
	s_addc_u32 s27, s19, s27
	global_store_dword v21, v24, s[26:27]
.LBB161_9:                              ;   in Loop: Header=BB161_4 Depth=1
	s_or_b64 exec, exec, s[12:13]
	s_and_saveexec_b64 s[12:13], s[2:3]
	s_cbranch_execz .LBB161_2
; %bb.10:                               ;   in Loop: Header=BB161_4 Depth=1
	v_rcp_f32_e32 v24, v24
	s_mul_hi_i32 s5, s4, s23
	s_mul_i32 s4, s4, s23
	s_add_u32 s4, s16, s4
	v_mov_b32_e32 v25, v24
	;;#ASMSTART
	v_pk_mul_f32 v[14:15], v[14:15], v[24:25]
	;;#ASMEND
	;;#ASMSTART
	v_med3_f32 v14, v14, v22, v23
v_med3_f32 v15, v15, v22, v23
v_cvt_pk_fp8_f32 v26, v14, v15
	;;#ASMEND
	;;#ASMSTART
	v_pk_mul_f32 v[12:13], v[12:13], v[24:25]
	;;#ASMEND
	;;#ASMSTART
	v_med3_f32 v12, v12, v22, v23
v_med3_f32 v13, v13, v22, v23
v_cvt_pk_fp8_f32 v14, v12, v13
	;;#ASMEND
	v_perm_b32 v13, v14, v26, s24
	v_and_b32_e32 v12, 0xffffff00, v14
	v_and_b32_sdwa v14, v13, s25 dst_sel:DWORD dst_unused:UNUSED_PAD src0_sel:WORD_1 src1_sel:DWORD
	v_or_b32_sdwa v12, v14, v12 dst_sel:WORD_1 dst_unused:UNUSED_PAD src0_sel:DWORD src1_sel:DWORD
	;;#ASMSTART
	v_pk_mul_f32 v[4:5], v[4:5], v[24:25]
	;;#ASMEND
	v_and_or_b32 v12, v13, s21, v12
	;;#ASMSTART
	v_med3_f32 v4, v4, v22, v23
v_med3_f32 v5, v5, v22, v23
v_cvt_pk_fp8_f32 v13, v4, v5
	;;#ASMEND
	;;#ASMSTART
	v_pk_mul_f32 v[0:1], v[0:1], v[24:25]
	;;#ASMEND
	;;#ASMSTART
	v_med3_f32 v0, v0, v22, v23
v_med3_f32 v1, v1, v22, v23
v_cvt_pk_fp8_f32 v4, v0, v1
	;;#ASMEND
	s_addc_u32 s5, s17, s5
	v_lshlrev_b32_e32 v0, 16, v4
	s_and_b32 s5, s5, 0xffff
	s_mov_b32 s7, s15
	v_and_or_b32 v13, v13, s21, v0
	buffer_store_dwordx2 v[12:13], v17, s[4:7], 0 offen
	;;#ASMSTART
	s_nop 0
	;;#ASMEND
	s_branch .LBB161_2
.LBB161_11:
	s_endpgm
	.section	.rodata,"a",@progbits
	.p2align	6, 0x0
	.amdhsa_kernel _ZN5aiter43moe_smooth_per_token_scaled_quant_kernel_v1ItDB8_Li256ELi8ELb0ELb0ELi1024EEEvPT0_PfPT_S4_PiS7_iiiii
		.amdhsa_group_segment_fixed_size 16
		.amdhsa_private_segment_fixed_size 0
		.amdhsa_kernarg_size 68
		.amdhsa_user_sgpr_count 6
		.amdhsa_user_sgpr_private_segment_buffer 1
		.amdhsa_user_sgpr_dispatch_ptr 0
		.amdhsa_user_sgpr_queue_ptr 0
		.amdhsa_user_sgpr_kernarg_segment_ptr 1
		.amdhsa_user_sgpr_dispatch_id 0
		.amdhsa_user_sgpr_flat_scratch_init 0
		.amdhsa_user_sgpr_kernarg_preload_length 0
		.amdhsa_user_sgpr_kernarg_preload_offset 0
		.amdhsa_user_sgpr_private_segment_size 0
		.amdhsa_uses_dynamic_stack 0
		.amdhsa_system_sgpr_private_segment_wavefront_offset 0
		.amdhsa_system_sgpr_workgroup_id_x 1
		.amdhsa_system_sgpr_workgroup_id_y 0
		.amdhsa_system_sgpr_workgroup_id_z 0
		.amdhsa_system_sgpr_workgroup_info 0
		.amdhsa_system_vgpr_workitem_id 0
		.amdhsa_next_free_vgpr 32
		.amdhsa_next_free_sgpr 28
		.amdhsa_accum_offset 32
		.amdhsa_reserve_vcc 1
		.amdhsa_reserve_flat_scratch 0
		.amdhsa_float_round_mode_32 0
		.amdhsa_float_round_mode_16_64 0
		.amdhsa_float_denorm_mode_32 3
		.amdhsa_float_denorm_mode_16_64 3
		.amdhsa_dx10_clamp 1
		.amdhsa_ieee_mode 1
		.amdhsa_fp16_overflow 0
		.amdhsa_tg_split 0
		.amdhsa_exception_fp_ieee_invalid_op 0
		.amdhsa_exception_fp_denorm_src 0
		.amdhsa_exception_fp_ieee_div_zero 0
		.amdhsa_exception_fp_ieee_overflow 0
		.amdhsa_exception_fp_ieee_underflow 0
		.amdhsa_exception_fp_ieee_inexact 0
		.amdhsa_exception_int_div_zero 0
	.end_amdhsa_kernel
	.section	.text._ZN5aiter43moe_smooth_per_token_scaled_quant_kernel_v1ItDB8_Li256ELi8ELb0ELb0ELi1024EEEvPT0_PfPT_S4_PiS7_iiiii,"axG",@progbits,_ZN5aiter43moe_smooth_per_token_scaled_quant_kernel_v1ItDB8_Li256ELi8ELb0ELb0ELi1024EEEvPT0_PfPT_S4_PiS7_iiiii,comdat
.Lfunc_end161:
	.size	_ZN5aiter43moe_smooth_per_token_scaled_quant_kernel_v1ItDB8_Li256ELi8ELb0ELb0ELi1024EEEvPT0_PfPT_S4_PiS7_iiiii, .Lfunc_end161-_ZN5aiter43moe_smooth_per_token_scaled_quant_kernel_v1ItDB8_Li256ELi8ELb0ELb0ELi1024EEEvPT0_PfPT_S4_PiS7_iiiii
                                        ; -- End function
	.section	.AMDGPU.csdata,"",@progbits
; Kernel info:
; codeLenInByte = 1088
; NumSgprs: 32
; NumVgprs: 32
; NumAgprs: 0
; TotalNumVgprs: 32
; ScratchSize: 0
; MemoryBound: 0
; FloatMode: 240
; IeeeMode: 1
; LDSByteSize: 16 bytes/workgroup (compile time only)
; SGPRBlocks: 3
; VGPRBlocks: 3
; NumSGPRsForWavesPerEU: 32
; NumVGPRsForWavesPerEU: 32
; AccumOffset: 32
; Occupancy: 8
; WaveLimiterHint : 0
; COMPUTE_PGM_RSRC2:SCRATCH_EN: 0
; COMPUTE_PGM_RSRC2:USER_SGPR: 6
; COMPUTE_PGM_RSRC2:TRAP_HANDLER: 0
; COMPUTE_PGM_RSRC2:TGID_X_EN: 1
; COMPUTE_PGM_RSRC2:TGID_Y_EN: 0
; COMPUTE_PGM_RSRC2:TGID_Z_EN: 0
; COMPUTE_PGM_RSRC2:TIDIG_COMP_CNT: 0
; COMPUTE_PGM_RSRC3_GFX90A:ACCUM_OFFSET: 7
; COMPUTE_PGM_RSRC3_GFX90A:TG_SPLIT: 0
	.section	.text._ZN5aiter43moe_smooth_per_token_scaled_quant_kernel_v1IDF16_DB8_Li256ELi16ELb1ELb1ELi1024EEEvPT0_PfPT_S4_PiS7_iiiii,"axG",@progbits,_ZN5aiter43moe_smooth_per_token_scaled_quant_kernel_v1IDF16_DB8_Li256ELi16ELb1ELb1ELi1024EEEvPT0_PfPT_S4_PiS7_iiiii,comdat
	.protected	_ZN5aiter43moe_smooth_per_token_scaled_quant_kernel_v1IDF16_DB8_Li256ELi16ELb1ELb1ELi1024EEEvPT0_PfPT_S4_PiS7_iiiii ; -- Begin function _ZN5aiter43moe_smooth_per_token_scaled_quant_kernel_v1IDF16_DB8_Li256ELi16ELb1ELb1ELi1024EEEvPT0_PfPT_S4_PiS7_iiiii
	.globl	_ZN5aiter43moe_smooth_per_token_scaled_quant_kernel_v1IDF16_DB8_Li256ELi16ELb1ELb1ELi1024EEEvPT0_PfPT_S4_PiS7_iiiii
	.p2align	8
	.type	_ZN5aiter43moe_smooth_per_token_scaled_quant_kernel_v1IDF16_DB8_Li256ELi16ELb1ELb1ELi1024EEEvPT0_PfPT_S4_PiS7_iiiii,@function
_ZN5aiter43moe_smooth_per_token_scaled_quant_kernel_v1IDF16_DB8_Li256ELi16ELb1ELb1ELi1024EEEvPT0_PfPT_S4_PiS7_iiiii: ; @_ZN5aiter43moe_smooth_per_token_scaled_quant_kernel_v1IDF16_DB8_Li256ELi16ELb1ELb1ELi1024EEEvPT0_PfPT_S4_PiS7_iiiii
; %bb.0:
	s_load_dword s7, s[4:5], 0x40
	s_load_dwordx8 s[8:15], s[4:5], 0x20
	s_load_dwordx2 s[16:17], s[4:5], 0x10
	v_and_b32_e32 v1, 0x3c0, v0
	v_lshlrev_b32_e32 v1, 2, v1
	v_lshlrev_b32_e32 v2, 2, v0
	s_waitcnt lgkmcnt(0)
	s_mov_b32 s0, s10
	v_readfirstlane_b32 s10, v1
	v_add_u32_e32 v3, 0x400, v1
	s_lshl_b32 s2, s7, 2
	s_and_b32 s1, s11, 0xffff
	s_mov_b32 s3, 0x20000
	;;#ASMSTART
	s_mov_b32 m0 s10
	buffer_load_dword v2, s[0:3], 0 offen offset:0 lds
	
	;;#ASMEND
	v_readfirstlane_b32 s10, v3
	v_add_u32_e32 v3, 0x400, v2
	;;#ASMSTART
	s_mov_b32 m0 s10
	buffer_load_dword v3, s[0:3], 0 offen offset:0 lds
	
	;;#ASMEND
	v_add_u32_e32 v3, 0x800, v1
	v_readfirstlane_b32 s10, v3
	v_add_u32_e32 v3, 0x800, v2
	;;#ASMSTART
	s_mov_b32 m0 s10
	buffer_load_dword v3, s[0:3], 0 offen offset:0 lds
	
	;;#ASMEND
	v_add_u32_e32 v1, 0xc00, v1
	v_readfirstlane_b32 s10, v1
	v_add_u32_e32 v1, 0xc00, v2
	;;#ASMSTART
	s_mov_b32 m0 s10
	buffer_load_dword v1, s[0:3], 0 offen offset:0 lds
	
	;;#ASMEND
	s_mul_i32 s0, s6, s13
	s_ashr_i32 s1, s0, 31
	s_lshl_b64 s[0:1], s[0:1], 2
	s_add_u32 s0, s8, s0
	v_and_b32_e32 v1, 63, v0
	s_addc_u32 s1, s9, s1
	s_lshl_b32 s2, s13, 2
	s_and_b32 s1, s1, 0xffff
	v_lshlrev_b32_e32 v2, 2, v1
	buffer_load_dword v32, v2, s[0:3], 0 offen
	s_mul_hi_i32 s1, s15, s6
	s_mul_i32 s0, s15, s6
	s_lshl_b64 s[0:1], s[0:1], 1
	s_add_u32 s0, s16, s0
	s_addc_u32 s1, s17, s1
	s_lshl_b32 s2, s14, 1
	s_and_b32 s1, s1, 0xffff
	v_lshlrev_b32_e32 v10, 5, v0
	buffer_load_dwordx4 v[6:9], v10, s[0:3], 0 offen
	buffer_load_dwordx4 v[2:5], v10, s[0:3], 16 offen
	v_cmp_gt_i32_e32 vcc, s13, v1
	s_waitcnt vmcnt(2)
	s_barrier
	v_cmp_gt_i32_e64 s[2:3], s7, v32
	v_cmp_lt_i32_e64 s[0:1], -1, v32
	s_and_b64 s[2:3], vcc, s[2:3]
	s_and_b64 s[2:3], s[2:3], s[0:1]
	s_and_saveexec_b64 s[0:1], s[2:3]
	s_cbranch_execz .LBB162_2
; %bb.1:
	v_lshlrev_b32_e32 v10, 2, v32
	ds_read_b32 v32, v10
.LBB162_2:
	s_or_b64 exec, exec, s[0:1]
	s_cmp_lt_i32 s13, 1
	s_cbranch_scc1 .LBB162_13
; %bb.3:
	s_add_i32 s2, s14, 15
	s_load_dwordx4 s[8:11], s[4:5], 0x0
	s_load_dwordx2 s[24:25], s[4:5], 0x18
	s_ashr_i32 s3, s2, 31
	s_add_i32 s4, s14, 3
	s_waitcnt vmcnt(1)
	v_cvt_f32_f16_sdwa v11, v6 dst_sel:DWORD dst_unused:UNUSED_PAD src0_sel:WORD_1
	v_cvt_f32_f16_e32 v10, v6
	v_cvt_f32_f16_sdwa v13, v7 dst_sel:DWORD dst_unused:UNUSED_PAD src0_sel:WORD_1
	v_cvt_f32_f16_e32 v12, v7
	;; [unrolled: 2-line block ×4, first 2 shown]
	s_waitcnt vmcnt(0)
	v_cvt_f32_f16_sdwa v9, v2 dst_sel:DWORD dst_unused:UNUSED_PAD src0_sel:WORD_1
	v_cvt_f32_f16_e32 v8, v2
	v_cvt_f32_f16_sdwa v17, v3 dst_sel:DWORD dst_unused:UNUSED_PAD src0_sel:WORD_1
	v_cvt_f32_f16_e32 v16, v3
	;; [unrolled: 2-line block ×4, first 2 shown]
	s_lshr_b32 s3, s3, 28
	s_ashr_i32 s5, s4, 31
	v_cmp_eq_u32_e32 vcc, 63, v1
	v_lshrrev_b32_e32 v1, 4, v0
	v_mov_b32_e32 v4, 0x1000
	s_add_i32 s2, s2, s3
	s_lshr_b32 s5, s5, 30
	v_and_or_b32 v35, v1, 60, v4
	v_and_b32_e32 v1, 3, v0
	s_ashr_i32 s2, s2, 4
	s_add_i32 s4, s4, s5
	v_lshlrev_b32_e32 v33, 4, v0
	s_lshl_b32 s18, s14, 2
	v_lshlrev_b32_e32 v34, 6, v0
	v_lshl_or_b32 v36, v1, 2, v4
	s_mov_b32 s15, 0
	v_cmp_eq_u32_e64 s[0:1], 0, v0
	v_cmp_gt_u32_e64 s[2:3], s2, v0
	s_and_b32 s22, s4, -4
	s_mov_b32 s19, 0x20000
	s_mov_b32 s26, 0x2edbe6ff
	v_mov_b32_e32 v37, 0
	v_mov_b32_e32 v38, 0xc3e00000
	;; [unrolled: 1-line block ×3, first 2 shown]
	s_mov_b32 s27, 0x5040100
	s_mov_b32 s28, 0x1060504
	;; [unrolled: 1-line block ×3, first 2 shown]
	s_branch .LBB162_6
.LBB162_4:                              ;   in Loop: Header=BB162_6 Depth=1
	s_or_b64 exec, exec, s[4:5]
.LBB162_5:                              ;   in Loop: Header=BB162_6 Depth=1
	s_add_i32 s15, s15, 1
	s_add_i32 s6, s6, s12
	s_cmp_eq_u32 s13, s15
	s_cbranch_scc1 .LBB162_13
.LBB162_6:                              ; =>This Inner Loop Header: Depth=1
	s_waitcnt lgkmcnt(0)
	v_readlane_b32 s4, v32, s15
	s_cmp_lt_i32 s4, 0
	s_cbranch_scc1 .LBB162_5
; %bb.7:                                ;   in Loop: Header=BB162_6 Depth=1
	s_mul_i32 s4, s4, s14
	s_ashr_i32 s5, s4, 31
	s_lshl_b64 s[4:5], s[4:5], 2
	s_add_u32 s16, s24, s4
	s_addc_u32 s4, s25, s5
	s_and_b32 s17, s4, 0xffff
	buffer_load_dwordx4 v[20:23], v34, s[16:19], 0 offen
	buffer_load_dwordx4 v[40:43], v34, s[16:19], 16 offen
	;; [unrolled: 1-line block ×4, first 2 shown]
	s_waitcnt vmcnt(3)
	v_pk_mul_f32 v[30:31], v[20:21], v[10:11]
	v_pk_mul_f32 v[28:29], v[22:23], v[12:13]
	s_waitcnt vmcnt(2)
	v_pk_mul_f32 v[26:27], v[40:41], v[6:7]
	v_max3_f32 v40, |v30|, s26, |v31|
	v_max3_f32 v40, v40, |v28|, |v29|
	v_pk_mul_f32 v[24:25], v[42:43], v[14:15]
	v_max3_f32 v40, v40, |v26|, |v27|
	s_waitcnt vmcnt(1)
	v_pk_mul_f32 v[22:23], v[44:45], v[8:9]
	v_max3_f32 v40, v40, |v24|, |v25|
	v_pk_mul_f32 v[20:21], v[46:47], v[16:17]
	v_max3_f32 v40, v40, |v22|, |v23|
	s_waitcnt vmcnt(0)
	v_pk_mul_f32 v[4:5], v[48:49], v[2:3]
	v_max3_f32 v40, v40, |v20|, |v21|
	v_pk_mul_f32 v[0:1], v[50:51], v[18:19]
	v_max3_f32 v40, v40, |v4|, |v5|
	v_max3_f32 v40, v40, |v0|, |v1|
	s_nop 1
	v_mov_b32_dpp v41, v40 quad_perm:[1,0,3,2] row_mask:0xf bank_mask:0xf
	v_cmp_gt_f32_e64 s[4:5], v40, v41
	v_cndmask_b32_e64 v40, v41, v40, s[4:5]
	s_nop 1
	v_mov_b32_dpp v41, v40 quad_perm:[2,3,0,1] row_mask:0xf bank_mask:0xf
	v_cmp_gt_f32_e64 s[4:5], v40, v41
	v_cndmask_b32_e64 v40, v41, v40, s[4:5]
	s_nop 1
	v_mov_b32_dpp v41, v40 row_half_mirror row_mask:0xf bank_mask:0xf
	v_cmp_gt_f32_e64 s[4:5], v40, v41
	v_cndmask_b32_e64 v40, v41, v40, s[4:5]
	s_nop 1
	v_mov_b32_dpp v41, v40 row_mirror row_mask:0xf bank_mask:0xf
	v_cmp_gt_f32_e64 s[4:5], v40, v41
	v_cndmask_b32_e64 v40, v41, v40, s[4:5]
	s_nop 1
	v_mov_b32_dpp v41, v40 row_bcast:15 row_mask:0xf bank_mask:0xf
	v_cmp_gt_f32_e64 s[4:5], v40, v41
	v_cndmask_b32_e64 v40, v41, v40, s[4:5]
	s_nop 1
	v_mov_b32_dpp v41, v40 row_bcast:31 row_mask:0xf bank_mask:0xf
	s_and_saveexec_b64 s[16:17], vcc
	s_cbranch_execz .LBB162_9
; %bb.8:                                ;   in Loop: Header=BB162_6 Depth=1
	v_cmp_gt_f32_e64 s[4:5], v40, v41
	v_cndmask_b32_e64 v40, v41, v40, s[4:5]
	ds_write_b32 v35, v40
.LBB162_9:                              ;   in Loop: Header=BB162_6 Depth=1
	s_or_b64 exec, exec, s[16:17]
	s_waitcnt lgkmcnt(0)
	s_barrier
	ds_read_b32 v40, v36
	s_waitcnt lgkmcnt(0)
	s_nop 0
	v_mov_b32_dpp v41, v40 quad_perm:[1,0,3,2] row_mask:0xf bank_mask:0xf
	v_cmp_gt_f32_e64 s[4:5], v40, v41
	v_cndmask_b32_e64 v40, v41, v40, s[4:5]
	s_nop 1
	v_mov_b32_dpp v41, v40 quad_perm:[2,3,0,1] row_mask:0xf bank_mask:0xf
	v_cmp_gt_f32_e64 s[4:5], v40, v41
	v_cndmask_b32_e64 v40, v41, v40, s[4:5]
	v_mul_f32_e32 v40, 0x3b124925, v40
	s_and_saveexec_b64 s[4:5], s[0:1]
	s_cbranch_execz .LBB162_11
; %bb.10:                               ;   in Loop: Header=BB162_6 Depth=1
	s_ashr_i32 s7, s6, 31
	s_lshl_b64 s[16:17], s[6:7], 2
	s_add_u32 s16, s10, s16
	s_addc_u32 s17, s11, s17
	global_store_dword v37, v40, s[16:17]
.LBB162_11:                             ;   in Loop: Header=BB162_6 Depth=1
	s_or_b64 exec, exec, s[4:5]
	s_and_saveexec_b64 s[4:5], s[2:3]
	s_cbranch_execz .LBB162_4
; %bb.12:                               ;   in Loop: Header=BB162_6 Depth=1
	v_rcp_f32_e32 v40, v40
	s_mul_i32 s16, s6, s14
	s_mul_hi_i32 s7, s6, s14
	s_add_u32 s20, s8, s16
	v_mov_b32_e32 v41, v40
	;;#ASMSTART
	v_pk_mul_f32 v[30:31], v[30:31], v[40:41]
	;;#ASMEND
	;;#ASMSTART
	v_med3_f32 v30, v30, v38, v39
v_med3_f32 v31, v31, v38, v39
v_cvt_pk_fp8_f32 v42, v30, v31
	;;#ASMEND
	;;#ASMSTART
	v_pk_mul_f32 v[28:29], v[28:29], v[40:41]
	;;#ASMEND
	;;#ASMSTART
	v_med3_f32 v28, v28, v38, v39
v_med3_f32 v29, v29, v38, v39
v_cvt_pk_fp8_f32 v30, v28, v29
	;;#ASMEND
	;; [unrolled: 8-line block ×6, first 2 shown]
	;;#ASMSTART
	v_pk_mul_f32 v[4:5], v[4:5], v[40:41]
	;;#ASMEND
	s_addc_u32 s7, s9, s7
	v_perm_b32 v28, v30, v42, s27
	;;#ASMSTART
	v_med3_f32 v4, v4, v38, v39
v_med3_f32 v5, v5, v38, v39
v_cvt_pk_fp8_f32 v20, v4, v5
	;;#ASMEND
	;;#ASMSTART
	v_pk_mul_f32 v[0:1], v[0:1], v[40:41]
	;;#ASMEND
	s_and_b32 s21, s7, 0xffff
	s_mov_b32 s23, s19
	v_perm_b32 v28, v28, v30, s28
	v_perm_b32 v29, v29, v26, s29
	;; [unrolled: 1-line block ×3, first 2 shown]
	;;#ASMSTART
	v_med3_f32 v0, v0, v38, v39
v_med3_f32 v1, v1, v38, v39
v_cvt_pk_fp8_f32 v4, v0, v1
	;;#ASMEND
	v_perm_b32 v31, v20, v4, s29
	buffer_store_dwordx4 v[28:31], v33, s[20:23], 0 offen
	;;#ASMSTART
	s_nop 0
	;;#ASMEND
	s_branch .LBB162_4
.LBB162_13:
	s_endpgm
	.section	.rodata,"a",@progbits
	.p2align	6, 0x0
	.amdhsa_kernel _ZN5aiter43moe_smooth_per_token_scaled_quant_kernel_v1IDF16_DB8_Li256ELi16ELb1ELb1ELi1024EEEvPT0_PfPT_S4_PiS7_iiiii
		.amdhsa_group_segment_fixed_size 4112
		.amdhsa_private_segment_fixed_size 0
		.amdhsa_kernarg_size 68
		.amdhsa_user_sgpr_count 6
		.amdhsa_user_sgpr_private_segment_buffer 1
		.amdhsa_user_sgpr_dispatch_ptr 0
		.amdhsa_user_sgpr_queue_ptr 0
		.amdhsa_user_sgpr_kernarg_segment_ptr 1
		.amdhsa_user_sgpr_dispatch_id 0
		.amdhsa_user_sgpr_flat_scratch_init 0
		.amdhsa_user_sgpr_kernarg_preload_length 0
		.amdhsa_user_sgpr_kernarg_preload_offset 0
		.amdhsa_user_sgpr_private_segment_size 0
		.amdhsa_uses_dynamic_stack 0
		.amdhsa_system_sgpr_private_segment_wavefront_offset 0
		.amdhsa_system_sgpr_workgroup_id_x 1
		.amdhsa_system_sgpr_workgroup_id_y 0
		.amdhsa_system_sgpr_workgroup_id_z 0
		.amdhsa_system_sgpr_workgroup_info 0
		.amdhsa_system_vgpr_workitem_id 0
		.amdhsa_next_free_vgpr 52
		.amdhsa_next_free_sgpr 30
		.amdhsa_accum_offset 52
		.amdhsa_reserve_vcc 1
		.amdhsa_reserve_flat_scratch 0
		.amdhsa_float_round_mode_32 0
		.amdhsa_float_round_mode_16_64 0
		.amdhsa_float_denorm_mode_32 3
		.amdhsa_float_denorm_mode_16_64 3
		.amdhsa_dx10_clamp 1
		.amdhsa_ieee_mode 1
		.amdhsa_fp16_overflow 0
		.amdhsa_tg_split 0
		.amdhsa_exception_fp_ieee_invalid_op 0
		.amdhsa_exception_fp_denorm_src 0
		.amdhsa_exception_fp_ieee_div_zero 0
		.amdhsa_exception_fp_ieee_overflow 0
		.amdhsa_exception_fp_ieee_underflow 0
		.amdhsa_exception_fp_ieee_inexact 0
		.amdhsa_exception_int_div_zero 0
	.end_amdhsa_kernel
	.section	.text._ZN5aiter43moe_smooth_per_token_scaled_quant_kernel_v1IDF16_DB8_Li256ELi16ELb1ELb1ELi1024EEEvPT0_PfPT_S4_PiS7_iiiii,"axG",@progbits,_ZN5aiter43moe_smooth_per_token_scaled_quant_kernel_v1IDF16_DB8_Li256ELi16ELb1ELb1ELi1024EEEvPT0_PfPT_S4_PiS7_iiiii,comdat
.Lfunc_end162:
	.size	_ZN5aiter43moe_smooth_per_token_scaled_quant_kernel_v1IDF16_DB8_Li256ELi16ELb1ELb1ELi1024EEEvPT0_PfPT_S4_PiS7_iiiii, .Lfunc_end162-_ZN5aiter43moe_smooth_per_token_scaled_quant_kernel_v1IDF16_DB8_Li256ELi16ELb1ELb1ELi1024EEEvPT0_PfPT_S4_PiS7_iiiii
                                        ; -- End function
	.section	.AMDGPU.csdata,"",@progbits
; Kernel info:
; codeLenInByte = 1572
; NumSgprs: 34
; NumVgprs: 52
; NumAgprs: 0
; TotalNumVgprs: 52
; ScratchSize: 0
; MemoryBound: 0
; FloatMode: 240
; IeeeMode: 1
; LDSByteSize: 4112 bytes/workgroup (compile time only)
; SGPRBlocks: 4
; VGPRBlocks: 6
; NumSGPRsForWavesPerEU: 34
; NumVGPRsForWavesPerEU: 52
; AccumOffset: 52
; Occupancy: 8
; WaveLimiterHint : 0
; COMPUTE_PGM_RSRC2:SCRATCH_EN: 0
; COMPUTE_PGM_RSRC2:USER_SGPR: 6
; COMPUTE_PGM_RSRC2:TRAP_HANDLER: 0
; COMPUTE_PGM_RSRC2:TGID_X_EN: 1
; COMPUTE_PGM_RSRC2:TGID_Y_EN: 0
; COMPUTE_PGM_RSRC2:TGID_Z_EN: 0
; COMPUTE_PGM_RSRC2:TIDIG_COMP_CNT: 0
; COMPUTE_PGM_RSRC3_GFX90A:ACCUM_OFFSET: 12
; COMPUTE_PGM_RSRC3_GFX90A:TG_SPLIT: 0
	.section	.text._ZN5aiter43moe_smooth_per_token_scaled_quant_kernel_v1ItDB8_Li256ELi16ELb1ELb1ELi1024EEEvPT0_PfPT_S4_PiS7_iiiii,"axG",@progbits,_ZN5aiter43moe_smooth_per_token_scaled_quant_kernel_v1ItDB8_Li256ELi16ELb1ELb1ELi1024EEEvPT0_PfPT_S4_PiS7_iiiii,comdat
	.protected	_ZN5aiter43moe_smooth_per_token_scaled_quant_kernel_v1ItDB8_Li256ELi16ELb1ELb1ELi1024EEEvPT0_PfPT_S4_PiS7_iiiii ; -- Begin function _ZN5aiter43moe_smooth_per_token_scaled_quant_kernel_v1ItDB8_Li256ELi16ELb1ELb1ELi1024EEEvPT0_PfPT_S4_PiS7_iiiii
	.globl	_ZN5aiter43moe_smooth_per_token_scaled_quant_kernel_v1ItDB8_Li256ELi16ELb1ELb1ELi1024EEEvPT0_PfPT_S4_PiS7_iiiii
	.p2align	8
	.type	_ZN5aiter43moe_smooth_per_token_scaled_quant_kernel_v1ItDB8_Li256ELi16ELb1ELb1ELi1024EEEvPT0_PfPT_S4_PiS7_iiiii,@function
_ZN5aiter43moe_smooth_per_token_scaled_quant_kernel_v1ItDB8_Li256ELi16ELb1ELb1ELi1024EEEvPT0_PfPT_S4_PiS7_iiiii: ; @_ZN5aiter43moe_smooth_per_token_scaled_quant_kernel_v1ItDB8_Li256ELi16ELb1ELb1ELi1024EEEvPT0_PfPT_S4_PiS7_iiiii
; %bb.0:
	s_load_dword s7, s[4:5], 0x40
	s_load_dwordx8 s[8:15], s[4:5], 0x20
	s_load_dwordx2 s[16:17], s[4:5], 0x10
	v_and_b32_e32 v1, 0x3c0, v0
	v_lshlrev_b32_e32 v1, 2, v1
	v_lshlrev_b32_e32 v2, 2, v0
	s_waitcnt lgkmcnt(0)
	s_mov_b32 s0, s10
	v_readfirstlane_b32 s10, v1
	v_add_u32_e32 v3, 0x400, v1
	s_lshl_b32 s2, s7, 2
	s_and_b32 s1, s11, 0xffff
	s_mov_b32 s3, 0x20000
	;;#ASMSTART
	s_mov_b32 m0 s10
	buffer_load_dword v2, s[0:3], 0 offen offset:0 lds
	
	;;#ASMEND
	v_readfirstlane_b32 s10, v3
	v_add_u32_e32 v3, 0x400, v2
	;;#ASMSTART
	s_mov_b32 m0 s10
	buffer_load_dword v3, s[0:3], 0 offen offset:0 lds
	
	;;#ASMEND
	v_add_u32_e32 v3, 0x800, v1
	v_readfirstlane_b32 s10, v3
	v_add_u32_e32 v3, 0x800, v2
	;;#ASMSTART
	s_mov_b32 m0 s10
	buffer_load_dword v3, s[0:3], 0 offen offset:0 lds
	
	;;#ASMEND
	v_add_u32_e32 v1, 0xc00, v1
	v_readfirstlane_b32 s10, v1
	v_add_u32_e32 v1, 0xc00, v2
	;;#ASMSTART
	s_mov_b32 m0 s10
	buffer_load_dword v1, s[0:3], 0 offen offset:0 lds
	
	;;#ASMEND
	s_mul_i32 s0, s6, s13
	s_ashr_i32 s1, s0, 31
	s_lshl_b64 s[0:1], s[0:1], 2
	s_add_u32 s0, s8, s0
	v_and_b32_e32 v1, 63, v0
	s_addc_u32 s1, s9, s1
	s_lshl_b32 s2, s13, 2
	s_and_b32 s1, s1, 0xffff
	v_lshlrev_b32_e32 v2, 2, v1
	buffer_load_dword v32, v2, s[0:3], 0 offen
	s_mul_hi_i32 s1, s15, s6
	s_mul_i32 s0, s15, s6
	s_lshl_b64 s[0:1], s[0:1], 1
	s_add_u32 s0, s16, s0
	s_addc_u32 s1, s17, s1
	s_lshl_b32 s2, s14, 1
	s_and_b32 s1, s1, 0xffff
	v_lshlrev_b32_e32 v10, 5, v0
	buffer_load_dwordx4 v[6:9], v10, s[0:3], 0 offen
	buffer_load_dwordx4 v[2:5], v10, s[0:3], 16 offen
	v_cmp_gt_i32_e32 vcc, s13, v1
	s_waitcnt vmcnt(2)
	s_barrier
	v_cmp_gt_i32_e64 s[2:3], s7, v32
	v_cmp_lt_i32_e64 s[0:1], -1, v32
	s_and_b64 s[2:3], vcc, s[2:3]
	s_and_b64 s[2:3], s[2:3], s[0:1]
	s_and_saveexec_b64 s[0:1], s[2:3]
	s_cbranch_execz .LBB163_2
; %bb.1:
	v_lshlrev_b32_e32 v10, 2, v32
	ds_read_b32 v32, v10
.LBB163_2:
	s_or_b64 exec, exec, s[0:1]
	s_cmp_lt_i32 s13, 1
	s_cbranch_scc1 .LBB163_13
; %bb.3:
	s_add_i32 s2, s14, 15
	s_load_dwordx4 s[8:11], s[4:5], 0x0
	s_load_dwordx2 s[24:25], s[4:5], 0x18
	s_ashr_i32 s3, s2, 31
	s_add_i32 s4, s14, 3
	s_waitcnt vmcnt(1)
	v_cvt_f32_u32_sdwa v11, v6 dst_sel:DWORD dst_unused:UNUSED_PAD src0_sel:WORD_1
	v_cvt_f32_u32_sdwa v10, v6 dst_sel:DWORD dst_unused:UNUSED_PAD src0_sel:WORD_0
	v_cvt_f32_u32_sdwa v13, v7 dst_sel:DWORD dst_unused:UNUSED_PAD src0_sel:WORD_1
	v_cvt_f32_u32_sdwa v12, v7 dst_sel:DWORD dst_unused:UNUSED_PAD src0_sel:WORD_0
	;; [unrolled: 2-line block ×4, first 2 shown]
	s_waitcnt vmcnt(0)
	v_cvt_f32_u32_sdwa v9, v2 dst_sel:DWORD dst_unused:UNUSED_PAD src0_sel:WORD_1
	v_cvt_f32_u32_sdwa v8, v2 dst_sel:DWORD dst_unused:UNUSED_PAD src0_sel:WORD_0
	v_cvt_f32_u32_sdwa v17, v3 dst_sel:DWORD dst_unused:UNUSED_PAD src0_sel:WORD_1
	v_cvt_f32_u32_sdwa v16, v3 dst_sel:DWORD dst_unused:UNUSED_PAD src0_sel:WORD_0
	;; [unrolled: 2-line block ×4, first 2 shown]
	s_lshr_b32 s3, s3, 28
	s_ashr_i32 s5, s4, 31
	v_cmp_eq_u32_e32 vcc, 63, v1
	v_lshrrev_b32_e32 v1, 4, v0
	v_mov_b32_e32 v4, 0x1000
	s_add_i32 s2, s2, s3
	s_lshr_b32 s5, s5, 30
	v_and_or_b32 v35, v1, 60, v4
	v_and_b32_e32 v1, 3, v0
	s_ashr_i32 s2, s2, 4
	s_add_i32 s4, s4, s5
	v_lshlrev_b32_e32 v33, 4, v0
	s_lshl_b32 s18, s14, 2
	v_lshlrev_b32_e32 v34, 6, v0
	v_lshl_or_b32 v36, v1, 2, v4
	s_mov_b32 s15, 0
	v_cmp_eq_u32_e64 s[0:1], 0, v0
	v_cmp_gt_u32_e64 s[2:3], s2, v0
	s_and_b32 s22, s4, -4
	s_mov_b32 s19, 0x20000
	s_mov_b32 s26, 0x2edbe6ff
	v_mov_b32_e32 v37, 0
	v_mov_b32_e32 v38, 0xc3e00000
	;; [unrolled: 1-line block ×3, first 2 shown]
	s_mov_b32 s27, 0x5040100
	s_mov_b32 s28, 0x1060504
	;; [unrolled: 1-line block ×3, first 2 shown]
	s_branch .LBB163_6
.LBB163_4:                              ;   in Loop: Header=BB163_6 Depth=1
	s_or_b64 exec, exec, s[4:5]
.LBB163_5:                              ;   in Loop: Header=BB163_6 Depth=1
	s_add_i32 s15, s15, 1
	s_add_i32 s6, s6, s12
	s_cmp_eq_u32 s13, s15
	s_cbranch_scc1 .LBB163_13
.LBB163_6:                              ; =>This Inner Loop Header: Depth=1
	s_waitcnt lgkmcnt(0)
	v_readlane_b32 s4, v32, s15
	s_cmp_lt_i32 s4, 0
	s_cbranch_scc1 .LBB163_5
; %bb.7:                                ;   in Loop: Header=BB163_6 Depth=1
	s_mul_i32 s4, s4, s14
	s_ashr_i32 s5, s4, 31
	s_lshl_b64 s[4:5], s[4:5], 2
	s_add_u32 s16, s24, s4
	s_addc_u32 s4, s25, s5
	s_and_b32 s17, s4, 0xffff
	buffer_load_dwordx4 v[20:23], v34, s[16:19], 0 offen
	buffer_load_dwordx4 v[40:43], v34, s[16:19], 16 offen
	;; [unrolled: 1-line block ×4, first 2 shown]
	s_waitcnt vmcnt(3)
	v_pk_mul_f32 v[30:31], v[20:21], v[10:11]
	v_pk_mul_f32 v[28:29], v[22:23], v[12:13]
	s_waitcnt vmcnt(2)
	v_pk_mul_f32 v[26:27], v[40:41], v[6:7]
	v_max3_f32 v40, |v30|, s26, |v31|
	v_max3_f32 v40, v40, |v28|, |v29|
	v_pk_mul_f32 v[24:25], v[42:43], v[14:15]
	v_max3_f32 v40, v40, |v26|, |v27|
	s_waitcnt vmcnt(1)
	v_pk_mul_f32 v[22:23], v[44:45], v[8:9]
	v_max3_f32 v40, v40, |v24|, |v25|
	v_pk_mul_f32 v[20:21], v[46:47], v[16:17]
	v_max3_f32 v40, v40, |v22|, |v23|
	s_waitcnt vmcnt(0)
	v_pk_mul_f32 v[4:5], v[48:49], v[2:3]
	v_max3_f32 v40, v40, |v20|, |v21|
	v_pk_mul_f32 v[0:1], v[50:51], v[18:19]
	v_max3_f32 v40, v40, |v4|, |v5|
	v_max3_f32 v40, v40, |v0|, |v1|
	s_nop 1
	v_mov_b32_dpp v41, v40 quad_perm:[1,0,3,2] row_mask:0xf bank_mask:0xf
	v_cmp_gt_f32_e64 s[4:5], v40, v41
	v_cndmask_b32_e64 v40, v41, v40, s[4:5]
	s_nop 1
	v_mov_b32_dpp v41, v40 quad_perm:[2,3,0,1] row_mask:0xf bank_mask:0xf
	v_cmp_gt_f32_e64 s[4:5], v40, v41
	v_cndmask_b32_e64 v40, v41, v40, s[4:5]
	s_nop 1
	v_mov_b32_dpp v41, v40 row_half_mirror row_mask:0xf bank_mask:0xf
	v_cmp_gt_f32_e64 s[4:5], v40, v41
	v_cndmask_b32_e64 v40, v41, v40, s[4:5]
	s_nop 1
	v_mov_b32_dpp v41, v40 row_mirror row_mask:0xf bank_mask:0xf
	v_cmp_gt_f32_e64 s[4:5], v40, v41
	v_cndmask_b32_e64 v40, v41, v40, s[4:5]
	s_nop 1
	v_mov_b32_dpp v41, v40 row_bcast:15 row_mask:0xf bank_mask:0xf
	v_cmp_gt_f32_e64 s[4:5], v40, v41
	v_cndmask_b32_e64 v40, v41, v40, s[4:5]
	s_nop 1
	v_mov_b32_dpp v41, v40 row_bcast:31 row_mask:0xf bank_mask:0xf
	s_and_saveexec_b64 s[16:17], vcc
	s_cbranch_execz .LBB163_9
; %bb.8:                                ;   in Loop: Header=BB163_6 Depth=1
	v_cmp_gt_f32_e64 s[4:5], v40, v41
	v_cndmask_b32_e64 v40, v41, v40, s[4:5]
	ds_write_b32 v35, v40
.LBB163_9:                              ;   in Loop: Header=BB163_6 Depth=1
	s_or_b64 exec, exec, s[16:17]
	s_waitcnt lgkmcnt(0)
	s_barrier
	ds_read_b32 v40, v36
	s_waitcnt lgkmcnt(0)
	s_nop 0
	v_mov_b32_dpp v41, v40 quad_perm:[1,0,3,2] row_mask:0xf bank_mask:0xf
	v_cmp_gt_f32_e64 s[4:5], v40, v41
	v_cndmask_b32_e64 v40, v41, v40, s[4:5]
	s_nop 1
	v_mov_b32_dpp v41, v40 quad_perm:[2,3,0,1] row_mask:0xf bank_mask:0xf
	v_cmp_gt_f32_e64 s[4:5], v40, v41
	v_cndmask_b32_e64 v40, v41, v40, s[4:5]
	v_mul_f32_e32 v40, 0x3b124925, v40
	s_and_saveexec_b64 s[4:5], s[0:1]
	s_cbranch_execz .LBB163_11
; %bb.10:                               ;   in Loop: Header=BB163_6 Depth=1
	s_ashr_i32 s7, s6, 31
	s_lshl_b64 s[16:17], s[6:7], 2
	s_add_u32 s16, s10, s16
	s_addc_u32 s17, s11, s17
	global_store_dword v37, v40, s[16:17]
.LBB163_11:                             ;   in Loop: Header=BB163_6 Depth=1
	s_or_b64 exec, exec, s[4:5]
	s_and_saveexec_b64 s[4:5], s[2:3]
	s_cbranch_execz .LBB163_4
; %bb.12:                               ;   in Loop: Header=BB163_6 Depth=1
	v_rcp_f32_e32 v40, v40
	s_mul_i32 s16, s6, s14
	s_mul_hi_i32 s7, s6, s14
	s_add_u32 s20, s8, s16
	v_mov_b32_e32 v41, v40
	;;#ASMSTART
	v_pk_mul_f32 v[30:31], v[30:31], v[40:41]
	;;#ASMEND
	;;#ASMSTART
	v_med3_f32 v30, v30, v38, v39
v_med3_f32 v31, v31, v38, v39
v_cvt_pk_fp8_f32 v42, v30, v31
	;;#ASMEND
	;;#ASMSTART
	v_pk_mul_f32 v[28:29], v[28:29], v[40:41]
	;;#ASMEND
	;;#ASMSTART
	v_med3_f32 v28, v28, v38, v39
v_med3_f32 v29, v29, v38, v39
v_cvt_pk_fp8_f32 v30, v28, v29
	;;#ASMEND
	;; [unrolled: 8-line block ×6, first 2 shown]
	;;#ASMSTART
	v_pk_mul_f32 v[4:5], v[4:5], v[40:41]
	;;#ASMEND
	s_addc_u32 s7, s9, s7
	v_perm_b32 v28, v30, v42, s27
	;;#ASMSTART
	v_med3_f32 v4, v4, v38, v39
v_med3_f32 v5, v5, v38, v39
v_cvt_pk_fp8_f32 v20, v4, v5
	;;#ASMEND
	;;#ASMSTART
	v_pk_mul_f32 v[0:1], v[0:1], v[40:41]
	;;#ASMEND
	s_and_b32 s21, s7, 0xffff
	s_mov_b32 s23, s19
	v_perm_b32 v28, v28, v30, s28
	v_perm_b32 v29, v29, v26, s29
	;; [unrolled: 1-line block ×3, first 2 shown]
	;;#ASMSTART
	v_med3_f32 v0, v0, v38, v39
v_med3_f32 v1, v1, v38, v39
v_cvt_pk_fp8_f32 v4, v0, v1
	;;#ASMEND
	v_perm_b32 v31, v20, v4, s29
	buffer_store_dwordx4 v[28:31], v33, s[20:23], 0 offen
	;;#ASMSTART
	s_nop 0
	;;#ASMEND
	s_branch .LBB163_4
.LBB163_13:
	s_endpgm
	.section	.rodata,"a",@progbits
	.p2align	6, 0x0
	.amdhsa_kernel _ZN5aiter43moe_smooth_per_token_scaled_quant_kernel_v1ItDB8_Li256ELi16ELb1ELb1ELi1024EEEvPT0_PfPT_S4_PiS7_iiiii
		.amdhsa_group_segment_fixed_size 4112
		.amdhsa_private_segment_fixed_size 0
		.amdhsa_kernarg_size 68
		.amdhsa_user_sgpr_count 6
		.amdhsa_user_sgpr_private_segment_buffer 1
		.amdhsa_user_sgpr_dispatch_ptr 0
		.amdhsa_user_sgpr_queue_ptr 0
		.amdhsa_user_sgpr_kernarg_segment_ptr 1
		.amdhsa_user_sgpr_dispatch_id 0
		.amdhsa_user_sgpr_flat_scratch_init 0
		.amdhsa_user_sgpr_kernarg_preload_length 0
		.amdhsa_user_sgpr_kernarg_preload_offset 0
		.amdhsa_user_sgpr_private_segment_size 0
		.amdhsa_uses_dynamic_stack 0
		.amdhsa_system_sgpr_private_segment_wavefront_offset 0
		.amdhsa_system_sgpr_workgroup_id_x 1
		.amdhsa_system_sgpr_workgroup_id_y 0
		.amdhsa_system_sgpr_workgroup_id_z 0
		.amdhsa_system_sgpr_workgroup_info 0
		.amdhsa_system_vgpr_workitem_id 0
		.amdhsa_next_free_vgpr 52
		.amdhsa_next_free_sgpr 30
		.amdhsa_accum_offset 52
		.amdhsa_reserve_vcc 1
		.amdhsa_reserve_flat_scratch 0
		.amdhsa_float_round_mode_32 0
		.amdhsa_float_round_mode_16_64 0
		.amdhsa_float_denorm_mode_32 3
		.amdhsa_float_denorm_mode_16_64 3
		.amdhsa_dx10_clamp 1
		.amdhsa_ieee_mode 1
		.amdhsa_fp16_overflow 0
		.amdhsa_tg_split 0
		.amdhsa_exception_fp_ieee_invalid_op 0
		.amdhsa_exception_fp_denorm_src 0
		.amdhsa_exception_fp_ieee_div_zero 0
		.amdhsa_exception_fp_ieee_overflow 0
		.amdhsa_exception_fp_ieee_underflow 0
		.amdhsa_exception_fp_ieee_inexact 0
		.amdhsa_exception_int_div_zero 0
	.end_amdhsa_kernel
	.section	.text._ZN5aiter43moe_smooth_per_token_scaled_quant_kernel_v1ItDB8_Li256ELi16ELb1ELb1ELi1024EEEvPT0_PfPT_S4_PiS7_iiiii,"axG",@progbits,_ZN5aiter43moe_smooth_per_token_scaled_quant_kernel_v1ItDB8_Li256ELi16ELb1ELb1ELi1024EEEvPT0_PfPT_S4_PiS7_iiiii,comdat
.Lfunc_end163:
	.size	_ZN5aiter43moe_smooth_per_token_scaled_quant_kernel_v1ItDB8_Li256ELi16ELb1ELb1ELi1024EEEvPT0_PfPT_S4_PiS7_iiiii, .Lfunc_end163-_ZN5aiter43moe_smooth_per_token_scaled_quant_kernel_v1ItDB8_Li256ELi16ELb1ELb1ELi1024EEEvPT0_PfPT_S4_PiS7_iiiii
                                        ; -- End function
	.section	.AMDGPU.csdata,"",@progbits
; Kernel info:
; codeLenInByte = 1604
; NumSgprs: 34
; NumVgprs: 52
; NumAgprs: 0
; TotalNumVgprs: 52
; ScratchSize: 0
; MemoryBound: 0
; FloatMode: 240
; IeeeMode: 1
; LDSByteSize: 4112 bytes/workgroup (compile time only)
; SGPRBlocks: 4
; VGPRBlocks: 6
; NumSGPRsForWavesPerEU: 34
; NumVGPRsForWavesPerEU: 52
; AccumOffset: 52
; Occupancy: 8
; WaveLimiterHint : 0
; COMPUTE_PGM_RSRC2:SCRATCH_EN: 0
; COMPUTE_PGM_RSRC2:USER_SGPR: 6
; COMPUTE_PGM_RSRC2:TRAP_HANDLER: 0
; COMPUTE_PGM_RSRC2:TGID_X_EN: 1
; COMPUTE_PGM_RSRC2:TGID_Y_EN: 0
; COMPUTE_PGM_RSRC2:TGID_Z_EN: 0
; COMPUTE_PGM_RSRC2:TIDIG_COMP_CNT: 0
; COMPUTE_PGM_RSRC3_GFX90A:ACCUM_OFFSET: 12
; COMPUTE_PGM_RSRC3_GFX90A:TG_SPLIT: 0
	.section	.text._ZN5aiter43moe_smooth_per_token_scaled_quant_kernel_v1IDF16_DB8_Li256ELi16ELb1ELb0ELi1024EEEvPT0_PfPT_S4_PiS7_iiiii,"axG",@progbits,_ZN5aiter43moe_smooth_per_token_scaled_quant_kernel_v1IDF16_DB8_Li256ELi16ELb1ELb0ELi1024EEEvPT0_PfPT_S4_PiS7_iiiii,comdat
	.protected	_ZN5aiter43moe_smooth_per_token_scaled_quant_kernel_v1IDF16_DB8_Li256ELi16ELb1ELb0ELi1024EEEvPT0_PfPT_S4_PiS7_iiiii ; -- Begin function _ZN5aiter43moe_smooth_per_token_scaled_quant_kernel_v1IDF16_DB8_Li256ELi16ELb1ELb0ELi1024EEEvPT0_PfPT_S4_PiS7_iiiii
	.globl	_ZN5aiter43moe_smooth_per_token_scaled_quant_kernel_v1IDF16_DB8_Li256ELi16ELb1ELb0ELi1024EEEvPT0_PfPT_S4_PiS7_iiiii
	.p2align	8
	.type	_ZN5aiter43moe_smooth_per_token_scaled_quant_kernel_v1IDF16_DB8_Li256ELi16ELb1ELb0ELi1024EEEvPT0_PfPT_S4_PiS7_iiiii,@function
_ZN5aiter43moe_smooth_per_token_scaled_quant_kernel_v1IDF16_DB8_Li256ELi16ELb1ELb0ELi1024EEEvPT0_PfPT_S4_PiS7_iiiii: ; @_ZN5aiter43moe_smooth_per_token_scaled_quant_kernel_v1IDF16_DB8_Li256ELi16ELb1ELb0ELi1024EEEvPT0_PfPT_S4_PiS7_iiiii
; %bb.0:
	s_load_dwordx4 s[8:11], s[4:5], 0x30
	s_load_dwordx2 s[0:1], s[4:5], 0x10
	s_load_dwordx2 s[2:3], s[4:5], 0x20
	v_and_b32_e32 v1, 63, v0
	s_mov_b32 s15, 0x20000
	s_waitcnt lgkmcnt(0)
	s_mul_i32 s12, s6, s9
	s_ashr_i32 s13, s12, 31
	s_lshl_b64 s[12:13], s[12:13], 2
	s_add_u32 s12, s2, s12
	s_addc_u32 s2, s3, s13
	s_and_b32 s13, s2, 0xffff
	s_mul_hi_i32 s3, s11, s6
	s_mul_i32 s2, s11, s6
	s_lshl_b32 s14, s9, 2
	v_lshlrev_b32_e32 v2, 2, v1
	s_lshl_b64 s[2:3], s[2:3], 1
	buffer_load_dword v32, v2, s[12:15], 0 offen
	s_add_u32 s12, s0, s2
	s_addc_u32 s0, s1, s3
	s_lshl_b32 s14, s10, 1
	s_and_b32 s13, s0, 0xffff
	v_lshlrev_b32_e32 v10, 5, v0
	buffer_load_dwordx4 v[6:9], v10, s[12:15], 0 offen
	buffer_load_dwordx4 v[2:5], v10, s[12:15], 16 offen
	s_mov_b32 s11, 0
	s_cmp_lt_i32 s9, 1
	s_waitcnt vmcnt(2)
	s_barrier
	s_cbranch_scc1 .LBB164_11
; %bb.1:
	s_add_i32 s2, s10, 15
	s_load_dwordx4 s[16:19], s[4:5], 0x0
	s_load_dwordx2 s[24:25], s[4:5], 0x18
	s_ashr_i32 s3, s2, 31
	s_add_i32 s4, s10, 3
	s_waitcnt vmcnt(1)
	v_cvt_f32_f16_sdwa v11, v6 dst_sel:DWORD dst_unused:UNUSED_PAD src0_sel:WORD_1
	v_cvt_f32_f16_e32 v10, v6
	v_cvt_f32_f16_sdwa v13, v7 dst_sel:DWORD dst_unused:UNUSED_PAD src0_sel:WORD_1
	v_cvt_f32_f16_e32 v12, v7
	;; [unrolled: 2-line block ×4, first 2 shown]
	s_waitcnt vmcnt(0)
	v_cvt_f32_f16_sdwa v9, v2 dst_sel:DWORD dst_unused:UNUSED_PAD src0_sel:WORD_1
	v_cvt_f32_f16_e32 v8, v2
	v_cvt_f32_f16_sdwa v17, v3 dst_sel:DWORD dst_unused:UNUSED_PAD src0_sel:WORD_1
	v_cvt_f32_f16_e32 v16, v3
	;; [unrolled: 2-line block ×4, first 2 shown]
	s_lshr_b32 s3, s3, 28
	s_ashr_i32 s5, s4, 31
	v_cmp_eq_u32_e32 vcc, 63, v1
	v_lshrrev_b32_e32 v1, 4, v0
	s_add_i32 s2, s2, s3
	s_lshr_b32 s5, s5, 30
	v_and_b32_e32 v35, 60, v1
	v_and_b32_e32 v1, 3, v0
	s_ashr_i32 s2, s2, 4
	s_add_i32 s4, s4, s5
	v_lshlrev_b32_e32 v33, 4, v0
	s_lshl_b32 s14, s10, 2
	v_lshlrev_b32_e32 v34, 6, v0
	v_lshlrev_b32_e32 v36, 2, v1
	v_cmp_eq_u32_e64 s[0:1], 0, v0
	v_cmp_gt_u32_e64 s[2:3], s2, v0
	s_and_b32 s22, s4, -4
	s_mov_b32 s26, 0x2edbe6ff
	v_mov_b32_e32 v37, 0
	v_mov_b32_e32 v38, 0xc3e00000
	;; [unrolled: 1-line block ×3, first 2 shown]
	s_mov_b32 s27, 0x5040100
	s_mov_b32 s28, 0x1060504
	;; [unrolled: 1-line block ×3, first 2 shown]
	s_branch .LBB164_4
.LBB164_2:                              ;   in Loop: Header=BB164_4 Depth=1
	s_or_b64 exec, exec, s[4:5]
.LBB164_3:                              ;   in Loop: Header=BB164_4 Depth=1
	s_add_i32 s11, s11, 1
	s_add_i32 s6, s6, s8
	s_cmp_eq_u32 s9, s11
	s_cbranch_scc1 .LBB164_11
.LBB164_4:                              ; =>This Inner Loop Header: Depth=1
	v_readlane_b32 s4, v32, s11
	s_cmp_lt_i32 s4, 0
	s_cbranch_scc1 .LBB164_3
; %bb.5:                                ;   in Loop: Header=BB164_4 Depth=1
	s_mul_i32 s4, s4, s10
	s_ashr_i32 s5, s4, 31
	s_lshl_b64 s[4:5], s[4:5], 2
	s_waitcnt lgkmcnt(0)
	s_add_u32 s12, s24, s4
	s_addc_u32 s4, s25, s5
	s_and_b32 s13, s4, 0xffff
	buffer_load_dwordx4 v[20:23], v34, s[12:15], 0 offen
	buffer_load_dwordx4 v[40:43], v34, s[12:15], 16 offen
	buffer_load_dwordx4 v[44:47], v34, s[12:15], 32 offen
	buffer_load_dwordx4 v[48:51], v34, s[12:15], 48 offen
	s_waitcnt vmcnt(3)
	v_pk_mul_f32 v[30:31], v[20:21], v[10:11]
	v_pk_mul_f32 v[28:29], v[22:23], v[12:13]
	s_waitcnt vmcnt(2)
	v_pk_mul_f32 v[26:27], v[40:41], v[6:7]
	v_max3_f32 v40, |v30|, s26, |v31|
	v_max3_f32 v40, v40, |v28|, |v29|
	v_pk_mul_f32 v[24:25], v[42:43], v[14:15]
	v_max3_f32 v40, v40, |v26|, |v27|
	s_waitcnt vmcnt(1)
	v_pk_mul_f32 v[22:23], v[44:45], v[8:9]
	v_max3_f32 v40, v40, |v24|, |v25|
	v_pk_mul_f32 v[20:21], v[46:47], v[16:17]
	v_max3_f32 v40, v40, |v22|, |v23|
	s_waitcnt vmcnt(0)
	v_pk_mul_f32 v[4:5], v[48:49], v[2:3]
	v_max3_f32 v40, v40, |v20|, |v21|
	v_pk_mul_f32 v[0:1], v[50:51], v[18:19]
	v_max3_f32 v40, v40, |v4|, |v5|
	v_max3_f32 v40, v40, |v0|, |v1|
	s_nop 1
	v_mov_b32_dpp v41, v40 quad_perm:[1,0,3,2] row_mask:0xf bank_mask:0xf
	v_cmp_gt_f32_e64 s[4:5], v40, v41
	v_cndmask_b32_e64 v40, v41, v40, s[4:5]
	s_nop 1
	v_mov_b32_dpp v41, v40 quad_perm:[2,3,0,1] row_mask:0xf bank_mask:0xf
	v_cmp_gt_f32_e64 s[4:5], v40, v41
	v_cndmask_b32_e64 v40, v41, v40, s[4:5]
	s_nop 1
	v_mov_b32_dpp v41, v40 row_half_mirror row_mask:0xf bank_mask:0xf
	v_cmp_gt_f32_e64 s[4:5], v40, v41
	v_cndmask_b32_e64 v40, v41, v40, s[4:5]
	s_nop 1
	v_mov_b32_dpp v41, v40 row_mirror row_mask:0xf bank_mask:0xf
	v_cmp_gt_f32_e64 s[4:5], v40, v41
	v_cndmask_b32_e64 v40, v41, v40, s[4:5]
	s_nop 1
	v_mov_b32_dpp v41, v40 row_bcast:15 row_mask:0xf bank_mask:0xf
	v_cmp_gt_f32_e64 s[4:5], v40, v41
	v_cndmask_b32_e64 v40, v41, v40, s[4:5]
	s_nop 1
	v_mov_b32_dpp v41, v40 row_bcast:31 row_mask:0xf bank_mask:0xf
	s_and_saveexec_b64 s[12:13], vcc
	s_cbranch_execz .LBB164_7
; %bb.6:                                ;   in Loop: Header=BB164_4 Depth=1
	v_cmp_gt_f32_e64 s[4:5], v40, v41
	v_cndmask_b32_e64 v40, v41, v40, s[4:5]
	ds_write_b32 v35, v40
.LBB164_7:                              ;   in Loop: Header=BB164_4 Depth=1
	s_or_b64 exec, exec, s[12:13]
	s_waitcnt lgkmcnt(0)
	s_barrier
	ds_read_b32 v40, v36
	s_waitcnt lgkmcnt(0)
	s_nop 0
	v_mov_b32_dpp v41, v40 quad_perm:[1,0,3,2] row_mask:0xf bank_mask:0xf
	v_cmp_gt_f32_e64 s[4:5], v40, v41
	v_cndmask_b32_e64 v40, v41, v40, s[4:5]
	s_nop 1
	v_mov_b32_dpp v41, v40 quad_perm:[2,3,0,1] row_mask:0xf bank_mask:0xf
	v_cmp_gt_f32_e64 s[4:5], v40, v41
	v_cndmask_b32_e64 v40, v41, v40, s[4:5]
	v_mul_f32_e32 v40, 0x3b124925, v40
	s_and_saveexec_b64 s[4:5], s[0:1]
	s_cbranch_execz .LBB164_9
; %bb.8:                                ;   in Loop: Header=BB164_4 Depth=1
	s_ashr_i32 s7, s6, 31
	s_lshl_b64 s[12:13], s[6:7], 2
	s_add_u32 s12, s18, s12
	s_addc_u32 s13, s19, s13
	global_store_dword v37, v40, s[12:13]
.LBB164_9:                              ;   in Loop: Header=BB164_4 Depth=1
	s_or_b64 exec, exec, s[4:5]
	s_and_saveexec_b64 s[4:5], s[2:3]
	s_cbranch_execz .LBB164_2
; %bb.10:                               ;   in Loop: Header=BB164_4 Depth=1
	v_rcp_f32_e32 v40, v40
	s_mul_i32 s12, s6, s10
	s_mul_hi_i32 s7, s6, s10
	s_add_u32 s20, s16, s12
	v_mov_b32_e32 v41, v40
	;;#ASMSTART
	v_pk_mul_f32 v[30:31], v[30:31], v[40:41]
	;;#ASMEND
	;;#ASMSTART
	v_med3_f32 v30, v30, v38, v39
v_med3_f32 v31, v31, v38, v39
v_cvt_pk_fp8_f32 v42, v30, v31
	;;#ASMEND
	;;#ASMSTART
	v_pk_mul_f32 v[28:29], v[28:29], v[40:41]
	;;#ASMEND
	;;#ASMSTART
	v_med3_f32 v28, v28, v38, v39
v_med3_f32 v29, v29, v38, v39
v_cvt_pk_fp8_f32 v30, v28, v29
	;;#ASMEND
	;; [unrolled: 8-line block ×6, first 2 shown]
	;;#ASMSTART
	v_pk_mul_f32 v[4:5], v[4:5], v[40:41]
	;;#ASMEND
	s_addc_u32 s7, s17, s7
	v_perm_b32 v28, v30, v42, s27
	;;#ASMSTART
	v_med3_f32 v4, v4, v38, v39
v_med3_f32 v5, v5, v38, v39
v_cvt_pk_fp8_f32 v20, v4, v5
	;;#ASMEND
	;;#ASMSTART
	v_pk_mul_f32 v[0:1], v[0:1], v[40:41]
	;;#ASMEND
	s_and_b32 s21, s7, 0xffff
	s_mov_b32 s23, s15
	v_perm_b32 v28, v28, v30, s28
	v_perm_b32 v29, v29, v26, s29
	;; [unrolled: 1-line block ×3, first 2 shown]
	;;#ASMSTART
	v_med3_f32 v0, v0, v38, v39
v_med3_f32 v1, v1, v38, v39
v_cvt_pk_fp8_f32 v4, v0, v1
	;;#ASMEND
	v_perm_b32 v31, v20, v4, s29
	buffer_store_dwordx4 v[28:31], v33, s[20:23], 0 offen
	;;#ASMSTART
	s_nop 0
	;;#ASMEND
	s_branch .LBB164_2
.LBB164_11:
	s_endpgm
	.section	.rodata,"a",@progbits
	.p2align	6, 0x0
	.amdhsa_kernel _ZN5aiter43moe_smooth_per_token_scaled_quant_kernel_v1IDF16_DB8_Li256ELi16ELb1ELb0ELi1024EEEvPT0_PfPT_S4_PiS7_iiiii
		.amdhsa_group_segment_fixed_size 16
		.amdhsa_private_segment_fixed_size 0
		.amdhsa_kernarg_size 68
		.amdhsa_user_sgpr_count 6
		.amdhsa_user_sgpr_private_segment_buffer 1
		.amdhsa_user_sgpr_dispatch_ptr 0
		.amdhsa_user_sgpr_queue_ptr 0
		.amdhsa_user_sgpr_kernarg_segment_ptr 1
		.amdhsa_user_sgpr_dispatch_id 0
		.amdhsa_user_sgpr_flat_scratch_init 0
		.amdhsa_user_sgpr_kernarg_preload_length 0
		.amdhsa_user_sgpr_kernarg_preload_offset 0
		.amdhsa_user_sgpr_private_segment_size 0
		.amdhsa_uses_dynamic_stack 0
		.amdhsa_system_sgpr_private_segment_wavefront_offset 0
		.amdhsa_system_sgpr_workgroup_id_x 1
		.amdhsa_system_sgpr_workgroup_id_y 0
		.amdhsa_system_sgpr_workgroup_id_z 0
		.amdhsa_system_sgpr_workgroup_info 0
		.amdhsa_system_vgpr_workitem_id 0
		.amdhsa_next_free_vgpr 52
		.amdhsa_next_free_sgpr 30
		.amdhsa_accum_offset 52
		.amdhsa_reserve_vcc 1
		.amdhsa_reserve_flat_scratch 0
		.amdhsa_float_round_mode_32 0
		.amdhsa_float_round_mode_16_64 0
		.amdhsa_float_denorm_mode_32 3
		.amdhsa_float_denorm_mode_16_64 3
		.amdhsa_dx10_clamp 1
		.amdhsa_ieee_mode 1
		.amdhsa_fp16_overflow 0
		.amdhsa_tg_split 0
		.amdhsa_exception_fp_ieee_invalid_op 0
		.amdhsa_exception_fp_denorm_src 0
		.amdhsa_exception_fp_ieee_div_zero 0
		.amdhsa_exception_fp_ieee_overflow 0
		.amdhsa_exception_fp_ieee_underflow 0
		.amdhsa_exception_fp_ieee_inexact 0
		.amdhsa_exception_int_div_zero 0
	.end_amdhsa_kernel
	.section	.text._ZN5aiter43moe_smooth_per_token_scaled_quant_kernel_v1IDF16_DB8_Li256ELi16ELb1ELb0ELi1024EEEvPT0_PfPT_S4_PiS7_iiiii,"axG",@progbits,_ZN5aiter43moe_smooth_per_token_scaled_quant_kernel_v1IDF16_DB8_Li256ELi16ELb1ELb0ELi1024EEEvPT0_PfPT_S4_PiS7_iiiii,comdat
.Lfunc_end164:
	.size	_ZN5aiter43moe_smooth_per_token_scaled_quant_kernel_v1IDF16_DB8_Li256ELi16ELb1ELb0ELi1024EEEvPT0_PfPT_S4_PiS7_iiiii, .Lfunc_end164-_ZN5aiter43moe_smooth_per_token_scaled_quant_kernel_v1IDF16_DB8_Li256ELi16ELb1ELb0ELi1024EEEvPT0_PfPT_S4_PiS7_iiiii
                                        ; -- End function
	.section	.AMDGPU.csdata,"",@progbits
; Kernel info:
; codeLenInByte = 1336
; NumSgprs: 34
; NumVgprs: 52
; NumAgprs: 0
; TotalNumVgprs: 52
; ScratchSize: 0
; MemoryBound: 0
; FloatMode: 240
; IeeeMode: 1
; LDSByteSize: 16 bytes/workgroup (compile time only)
; SGPRBlocks: 4
; VGPRBlocks: 6
; NumSGPRsForWavesPerEU: 34
; NumVGPRsForWavesPerEU: 52
; AccumOffset: 52
; Occupancy: 8
; WaveLimiterHint : 0
; COMPUTE_PGM_RSRC2:SCRATCH_EN: 0
; COMPUTE_PGM_RSRC2:USER_SGPR: 6
; COMPUTE_PGM_RSRC2:TRAP_HANDLER: 0
; COMPUTE_PGM_RSRC2:TGID_X_EN: 1
; COMPUTE_PGM_RSRC2:TGID_Y_EN: 0
; COMPUTE_PGM_RSRC2:TGID_Z_EN: 0
; COMPUTE_PGM_RSRC2:TIDIG_COMP_CNT: 0
; COMPUTE_PGM_RSRC3_GFX90A:ACCUM_OFFSET: 12
; COMPUTE_PGM_RSRC3_GFX90A:TG_SPLIT: 0
	.section	.text._ZN5aiter43moe_smooth_per_token_scaled_quant_kernel_v1ItDB8_Li256ELi16ELb1ELb0ELi1024EEEvPT0_PfPT_S4_PiS7_iiiii,"axG",@progbits,_ZN5aiter43moe_smooth_per_token_scaled_quant_kernel_v1ItDB8_Li256ELi16ELb1ELb0ELi1024EEEvPT0_PfPT_S4_PiS7_iiiii,comdat
	.protected	_ZN5aiter43moe_smooth_per_token_scaled_quant_kernel_v1ItDB8_Li256ELi16ELb1ELb0ELi1024EEEvPT0_PfPT_S4_PiS7_iiiii ; -- Begin function _ZN5aiter43moe_smooth_per_token_scaled_quant_kernel_v1ItDB8_Li256ELi16ELb1ELb0ELi1024EEEvPT0_PfPT_S4_PiS7_iiiii
	.globl	_ZN5aiter43moe_smooth_per_token_scaled_quant_kernel_v1ItDB8_Li256ELi16ELb1ELb0ELi1024EEEvPT0_PfPT_S4_PiS7_iiiii
	.p2align	8
	.type	_ZN5aiter43moe_smooth_per_token_scaled_quant_kernel_v1ItDB8_Li256ELi16ELb1ELb0ELi1024EEEvPT0_PfPT_S4_PiS7_iiiii,@function
_ZN5aiter43moe_smooth_per_token_scaled_quant_kernel_v1ItDB8_Li256ELi16ELb1ELb0ELi1024EEEvPT0_PfPT_S4_PiS7_iiiii: ; @_ZN5aiter43moe_smooth_per_token_scaled_quant_kernel_v1ItDB8_Li256ELi16ELb1ELb0ELi1024EEEvPT0_PfPT_S4_PiS7_iiiii
; %bb.0:
	s_load_dwordx4 s[8:11], s[4:5], 0x30
	s_load_dwordx2 s[0:1], s[4:5], 0x10
	s_load_dwordx2 s[2:3], s[4:5], 0x20
	v_and_b32_e32 v1, 63, v0
	s_mov_b32 s15, 0x20000
	s_waitcnt lgkmcnt(0)
	s_mul_i32 s12, s6, s9
	s_ashr_i32 s13, s12, 31
	s_lshl_b64 s[12:13], s[12:13], 2
	s_add_u32 s12, s2, s12
	s_addc_u32 s2, s3, s13
	s_and_b32 s13, s2, 0xffff
	s_mul_hi_i32 s3, s11, s6
	s_mul_i32 s2, s11, s6
	s_lshl_b32 s14, s9, 2
	v_lshlrev_b32_e32 v2, 2, v1
	s_lshl_b64 s[2:3], s[2:3], 1
	buffer_load_dword v32, v2, s[12:15], 0 offen
	s_add_u32 s12, s0, s2
	s_addc_u32 s0, s1, s3
	s_lshl_b32 s14, s10, 1
	s_and_b32 s13, s0, 0xffff
	v_lshlrev_b32_e32 v10, 5, v0
	buffer_load_dwordx4 v[6:9], v10, s[12:15], 0 offen
	buffer_load_dwordx4 v[2:5], v10, s[12:15], 16 offen
	s_mov_b32 s11, 0
	s_cmp_lt_i32 s9, 1
	s_waitcnt vmcnt(2)
	s_barrier
	s_cbranch_scc1 .LBB165_11
; %bb.1:
	s_add_i32 s2, s10, 15
	s_load_dwordx4 s[16:19], s[4:5], 0x0
	s_load_dwordx2 s[24:25], s[4:5], 0x18
	s_ashr_i32 s3, s2, 31
	s_add_i32 s4, s10, 3
	s_waitcnt vmcnt(1)
	v_cvt_f32_u32_sdwa v11, v6 dst_sel:DWORD dst_unused:UNUSED_PAD src0_sel:WORD_1
	v_cvt_f32_u32_sdwa v10, v6 dst_sel:DWORD dst_unused:UNUSED_PAD src0_sel:WORD_0
	v_cvt_f32_u32_sdwa v13, v7 dst_sel:DWORD dst_unused:UNUSED_PAD src0_sel:WORD_1
	v_cvt_f32_u32_sdwa v12, v7 dst_sel:DWORD dst_unused:UNUSED_PAD src0_sel:WORD_0
	;; [unrolled: 2-line block ×4, first 2 shown]
	s_waitcnt vmcnt(0)
	v_cvt_f32_u32_sdwa v9, v2 dst_sel:DWORD dst_unused:UNUSED_PAD src0_sel:WORD_1
	v_cvt_f32_u32_sdwa v8, v2 dst_sel:DWORD dst_unused:UNUSED_PAD src0_sel:WORD_0
	v_cvt_f32_u32_sdwa v17, v3 dst_sel:DWORD dst_unused:UNUSED_PAD src0_sel:WORD_1
	v_cvt_f32_u32_sdwa v16, v3 dst_sel:DWORD dst_unused:UNUSED_PAD src0_sel:WORD_0
	;; [unrolled: 2-line block ×4, first 2 shown]
	s_lshr_b32 s3, s3, 28
	s_ashr_i32 s5, s4, 31
	v_cmp_eq_u32_e32 vcc, 63, v1
	v_lshrrev_b32_e32 v1, 4, v0
	s_add_i32 s2, s2, s3
	s_lshr_b32 s5, s5, 30
	v_and_b32_e32 v35, 60, v1
	v_and_b32_e32 v1, 3, v0
	s_ashr_i32 s2, s2, 4
	s_add_i32 s4, s4, s5
	v_lshlrev_b32_e32 v33, 4, v0
	s_lshl_b32 s14, s10, 2
	v_lshlrev_b32_e32 v34, 6, v0
	v_lshlrev_b32_e32 v36, 2, v1
	v_cmp_eq_u32_e64 s[0:1], 0, v0
	v_cmp_gt_u32_e64 s[2:3], s2, v0
	s_and_b32 s22, s4, -4
	s_mov_b32 s26, 0x2edbe6ff
	v_mov_b32_e32 v37, 0
	v_mov_b32_e32 v38, 0xc3e00000
	v_mov_b32_e32 v39, 0x43e00000
	s_mov_b32 s27, 0x5040100
	s_mov_b32 s28, 0x1060504
	;; [unrolled: 1-line block ×3, first 2 shown]
	s_branch .LBB165_4
.LBB165_2:                              ;   in Loop: Header=BB165_4 Depth=1
	s_or_b64 exec, exec, s[4:5]
.LBB165_3:                              ;   in Loop: Header=BB165_4 Depth=1
	s_add_i32 s11, s11, 1
	s_add_i32 s6, s6, s8
	s_cmp_eq_u32 s9, s11
	s_cbranch_scc1 .LBB165_11
.LBB165_4:                              ; =>This Inner Loop Header: Depth=1
	v_readlane_b32 s4, v32, s11
	s_cmp_lt_i32 s4, 0
	s_cbranch_scc1 .LBB165_3
; %bb.5:                                ;   in Loop: Header=BB165_4 Depth=1
	s_mul_i32 s4, s4, s10
	s_ashr_i32 s5, s4, 31
	s_lshl_b64 s[4:5], s[4:5], 2
	s_waitcnt lgkmcnt(0)
	s_add_u32 s12, s24, s4
	s_addc_u32 s4, s25, s5
	s_and_b32 s13, s4, 0xffff
	buffer_load_dwordx4 v[20:23], v34, s[12:15], 0 offen
	buffer_load_dwordx4 v[40:43], v34, s[12:15], 16 offen
	;; [unrolled: 1-line block ×4, first 2 shown]
	s_waitcnt vmcnt(3)
	v_pk_mul_f32 v[30:31], v[20:21], v[10:11]
	v_pk_mul_f32 v[28:29], v[22:23], v[12:13]
	s_waitcnt vmcnt(2)
	v_pk_mul_f32 v[26:27], v[40:41], v[6:7]
	v_max3_f32 v40, |v30|, s26, |v31|
	v_max3_f32 v40, v40, |v28|, |v29|
	v_pk_mul_f32 v[24:25], v[42:43], v[14:15]
	v_max3_f32 v40, v40, |v26|, |v27|
	s_waitcnt vmcnt(1)
	v_pk_mul_f32 v[22:23], v[44:45], v[8:9]
	v_max3_f32 v40, v40, |v24|, |v25|
	v_pk_mul_f32 v[20:21], v[46:47], v[16:17]
	v_max3_f32 v40, v40, |v22|, |v23|
	s_waitcnt vmcnt(0)
	v_pk_mul_f32 v[4:5], v[48:49], v[2:3]
	v_max3_f32 v40, v40, |v20|, |v21|
	v_pk_mul_f32 v[0:1], v[50:51], v[18:19]
	v_max3_f32 v40, v40, |v4|, |v5|
	v_max3_f32 v40, v40, |v0|, |v1|
	s_nop 1
	v_mov_b32_dpp v41, v40 quad_perm:[1,0,3,2] row_mask:0xf bank_mask:0xf
	v_cmp_gt_f32_e64 s[4:5], v40, v41
	v_cndmask_b32_e64 v40, v41, v40, s[4:5]
	s_nop 1
	v_mov_b32_dpp v41, v40 quad_perm:[2,3,0,1] row_mask:0xf bank_mask:0xf
	v_cmp_gt_f32_e64 s[4:5], v40, v41
	v_cndmask_b32_e64 v40, v41, v40, s[4:5]
	s_nop 1
	v_mov_b32_dpp v41, v40 row_half_mirror row_mask:0xf bank_mask:0xf
	v_cmp_gt_f32_e64 s[4:5], v40, v41
	v_cndmask_b32_e64 v40, v41, v40, s[4:5]
	s_nop 1
	v_mov_b32_dpp v41, v40 row_mirror row_mask:0xf bank_mask:0xf
	v_cmp_gt_f32_e64 s[4:5], v40, v41
	v_cndmask_b32_e64 v40, v41, v40, s[4:5]
	s_nop 1
	v_mov_b32_dpp v41, v40 row_bcast:15 row_mask:0xf bank_mask:0xf
	v_cmp_gt_f32_e64 s[4:5], v40, v41
	v_cndmask_b32_e64 v40, v41, v40, s[4:5]
	s_nop 1
	v_mov_b32_dpp v41, v40 row_bcast:31 row_mask:0xf bank_mask:0xf
	s_and_saveexec_b64 s[12:13], vcc
	s_cbranch_execz .LBB165_7
; %bb.6:                                ;   in Loop: Header=BB165_4 Depth=1
	v_cmp_gt_f32_e64 s[4:5], v40, v41
	v_cndmask_b32_e64 v40, v41, v40, s[4:5]
	ds_write_b32 v35, v40
.LBB165_7:                              ;   in Loop: Header=BB165_4 Depth=1
	s_or_b64 exec, exec, s[12:13]
	s_waitcnt lgkmcnt(0)
	s_barrier
	ds_read_b32 v40, v36
	s_waitcnt lgkmcnt(0)
	s_nop 0
	v_mov_b32_dpp v41, v40 quad_perm:[1,0,3,2] row_mask:0xf bank_mask:0xf
	v_cmp_gt_f32_e64 s[4:5], v40, v41
	v_cndmask_b32_e64 v40, v41, v40, s[4:5]
	s_nop 1
	v_mov_b32_dpp v41, v40 quad_perm:[2,3,0,1] row_mask:0xf bank_mask:0xf
	v_cmp_gt_f32_e64 s[4:5], v40, v41
	v_cndmask_b32_e64 v40, v41, v40, s[4:5]
	v_mul_f32_e32 v40, 0x3b124925, v40
	s_and_saveexec_b64 s[4:5], s[0:1]
	s_cbranch_execz .LBB165_9
; %bb.8:                                ;   in Loop: Header=BB165_4 Depth=1
	s_ashr_i32 s7, s6, 31
	s_lshl_b64 s[12:13], s[6:7], 2
	s_add_u32 s12, s18, s12
	s_addc_u32 s13, s19, s13
	global_store_dword v37, v40, s[12:13]
.LBB165_9:                              ;   in Loop: Header=BB165_4 Depth=1
	s_or_b64 exec, exec, s[4:5]
	s_and_saveexec_b64 s[4:5], s[2:3]
	s_cbranch_execz .LBB165_2
; %bb.10:                               ;   in Loop: Header=BB165_4 Depth=1
	v_rcp_f32_e32 v40, v40
	s_mul_i32 s12, s6, s10
	s_mul_hi_i32 s7, s6, s10
	s_add_u32 s20, s16, s12
	v_mov_b32_e32 v41, v40
	;;#ASMSTART
	v_pk_mul_f32 v[30:31], v[30:31], v[40:41]
	;;#ASMEND
	;;#ASMSTART
	v_med3_f32 v30, v30, v38, v39
v_med3_f32 v31, v31, v38, v39
v_cvt_pk_fp8_f32 v42, v30, v31
	;;#ASMEND
	;;#ASMSTART
	v_pk_mul_f32 v[28:29], v[28:29], v[40:41]
	;;#ASMEND
	;;#ASMSTART
	v_med3_f32 v28, v28, v38, v39
v_med3_f32 v29, v29, v38, v39
v_cvt_pk_fp8_f32 v30, v28, v29
	;;#ASMEND
	;; [unrolled: 8-line block ×6, first 2 shown]
	;;#ASMSTART
	v_pk_mul_f32 v[4:5], v[4:5], v[40:41]
	;;#ASMEND
	s_addc_u32 s7, s17, s7
	v_perm_b32 v28, v30, v42, s27
	;;#ASMSTART
	v_med3_f32 v4, v4, v38, v39
v_med3_f32 v5, v5, v38, v39
v_cvt_pk_fp8_f32 v20, v4, v5
	;;#ASMEND
	;;#ASMSTART
	v_pk_mul_f32 v[0:1], v[0:1], v[40:41]
	;;#ASMEND
	s_and_b32 s21, s7, 0xffff
	s_mov_b32 s23, s15
	v_perm_b32 v28, v28, v30, s28
	v_perm_b32 v29, v29, v26, s29
	;; [unrolled: 1-line block ×3, first 2 shown]
	;;#ASMSTART
	v_med3_f32 v0, v0, v38, v39
v_med3_f32 v1, v1, v38, v39
v_cvt_pk_fp8_f32 v4, v0, v1
	;;#ASMEND
	v_perm_b32 v31, v20, v4, s29
	buffer_store_dwordx4 v[28:31], v33, s[20:23], 0 offen
	;;#ASMSTART
	s_nop 0
	;;#ASMEND
	s_branch .LBB165_2
.LBB165_11:
	s_endpgm
	.section	.rodata,"a",@progbits
	.p2align	6, 0x0
	.amdhsa_kernel _ZN5aiter43moe_smooth_per_token_scaled_quant_kernel_v1ItDB8_Li256ELi16ELb1ELb0ELi1024EEEvPT0_PfPT_S4_PiS7_iiiii
		.amdhsa_group_segment_fixed_size 16
		.amdhsa_private_segment_fixed_size 0
		.amdhsa_kernarg_size 68
		.amdhsa_user_sgpr_count 6
		.amdhsa_user_sgpr_private_segment_buffer 1
		.amdhsa_user_sgpr_dispatch_ptr 0
		.amdhsa_user_sgpr_queue_ptr 0
		.amdhsa_user_sgpr_kernarg_segment_ptr 1
		.amdhsa_user_sgpr_dispatch_id 0
		.amdhsa_user_sgpr_flat_scratch_init 0
		.amdhsa_user_sgpr_kernarg_preload_length 0
		.amdhsa_user_sgpr_kernarg_preload_offset 0
		.amdhsa_user_sgpr_private_segment_size 0
		.amdhsa_uses_dynamic_stack 0
		.amdhsa_system_sgpr_private_segment_wavefront_offset 0
		.amdhsa_system_sgpr_workgroup_id_x 1
		.amdhsa_system_sgpr_workgroup_id_y 0
		.amdhsa_system_sgpr_workgroup_id_z 0
		.amdhsa_system_sgpr_workgroup_info 0
		.amdhsa_system_vgpr_workitem_id 0
		.amdhsa_next_free_vgpr 52
		.amdhsa_next_free_sgpr 30
		.amdhsa_accum_offset 52
		.amdhsa_reserve_vcc 1
		.amdhsa_reserve_flat_scratch 0
		.amdhsa_float_round_mode_32 0
		.amdhsa_float_round_mode_16_64 0
		.amdhsa_float_denorm_mode_32 3
		.amdhsa_float_denorm_mode_16_64 3
		.amdhsa_dx10_clamp 1
		.amdhsa_ieee_mode 1
		.amdhsa_fp16_overflow 0
		.amdhsa_tg_split 0
		.amdhsa_exception_fp_ieee_invalid_op 0
		.amdhsa_exception_fp_denorm_src 0
		.amdhsa_exception_fp_ieee_div_zero 0
		.amdhsa_exception_fp_ieee_overflow 0
		.amdhsa_exception_fp_ieee_underflow 0
		.amdhsa_exception_fp_ieee_inexact 0
		.amdhsa_exception_int_div_zero 0
	.end_amdhsa_kernel
	.section	.text._ZN5aiter43moe_smooth_per_token_scaled_quant_kernel_v1ItDB8_Li256ELi16ELb1ELb0ELi1024EEEvPT0_PfPT_S4_PiS7_iiiii,"axG",@progbits,_ZN5aiter43moe_smooth_per_token_scaled_quant_kernel_v1ItDB8_Li256ELi16ELb1ELb0ELi1024EEEvPT0_PfPT_S4_PiS7_iiiii,comdat
.Lfunc_end165:
	.size	_ZN5aiter43moe_smooth_per_token_scaled_quant_kernel_v1ItDB8_Li256ELi16ELb1ELb0ELi1024EEEvPT0_PfPT_S4_PiS7_iiiii, .Lfunc_end165-_ZN5aiter43moe_smooth_per_token_scaled_quant_kernel_v1ItDB8_Li256ELi16ELb1ELb0ELi1024EEEvPT0_PfPT_S4_PiS7_iiiii
                                        ; -- End function
	.section	.AMDGPU.csdata,"",@progbits
; Kernel info:
; codeLenInByte = 1368
; NumSgprs: 34
; NumVgprs: 52
; NumAgprs: 0
; TotalNumVgprs: 52
; ScratchSize: 0
; MemoryBound: 0
; FloatMode: 240
; IeeeMode: 1
; LDSByteSize: 16 bytes/workgroup (compile time only)
; SGPRBlocks: 4
; VGPRBlocks: 6
; NumSGPRsForWavesPerEU: 34
; NumVGPRsForWavesPerEU: 52
; AccumOffset: 52
; Occupancy: 8
; WaveLimiterHint : 0
; COMPUTE_PGM_RSRC2:SCRATCH_EN: 0
; COMPUTE_PGM_RSRC2:USER_SGPR: 6
; COMPUTE_PGM_RSRC2:TRAP_HANDLER: 0
; COMPUTE_PGM_RSRC2:TGID_X_EN: 1
; COMPUTE_PGM_RSRC2:TGID_Y_EN: 0
; COMPUTE_PGM_RSRC2:TGID_Z_EN: 0
; COMPUTE_PGM_RSRC2:TIDIG_COMP_CNT: 0
; COMPUTE_PGM_RSRC3_GFX90A:ACCUM_OFFSET: 12
; COMPUTE_PGM_RSRC3_GFX90A:TG_SPLIT: 0
	.section	.text._ZN5aiter43moe_smooth_per_token_scaled_quant_kernel_v1IDF16_DB8_Li256ELi16ELb0ELb1ELi1024EEEvPT0_PfPT_S4_PiS7_iiiii,"axG",@progbits,_ZN5aiter43moe_smooth_per_token_scaled_quant_kernel_v1IDF16_DB8_Li256ELi16ELb0ELb1ELi1024EEEvPT0_PfPT_S4_PiS7_iiiii,comdat
	.protected	_ZN5aiter43moe_smooth_per_token_scaled_quant_kernel_v1IDF16_DB8_Li256ELi16ELb0ELb1ELi1024EEEvPT0_PfPT_S4_PiS7_iiiii ; -- Begin function _ZN5aiter43moe_smooth_per_token_scaled_quant_kernel_v1IDF16_DB8_Li256ELi16ELb0ELb1ELi1024EEEvPT0_PfPT_S4_PiS7_iiiii
	.globl	_ZN5aiter43moe_smooth_per_token_scaled_quant_kernel_v1IDF16_DB8_Li256ELi16ELb0ELb1ELi1024EEEvPT0_PfPT_S4_PiS7_iiiii
	.p2align	8
	.type	_ZN5aiter43moe_smooth_per_token_scaled_quant_kernel_v1IDF16_DB8_Li256ELi16ELb0ELb1ELi1024EEEvPT0_PfPT_S4_PiS7_iiiii,@function
_ZN5aiter43moe_smooth_per_token_scaled_quant_kernel_v1IDF16_DB8_Li256ELi16ELb0ELb1ELi1024EEEvPT0_PfPT_S4_PiS7_iiiii: ; @_ZN5aiter43moe_smooth_per_token_scaled_quant_kernel_v1IDF16_DB8_Li256ELi16ELb0ELb1ELi1024EEEvPT0_PfPT_S4_PiS7_iiiii
; %bb.0:
	s_load_dwordx4 s[8:11], s[4:5], 0x34
	s_load_dwordx4 s[12:15], s[4:5], 0x20
	s_load_dwordx2 s[16:17], s[4:5], 0x10
	v_and_b32_e32 v1, 0x3c0, v0
	v_lshlrev_b32_e32 v1, 2, v1
	v_lshlrev_b32_e32 v2, 2, v0
	v_readfirstlane_b32 s7, v1
	v_add_u32_e32 v3, 0x400, v1
	s_waitcnt lgkmcnt(0)
	s_lshl_b32 s2, s11, 2
	s_and_b32 s1, s15, 0xffff
	s_mov_b32 s3, 0x20000
	s_mov_b32 s0, s14
	;;#ASMSTART
	s_mov_b32 m0 s7
	buffer_load_dword v2, s[0:3], 0 offen offset:0 lds
	
	;;#ASMEND
	v_readfirstlane_b32 s7, v3
	v_add_u32_e32 v3, 0x400, v2
	;;#ASMSTART
	s_mov_b32 m0 s7
	buffer_load_dword v3, s[0:3], 0 offen offset:0 lds
	
	;;#ASMEND
	v_add_u32_e32 v3, 0x800, v1
	s_mul_i32 s20, s6, s8
	v_readfirstlane_b32 s7, v3
	v_add_u32_e32 v3, 0x800, v2
	;;#ASMSTART
	s_mov_b32 m0 s7
	buffer_load_dword v3, s[0:3], 0 offen offset:0 lds
	
	;;#ASMEND
	v_add_u32_e32 v1, 0xc00, v1
	s_ashr_i32 s21, s20, 31
	v_readfirstlane_b32 s7, v1
	v_add_u32_e32 v1, 0xc00, v2
	;;#ASMSTART
	s_mov_b32 m0 s7
	buffer_load_dword v1, s[0:3], 0 offen offset:0 lds
	
	;;#ASMEND
	s_lshl_b64 s[0:1], s[20:21], 2
	s_add_u32 s0, s12, s0
	v_and_b32_e32 v1, 63, v0
	s_addc_u32 s1, s13, s1
	s_lshl_b32 s2, s8, 2
	s_and_b32 s1, s1, 0xffff
	v_lshlrev_b32_e32 v2, 2, v1
	buffer_load_dword v32, v2, s[0:3], 0 offen
	s_mul_hi_i32 s1, s10, s6
	s_mul_i32 s0, s10, s6
	s_lshl_b64 s[0:1], s[0:1], 1
	s_add_u32 s0, s16, s0
	s_addc_u32 s1, s17, s1
	s_lshl_b32 s2, s9, 1
	s_and_b32 s1, s1, 0xffff
	v_lshlrev_b32_e32 v10, 5, v0
	buffer_load_dwordx4 v[6:9], v10, s[0:3], 0 offen
	buffer_load_dwordx4 v[2:5], v10, s[0:3], 16 offen
	v_cmp_gt_i32_e32 vcc, s8, v1
	s_waitcnt vmcnt(2)
	s_barrier
	v_cmp_gt_i32_e64 s[2:3], s11, v32
	v_cmp_lt_i32_e64 s[0:1], -1, v32
	s_and_b64 s[2:3], vcc, s[2:3]
	s_and_b64 s[2:3], s[2:3], s[0:1]
	s_and_saveexec_b64 s[0:1], s[2:3]
	s_cbranch_execz .LBB166_2
; %bb.1:
	v_lshlrev_b32_e32 v10, 2, v32
	ds_read_b32 v32, v10
.LBB166_2:
	s_or_b64 exec, exec, s[0:1]
	s_cmp_lt_i32 s8, 1
	s_cbranch_scc1 .LBB166_13
; %bb.3:
	s_add_i32 s2, s9, 15
	s_load_dwordx4 s[12:15], s[4:5], 0x0
	s_load_dwordx2 s[10:11], s[4:5], 0x18
	s_ashr_i32 s3, s2, 31
	s_add_i32 s4, s9, 3
	s_waitcnt vmcnt(1)
	v_cvt_f32_f16_sdwa v11, v6 dst_sel:DWORD dst_unused:UNUSED_PAD src0_sel:WORD_1
	v_cvt_f32_f16_e32 v10, v6
	v_cvt_f32_f16_sdwa v13, v7 dst_sel:DWORD dst_unused:UNUSED_PAD src0_sel:WORD_1
	v_cvt_f32_f16_e32 v12, v7
	;; [unrolled: 2-line block ×4, first 2 shown]
	s_waitcnt vmcnt(0)
	v_cvt_f32_f16_sdwa v9, v2 dst_sel:DWORD dst_unused:UNUSED_PAD src0_sel:WORD_1
	v_cvt_f32_f16_e32 v8, v2
	v_cvt_f32_f16_sdwa v17, v3 dst_sel:DWORD dst_unused:UNUSED_PAD src0_sel:WORD_1
	v_cvt_f32_f16_e32 v16, v3
	;; [unrolled: 2-line block ×4, first 2 shown]
	s_lshr_b32 s3, s3, 28
	s_ashr_i32 s5, s4, 31
	v_cmp_eq_u32_e32 vcc, 63, v1
	v_lshrrev_b32_e32 v1, 4, v0
	v_mov_b32_e32 v4, 0x1000
	s_add_i32 s2, s2, s3
	s_lshr_b32 s5, s5, 30
	v_and_or_b32 v35, v1, 60, v4
	v_and_b32_e32 v1, 3, v0
	s_ashr_i32 s2, s2, 4
	s_add_i32 s4, s4, s5
	s_mov_b32 s21, s9
	v_lshlrev_b32_e32 v33, 4, v0
	s_lshl_b32 s6, s9, 2
	v_lshlrev_b32_e32 v34, 6, v0
	v_lshl_or_b32 v36, v1, 2, v4
	s_mov_b32 s22, 0
	v_cmp_eq_u32_e64 s[0:1], 0, v0
	v_cmp_gt_u32_e64 s[2:3], s2, v0
	s_and_b32 s18, s4, -4
	s_mov_b32 s7, 0x20000
	s_mov_b32 s9, 0x2edbe6ff
	v_mov_b32_e32 v37, 0
	v_mov_b32_e32 v38, 0xc3e00000
	;; [unrolled: 1-line block ×3, first 2 shown]
	s_mov_b32 s23, 0x5040100
	s_mov_b32 s24, 0x1060504
	;; [unrolled: 1-line block ×3, first 2 shown]
	s_branch .LBB166_6
.LBB166_4:                              ;   in Loop: Header=BB166_6 Depth=1
	s_or_b64 exec, exec, s[4:5]
.LBB166_5:                              ;   in Loop: Header=BB166_6 Depth=1
	s_add_i32 s22, s22, 1
	s_cmp_eq_u32 s8, s22
	s_cbranch_scc1 .LBB166_13
.LBB166_6:                              ; =>This Inner Loop Header: Depth=1
	s_waitcnt lgkmcnt(0)
	v_readlane_b32 s4, v32, s22
	s_cmp_lt_i32 s4, 0
	s_cbranch_scc1 .LBB166_5
; %bb.7:                                ;   in Loop: Header=BB166_6 Depth=1
	s_mul_i32 s4, s4, s21
	s_ashr_i32 s5, s4, 31
	s_lshl_b64 s[4:5], s[4:5], 2
	s_add_u32 s4, s10, s4
	s_addc_u32 s5, s11, s5
	s_and_b32 s5, s5, 0xffff
	buffer_load_dwordx4 v[20:23], v34, s[4:7], 0 offen
	buffer_load_dwordx4 v[40:43], v34, s[4:7], 16 offen
	;; [unrolled: 1-line block ×4, first 2 shown]
	s_waitcnt vmcnt(3)
	v_pk_mul_f32 v[30:31], v[20:21], v[10:11]
	v_pk_mul_f32 v[28:29], v[22:23], v[12:13]
	s_waitcnt vmcnt(2)
	v_pk_mul_f32 v[26:27], v[40:41], v[6:7]
	v_max3_f32 v40, |v30|, s9, |v31|
	v_max3_f32 v40, v40, |v28|, |v29|
	v_pk_mul_f32 v[24:25], v[42:43], v[14:15]
	v_max3_f32 v40, v40, |v26|, |v27|
	s_waitcnt vmcnt(1)
	v_pk_mul_f32 v[22:23], v[44:45], v[8:9]
	v_max3_f32 v40, v40, |v24|, |v25|
	v_pk_mul_f32 v[20:21], v[46:47], v[16:17]
	v_max3_f32 v40, v40, |v22|, |v23|
	s_waitcnt vmcnt(0)
	v_pk_mul_f32 v[4:5], v[48:49], v[2:3]
	v_max3_f32 v40, v40, |v20|, |v21|
	v_pk_mul_f32 v[0:1], v[50:51], v[18:19]
	v_max3_f32 v40, v40, |v4|, |v5|
	v_max3_f32 v40, v40, |v0|, |v1|
	s_nop 1
	v_mov_b32_dpp v41, v40 quad_perm:[1,0,3,2] row_mask:0xf bank_mask:0xf
	v_cmp_gt_f32_e64 s[4:5], v40, v41
	v_cndmask_b32_e64 v40, v41, v40, s[4:5]
	s_nop 1
	v_mov_b32_dpp v41, v40 quad_perm:[2,3,0,1] row_mask:0xf bank_mask:0xf
	v_cmp_gt_f32_e64 s[4:5], v40, v41
	v_cndmask_b32_e64 v40, v41, v40, s[4:5]
	s_nop 1
	v_mov_b32_dpp v41, v40 row_half_mirror row_mask:0xf bank_mask:0xf
	v_cmp_gt_f32_e64 s[4:5], v40, v41
	v_cndmask_b32_e64 v40, v41, v40, s[4:5]
	s_nop 1
	v_mov_b32_dpp v41, v40 row_mirror row_mask:0xf bank_mask:0xf
	v_cmp_gt_f32_e64 s[4:5], v40, v41
	v_cndmask_b32_e64 v40, v41, v40, s[4:5]
	s_nop 1
	v_mov_b32_dpp v41, v40 row_bcast:15 row_mask:0xf bank_mask:0xf
	v_cmp_gt_f32_e64 s[4:5], v40, v41
	v_cndmask_b32_e64 v40, v41, v40, s[4:5]
	s_nop 1
	v_mov_b32_dpp v41, v40 row_bcast:31 row_mask:0xf bank_mask:0xf
	s_and_saveexec_b64 s[16:17], vcc
	s_cbranch_execz .LBB166_9
; %bb.8:                                ;   in Loop: Header=BB166_6 Depth=1
	v_cmp_gt_f32_e64 s[4:5], v40, v41
	v_cndmask_b32_e64 v40, v41, v40, s[4:5]
	ds_write_b32 v35, v40
.LBB166_9:                              ;   in Loop: Header=BB166_6 Depth=1
	s_or_b64 exec, exec, s[16:17]
	s_waitcnt lgkmcnt(0)
	s_barrier
	ds_read_b32 v40, v36
	s_add_i32 s16, s20, s22
	s_waitcnt lgkmcnt(0)
	v_mov_b32_dpp v41, v40 quad_perm:[1,0,3,2] row_mask:0xf bank_mask:0xf
	v_cmp_gt_f32_e64 s[4:5], v40, v41
	v_cndmask_b32_e64 v40, v41, v40, s[4:5]
	s_nop 1
	v_mov_b32_dpp v41, v40 quad_perm:[2,3,0,1] row_mask:0xf bank_mask:0xf
	v_cmp_gt_f32_e64 s[4:5], v40, v41
	v_cndmask_b32_e64 v40, v41, v40, s[4:5]
	v_mul_f32_e32 v40, 0x3b124925, v40
	s_and_saveexec_b64 s[4:5], s[0:1]
	s_cbranch_execz .LBB166_11
; %bb.10:                               ;   in Loop: Header=BB166_6 Depth=1
	s_ashr_i32 s17, s16, 31
	s_lshl_b64 s[26:27], s[16:17], 2
	s_add_u32 s26, s14, s26
	s_addc_u32 s27, s15, s27
	global_store_dword v37, v40, s[26:27]
.LBB166_11:                             ;   in Loop: Header=BB166_6 Depth=1
	s_or_b64 exec, exec, s[4:5]
	s_and_saveexec_b64 s[4:5], s[2:3]
	s_cbranch_execz .LBB166_4
; %bb.12:                               ;   in Loop: Header=BB166_6 Depth=1
	v_rcp_f32_e32 v40, v40
	s_mul_hi_i32 s17, s16, s21
	s_mul_i32 s16, s16, s21
	s_add_u32 s16, s12, s16
	v_mov_b32_e32 v41, v40
	;;#ASMSTART
	v_pk_mul_f32 v[30:31], v[30:31], v[40:41]
	;;#ASMEND
	;;#ASMSTART
	v_med3_f32 v30, v30, v38, v39
v_med3_f32 v31, v31, v38, v39
v_cvt_pk_fp8_f32 v42, v30, v31
	;;#ASMEND
	;;#ASMSTART
	v_pk_mul_f32 v[28:29], v[28:29], v[40:41]
	;;#ASMEND
	;;#ASMSTART
	v_med3_f32 v28, v28, v38, v39
v_med3_f32 v29, v29, v38, v39
v_cvt_pk_fp8_f32 v30, v28, v29
	;;#ASMEND
	;; [unrolled: 8-line block ×6, first 2 shown]
	;;#ASMSTART
	v_pk_mul_f32 v[4:5], v[4:5], v[40:41]
	;;#ASMEND
	s_addc_u32 s17, s13, s17
	v_perm_b32 v28, v30, v42, s23
	;;#ASMSTART
	v_med3_f32 v4, v4, v38, v39
v_med3_f32 v5, v5, v38, v39
v_cvt_pk_fp8_f32 v20, v4, v5
	;;#ASMEND
	;;#ASMSTART
	v_pk_mul_f32 v[0:1], v[0:1], v[40:41]
	;;#ASMEND
	s_and_b32 s17, s17, 0xffff
	s_mov_b32 s19, s7
	v_perm_b32 v28, v28, v30, s24
	v_perm_b32 v29, v29, v26, s25
	;; [unrolled: 1-line block ×3, first 2 shown]
	;;#ASMSTART
	v_med3_f32 v0, v0, v38, v39
v_med3_f32 v1, v1, v38, v39
v_cvt_pk_fp8_f32 v4, v0, v1
	;;#ASMEND
	v_perm_b32 v31, v20, v4, s25
	buffer_store_dwordx4 v[28:31], v33, s[16:19], 0 offen
	;;#ASMSTART
	s_nop 0
	;;#ASMEND
	s_branch .LBB166_4
.LBB166_13:
	s_endpgm
	.section	.rodata,"a",@progbits
	.p2align	6, 0x0
	.amdhsa_kernel _ZN5aiter43moe_smooth_per_token_scaled_quant_kernel_v1IDF16_DB8_Li256ELi16ELb0ELb1ELi1024EEEvPT0_PfPT_S4_PiS7_iiiii
		.amdhsa_group_segment_fixed_size 4112
		.amdhsa_private_segment_fixed_size 0
		.amdhsa_kernarg_size 68
		.amdhsa_user_sgpr_count 6
		.amdhsa_user_sgpr_private_segment_buffer 1
		.amdhsa_user_sgpr_dispatch_ptr 0
		.amdhsa_user_sgpr_queue_ptr 0
		.amdhsa_user_sgpr_kernarg_segment_ptr 1
		.amdhsa_user_sgpr_dispatch_id 0
		.amdhsa_user_sgpr_flat_scratch_init 0
		.amdhsa_user_sgpr_kernarg_preload_length 0
		.amdhsa_user_sgpr_kernarg_preload_offset 0
		.amdhsa_user_sgpr_private_segment_size 0
		.amdhsa_uses_dynamic_stack 0
		.amdhsa_system_sgpr_private_segment_wavefront_offset 0
		.amdhsa_system_sgpr_workgroup_id_x 1
		.amdhsa_system_sgpr_workgroup_id_y 0
		.amdhsa_system_sgpr_workgroup_id_z 0
		.amdhsa_system_sgpr_workgroup_info 0
		.amdhsa_system_vgpr_workitem_id 0
		.amdhsa_next_free_vgpr 52
		.amdhsa_next_free_sgpr 28
		.amdhsa_accum_offset 52
		.amdhsa_reserve_vcc 1
		.amdhsa_reserve_flat_scratch 0
		.amdhsa_float_round_mode_32 0
		.amdhsa_float_round_mode_16_64 0
		.amdhsa_float_denorm_mode_32 3
		.amdhsa_float_denorm_mode_16_64 3
		.amdhsa_dx10_clamp 1
		.amdhsa_ieee_mode 1
		.amdhsa_fp16_overflow 0
		.amdhsa_tg_split 0
		.amdhsa_exception_fp_ieee_invalid_op 0
		.amdhsa_exception_fp_denorm_src 0
		.amdhsa_exception_fp_ieee_div_zero 0
		.amdhsa_exception_fp_ieee_overflow 0
		.amdhsa_exception_fp_ieee_underflow 0
		.amdhsa_exception_fp_ieee_inexact 0
		.amdhsa_exception_int_div_zero 0
	.end_amdhsa_kernel
	.section	.text._ZN5aiter43moe_smooth_per_token_scaled_quant_kernel_v1IDF16_DB8_Li256ELi16ELb0ELb1ELi1024EEEvPT0_PfPT_S4_PiS7_iiiii,"axG",@progbits,_ZN5aiter43moe_smooth_per_token_scaled_quant_kernel_v1IDF16_DB8_Li256ELi16ELb0ELb1ELi1024EEEvPT0_PfPT_S4_PiS7_iiiii,comdat
.Lfunc_end166:
	.size	_ZN5aiter43moe_smooth_per_token_scaled_quant_kernel_v1IDF16_DB8_Li256ELi16ELb0ELb1ELi1024EEEvPT0_PfPT_S4_PiS7_iiiii, .Lfunc_end166-_ZN5aiter43moe_smooth_per_token_scaled_quant_kernel_v1IDF16_DB8_Li256ELi16ELb0ELb1ELi1024EEEvPT0_PfPT_S4_PiS7_iiiii
                                        ; -- End function
	.section	.AMDGPU.csdata,"",@progbits
; Kernel info:
; codeLenInByte = 1572
; NumSgprs: 32
; NumVgprs: 52
; NumAgprs: 0
; TotalNumVgprs: 52
; ScratchSize: 0
; MemoryBound: 0
; FloatMode: 240
; IeeeMode: 1
; LDSByteSize: 4112 bytes/workgroup (compile time only)
; SGPRBlocks: 3
; VGPRBlocks: 6
; NumSGPRsForWavesPerEU: 32
; NumVGPRsForWavesPerEU: 52
; AccumOffset: 52
; Occupancy: 8
; WaveLimiterHint : 0
; COMPUTE_PGM_RSRC2:SCRATCH_EN: 0
; COMPUTE_PGM_RSRC2:USER_SGPR: 6
; COMPUTE_PGM_RSRC2:TRAP_HANDLER: 0
; COMPUTE_PGM_RSRC2:TGID_X_EN: 1
; COMPUTE_PGM_RSRC2:TGID_Y_EN: 0
; COMPUTE_PGM_RSRC2:TGID_Z_EN: 0
; COMPUTE_PGM_RSRC2:TIDIG_COMP_CNT: 0
; COMPUTE_PGM_RSRC3_GFX90A:ACCUM_OFFSET: 12
; COMPUTE_PGM_RSRC3_GFX90A:TG_SPLIT: 0
	.section	.text._ZN5aiter43moe_smooth_per_token_scaled_quant_kernel_v1ItDB8_Li256ELi16ELb0ELb1ELi1024EEEvPT0_PfPT_S4_PiS7_iiiii,"axG",@progbits,_ZN5aiter43moe_smooth_per_token_scaled_quant_kernel_v1ItDB8_Li256ELi16ELb0ELb1ELi1024EEEvPT0_PfPT_S4_PiS7_iiiii,comdat
	.protected	_ZN5aiter43moe_smooth_per_token_scaled_quant_kernel_v1ItDB8_Li256ELi16ELb0ELb1ELi1024EEEvPT0_PfPT_S4_PiS7_iiiii ; -- Begin function _ZN5aiter43moe_smooth_per_token_scaled_quant_kernel_v1ItDB8_Li256ELi16ELb0ELb1ELi1024EEEvPT0_PfPT_S4_PiS7_iiiii
	.globl	_ZN5aiter43moe_smooth_per_token_scaled_quant_kernel_v1ItDB8_Li256ELi16ELb0ELb1ELi1024EEEvPT0_PfPT_S4_PiS7_iiiii
	.p2align	8
	.type	_ZN5aiter43moe_smooth_per_token_scaled_quant_kernel_v1ItDB8_Li256ELi16ELb0ELb1ELi1024EEEvPT0_PfPT_S4_PiS7_iiiii,@function
_ZN5aiter43moe_smooth_per_token_scaled_quant_kernel_v1ItDB8_Li256ELi16ELb0ELb1ELi1024EEEvPT0_PfPT_S4_PiS7_iiiii: ; @_ZN5aiter43moe_smooth_per_token_scaled_quant_kernel_v1ItDB8_Li256ELi16ELb0ELb1ELi1024EEEvPT0_PfPT_S4_PiS7_iiiii
; %bb.0:
	s_load_dwordx4 s[8:11], s[4:5], 0x34
	s_load_dwordx4 s[12:15], s[4:5], 0x20
	s_load_dwordx2 s[16:17], s[4:5], 0x10
	v_and_b32_e32 v1, 0x3c0, v0
	v_lshlrev_b32_e32 v1, 2, v1
	v_lshlrev_b32_e32 v2, 2, v0
	v_readfirstlane_b32 s7, v1
	v_add_u32_e32 v3, 0x400, v1
	s_waitcnt lgkmcnt(0)
	s_lshl_b32 s2, s11, 2
	s_and_b32 s1, s15, 0xffff
	s_mov_b32 s3, 0x20000
	s_mov_b32 s0, s14
	;;#ASMSTART
	s_mov_b32 m0 s7
	buffer_load_dword v2, s[0:3], 0 offen offset:0 lds
	
	;;#ASMEND
	v_readfirstlane_b32 s7, v3
	v_add_u32_e32 v3, 0x400, v2
	;;#ASMSTART
	s_mov_b32 m0 s7
	buffer_load_dword v3, s[0:3], 0 offen offset:0 lds
	
	;;#ASMEND
	v_add_u32_e32 v3, 0x800, v1
	s_mul_i32 s20, s6, s8
	v_readfirstlane_b32 s7, v3
	v_add_u32_e32 v3, 0x800, v2
	;;#ASMSTART
	s_mov_b32 m0 s7
	buffer_load_dword v3, s[0:3], 0 offen offset:0 lds
	
	;;#ASMEND
	v_add_u32_e32 v1, 0xc00, v1
	s_ashr_i32 s21, s20, 31
	v_readfirstlane_b32 s7, v1
	v_add_u32_e32 v1, 0xc00, v2
	;;#ASMSTART
	s_mov_b32 m0 s7
	buffer_load_dword v1, s[0:3], 0 offen offset:0 lds
	
	;;#ASMEND
	s_lshl_b64 s[0:1], s[20:21], 2
	s_add_u32 s0, s12, s0
	v_and_b32_e32 v1, 63, v0
	s_addc_u32 s1, s13, s1
	s_lshl_b32 s2, s8, 2
	s_and_b32 s1, s1, 0xffff
	v_lshlrev_b32_e32 v2, 2, v1
	buffer_load_dword v32, v2, s[0:3], 0 offen
	s_mul_hi_i32 s1, s10, s6
	s_mul_i32 s0, s10, s6
	s_lshl_b64 s[0:1], s[0:1], 1
	s_add_u32 s0, s16, s0
	s_addc_u32 s1, s17, s1
	s_lshl_b32 s2, s9, 1
	s_and_b32 s1, s1, 0xffff
	v_lshlrev_b32_e32 v10, 5, v0
	buffer_load_dwordx4 v[6:9], v10, s[0:3], 0 offen
	buffer_load_dwordx4 v[2:5], v10, s[0:3], 16 offen
	v_cmp_gt_i32_e32 vcc, s8, v1
	s_waitcnt vmcnt(2)
	s_barrier
	v_cmp_gt_i32_e64 s[2:3], s11, v32
	v_cmp_lt_i32_e64 s[0:1], -1, v32
	s_and_b64 s[2:3], vcc, s[2:3]
	s_and_b64 s[2:3], s[2:3], s[0:1]
	s_and_saveexec_b64 s[0:1], s[2:3]
	s_cbranch_execz .LBB167_2
; %bb.1:
	v_lshlrev_b32_e32 v10, 2, v32
	ds_read_b32 v32, v10
.LBB167_2:
	s_or_b64 exec, exec, s[0:1]
	s_cmp_lt_i32 s8, 1
	s_cbranch_scc1 .LBB167_13
; %bb.3:
	s_add_i32 s2, s9, 15
	s_load_dwordx4 s[12:15], s[4:5], 0x0
	s_load_dwordx2 s[10:11], s[4:5], 0x18
	s_ashr_i32 s3, s2, 31
	s_add_i32 s4, s9, 3
	s_waitcnt vmcnt(1)
	v_cvt_f32_u32_sdwa v11, v6 dst_sel:DWORD dst_unused:UNUSED_PAD src0_sel:WORD_1
	v_cvt_f32_u32_sdwa v10, v6 dst_sel:DWORD dst_unused:UNUSED_PAD src0_sel:WORD_0
	v_cvt_f32_u32_sdwa v13, v7 dst_sel:DWORD dst_unused:UNUSED_PAD src0_sel:WORD_1
	v_cvt_f32_u32_sdwa v12, v7 dst_sel:DWORD dst_unused:UNUSED_PAD src0_sel:WORD_0
	;; [unrolled: 2-line block ×4, first 2 shown]
	s_waitcnt vmcnt(0)
	v_cvt_f32_u32_sdwa v9, v2 dst_sel:DWORD dst_unused:UNUSED_PAD src0_sel:WORD_1
	v_cvt_f32_u32_sdwa v8, v2 dst_sel:DWORD dst_unused:UNUSED_PAD src0_sel:WORD_0
	v_cvt_f32_u32_sdwa v17, v3 dst_sel:DWORD dst_unused:UNUSED_PAD src0_sel:WORD_1
	v_cvt_f32_u32_sdwa v16, v3 dst_sel:DWORD dst_unused:UNUSED_PAD src0_sel:WORD_0
	;; [unrolled: 2-line block ×4, first 2 shown]
	s_lshr_b32 s3, s3, 28
	s_ashr_i32 s5, s4, 31
	v_cmp_eq_u32_e32 vcc, 63, v1
	v_lshrrev_b32_e32 v1, 4, v0
	v_mov_b32_e32 v4, 0x1000
	s_add_i32 s2, s2, s3
	s_lshr_b32 s5, s5, 30
	v_and_or_b32 v35, v1, 60, v4
	v_and_b32_e32 v1, 3, v0
	s_ashr_i32 s2, s2, 4
	s_add_i32 s4, s4, s5
	s_mov_b32 s21, s9
	v_lshlrev_b32_e32 v33, 4, v0
	s_lshl_b32 s6, s9, 2
	v_lshlrev_b32_e32 v34, 6, v0
	v_lshl_or_b32 v36, v1, 2, v4
	s_mov_b32 s22, 0
	v_cmp_eq_u32_e64 s[0:1], 0, v0
	v_cmp_gt_u32_e64 s[2:3], s2, v0
	s_and_b32 s18, s4, -4
	s_mov_b32 s7, 0x20000
	s_mov_b32 s9, 0x2edbe6ff
	v_mov_b32_e32 v37, 0
	v_mov_b32_e32 v38, 0xc3e00000
	;; [unrolled: 1-line block ×3, first 2 shown]
	s_mov_b32 s23, 0x5040100
	s_mov_b32 s24, 0x1060504
	;; [unrolled: 1-line block ×3, first 2 shown]
	s_branch .LBB167_6
.LBB167_4:                              ;   in Loop: Header=BB167_6 Depth=1
	s_or_b64 exec, exec, s[4:5]
.LBB167_5:                              ;   in Loop: Header=BB167_6 Depth=1
	s_add_i32 s22, s22, 1
	s_cmp_eq_u32 s8, s22
	s_cbranch_scc1 .LBB167_13
.LBB167_6:                              ; =>This Inner Loop Header: Depth=1
	s_waitcnt lgkmcnt(0)
	v_readlane_b32 s4, v32, s22
	s_cmp_lt_i32 s4, 0
	s_cbranch_scc1 .LBB167_5
; %bb.7:                                ;   in Loop: Header=BB167_6 Depth=1
	s_mul_i32 s4, s4, s21
	s_ashr_i32 s5, s4, 31
	s_lshl_b64 s[4:5], s[4:5], 2
	s_add_u32 s4, s10, s4
	s_addc_u32 s5, s11, s5
	s_and_b32 s5, s5, 0xffff
	buffer_load_dwordx4 v[20:23], v34, s[4:7], 0 offen
	buffer_load_dwordx4 v[40:43], v34, s[4:7], 16 offen
	;; [unrolled: 1-line block ×4, first 2 shown]
	s_waitcnt vmcnt(3)
	v_pk_mul_f32 v[30:31], v[20:21], v[10:11]
	v_pk_mul_f32 v[28:29], v[22:23], v[12:13]
	s_waitcnt vmcnt(2)
	v_pk_mul_f32 v[26:27], v[40:41], v[6:7]
	v_max3_f32 v40, |v30|, s9, |v31|
	v_max3_f32 v40, v40, |v28|, |v29|
	v_pk_mul_f32 v[24:25], v[42:43], v[14:15]
	v_max3_f32 v40, v40, |v26|, |v27|
	s_waitcnt vmcnt(1)
	v_pk_mul_f32 v[22:23], v[44:45], v[8:9]
	v_max3_f32 v40, v40, |v24|, |v25|
	v_pk_mul_f32 v[20:21], v[46:47], v[16:17]
	v_max3_f32 v40, v40, |v22|, |v23|
	s_waitcnt vmcnt(0)
	v_pk_mul_f32 v[4:5], v[48:49], v[2:3]
	v_max3_f32 v40, v40, |v20|, |v21|
	v_pk_mul_f32 v[0:1], v[50:51], v[18:19]
	v_max3_f32 v40, v40, |v4|, |v5|
	v_max3_f32 v40, v40, |v0|, |v1|
	s_nop 1
	v_mov_b32_dpp v41, v40 quad_perm:[1,0,3,2] row_mask:0xf bank_mask:0xf
	v_cmp_gt_f32_e64 s[4:5], v40, v41
	v_cndmask_b32_e64 v40, v41, v40, s[4:5]
	s_nop 1
	v_mov_b32_dpp v41, v40 quad_perm:[2,3,0,1] row_mask:0xf bank_mask:0xf
	v_cmp_gt_f32_e64 s[4:5], v40, v41
	v_cndmask_b32_e64 v40, v41, v40, s[4:5]
	s_nop 1
	v_mov_b32_dpp v41, v40 row_half_mirror row_mask:0xf bank_mask:0xf
	v_cmp_gt_f32_e64 s[4:5], v40, v41
	v_cndmask_b32_e64 v40, v41, v40, s[4:5]
	s_nop 1
	v_mov_b32_dpp v41, v40 row_mirror row_mask:0xf bank_mask:0xf
	v_cmp_gt_f32_e64 s[4:5], v40, v41
	v_cndmask_b32_e64 v40, v41, v40, s[4:5]
	s_nop 1
	v_mov_b32_dpp v41, v40 row_bcast:15 row_mask:0xf bank_mask:0xf
	v_cmp_gt_f32_e64 s[4:5], v40, v41
	v_cndmask_b32_e64 v40, v41, v40, s[4:5]
	s_nop 1
	v_mov_b32_dpp v41, v40 row_bcast:31 row_mask:0xf bank_mask:0xf
	s_and_saveexec_b64 s[16:17], vcc
	s_cbranch_execz .LBB167_9
; %bb.8:                                ;   in Loop: Header=BB167_6 Depth=1
	v_cmp_gt_f32_e64 s[4:5], v40, v41
	v_cndmask_b32_e64 v40, v41, v40, s[4:5]
	ds_write_b32 v35, v40
.LBB167_9:                              ;   in Loop: Header=BB167_6 Depth=1
	s_or_b64 exec, exec, s[16:17]
	s_waitcnt lgkmcnt(0)
	s_barrier
	ds_read_b32 v40, v36
	s_add_i32 s16, s20, s22
	s_waitcnt lgkmcnt(0)
	v_mov_b32_dpp v41, v40 quad_perm:[1,0,3,2] row_mask:0xf bank_mask:0xf
	v_cmp_gt_f32_e64 s[4:5], v40, v41
	v_cndmask_b32_e64 v40, v41, v40, s[4:5]
	s_nop 1
	v_mov_b32_dpp v41, v40 quad_perm:[2,3,0,1] row_mask:0xf bank_mask:0xf
	v_cmp_gt_f32_e64 s[4:5], v40, v41
	v_cndmask_b32_e64 v40, v41, v40, s[4:5]
	v_mul_f32_e32 v40, 0x3b124925, v40
	s_and_saveexec_b64 s[4:5], s[0:1]
	s_cbranch_execz .LBB167_11
; %bb.10:                               ;   in Loop: Header=BB167_6 Depth=1
	s_ashr_i32 s17, s16, 31
	s_lshl_b64 s[26:27], s[16:17], 2
	s_add_u32 s26, s14, s26
	s_addc_u32 s27, s15, s27
	global_store_dword v37, v40, s[26:27]
.LBB167_11:                             ;   in Loop: Header=BB167_6 Depth=1
	s_or_b64 exec, exec, s[4:5]
	s_and_saveexec_b64 s[4:5], s[2:3]
	s_cbranch_execz .LBB167_4
; %bb.12:                               ;   in Loop: Header=BB167_6 Depth=1
	v_rcp_f32_e32 v40, v40
	s_mul_hi_i32 s17, s16, s21
	s_mul_i32 s16, s16, s21
	s_add_u32 s16, s12, s16
	v_mov_b32_e32 v41, v40
	;;#ASMSTART
	v_pk_mul_f32 v[30:31], v[30:31], v[40:41]
	;;#ASMEND
	;;#ASMSTART
	v_med3_f32 v30, v30, v38, v39
v_med3_f32 v31, v31, v38, v39
v_cvt_pk_fp8_f32 v42, v30, v31
	;;#ASMEND
	;;#ASMSTART
	v_pk_mul_f32 v[28:29], v[28:29], v[40:41]
	;;#ASMEND
	;;#ASMSTART
	v_med3_f32 v28, v28, v38, v39
v_med3_f32 v29, v29, v38, v39
v_cvt_pk_fp8_f32 v30, v28, v29
	;;#ASMEND
	;;#ASMSTART
	v_pk_mul_f32 v[26:27], v[26:27], v[40:41]
	;;#ASMEND
	;;#ASMSTART
	v_med3_f32 v26, v26, v38, v39
v_med3_f32 v27, v27, v38, v39
v_cvt_pk_fp8_f32 v29, v26, v27
	;;#ASMEND
	;;#ASMSTART
	v_pk_mul_f32 v[24:25], v[24:25], v[40:41]
	;;#ASMEND
	;;#ASMSTART
	v_med3_f32 v24, v24, v38, v39
v_med3_f32 v25, v25, v38, v39
v_cvt_pk_fp8_f32 v26, v24, v25
	;;#ASMEND
	;;#ASMSTART
	v_pk_mul_f32 v[22:23], v[22:23], v[40:41]
	;;#ASMEND
	;;#ASMSTART
	v_med3_f32 v22, v22, v38, v39
v_med3_f32 v23, v23, v38, v39
v_cvt_pk_fp8_f32 v24, v22, v23
	;;#ASMEND
	;;#ASMSTART
	v_pk_mul_f32 v[20:21], v[20:21], v[40:41]
	;;#ASMEND
	;;#ASMSTART
	v_med3_f32 v20, v20, v38, v39
v_med3_f32 v21, v21, v38, v39
v_cvt_pk_fp8_f32 v22, v20, v21
	;;#ASMEND
	;;#ASMSTART
	v_pk_mul_f32 v[4:5], v[4:5], v[40:41]
	;;#ASMEND
	s_addc_u32 s17, s13, s17
	v_perm_b32 v28, v30, v42, s23
	;;#ASMSTART
	v_med3_f32 v4, v4, v38, v39
v_med3_f32 v5, v5, v38, v39
v_cvt_pk_fp8_f32 v20, v4, v5
	;;#ASMEND
	;;#ASMSTART
	v_pk_mul_f32 v[0:1], v[0:1], v[40:41]
	;;#ASMEND
	s_and_b32 s17, s17, 0xffff
	s_mov_b32 s19, s7
	v_perm_b32 v28, v28, v30, s24
	v_perm_b32 v29, v29, v26, s25
	;; [unrolled: 1-line block ×3, first 2 shown]
	;;#ASMSTART
	v_med3_f32 v0, v0, v38, v39
v_med3_f32 v1, v1, v38, v39
v_cvt_pk_fp8_f32 v4, v0, v1
	;;#ASMEND
	v_perm_b32 v31, v20, v4, s25
	buffer_store_dwordx4 v[28:31], v33, s[16:19], 0 offen
	;;#ASMSTART
	s_nop 0
	;;#ASMEND
	s_branch .LBB167_4
.LBB167_13:
	s_endpgm
	.section	.rodata,"a",@progbits
	.p2align	6, 0x0
	.amdhsa_kernel _ZN5aiter43moe_smooth_per_token_scaled_quant_kernel_v1ItDB8_Li256ELi16ELb0ELb1ELi1024EEEvPT0_PfPT_S4_PiS7_iiiii
		.amdhsa_group_segment_fixed_size 4112
		.amdhsa_private_segment_fixed_size 0
		.amdhsa_kernarg_size 68
		.amdhsa_user_sgpr_count 6
		.amdhsa_user_sgpr_private_segment_buffer 1
		.amdhsa_user_sgpr_dispatch_ptr 0
		.amdhsa_user_sgpr_queue_ptr 0
		.amdhsa_user_sgpr_kernarg_segment_ptr 1
		.amdhsa_user_sgpr_dispatch_id 0
		.amdhsa_user_sgpr_flat_scratch_init 0
		.amdhsa_user_sgpr_kernarg_preload_length 0
		.amdhsa_user_sgpr_kernarg_preload_offset 0
		.amdhsa_user_sgpr_private_segment_size 0
		.amdhsa_uses_dynamic_stack 0
		.amdhsa_system_sgpr_private_segment_wavefront_offset 0
		.amdhsa_system_sgpr_workgroup_id_x 1
		.amdhsa_system_sgpr_workgroup_id_y 0
		.amdhsa_system_sgpr_workgroup_id_z 0
		.amdhsa_system_sgpr_workgroup_info 0
		.amdhsa_system_vgpr_workitem_id 0
		.amdhsa_next_free_vgpr 52
		.amdhsa_next_free_sgpr 28
		.amdhsa_accum_offset 52
		.amdhsa_reserve_vcc 1
		.amdhsa_reserve_flat_scratch 0
		.amdhsa_float_round_mode_32 0
		.amdhsa_float_round_mode_16_64 0
		.amdhsa_float_denorm_mode_32 3
		.amdhsa_float_denorm_mode_16_64 3
		.amdhsa_dx10_clamp 1
		.amdhsa_ieee_mode 1
		.amdhsa_fp16_overflow 0
		.amdhsa_tg_split 0
		.amdhsa_exception_fp_ieee_invalid_op 0
		.amdhsa_exception_fp_denorm_src 0
		.amdhsa_exception_fp_ieee_div_zero 0
		.amdhsa_exception_fp_ieee_overflow 0
		.amdhsa_exception_fp_ieee_underflow 0
		.amdhsa_exception_fp_ieee_inexact 0
		.amdhsa_exception_int_div_zero 0
	.end_amdhsa_kernel
	.section	.text._ZN5aiter43moe_smooth_per_token_scaled_quant_kernel_v1ItDB8_Li256ELi16ELb0ELb1ELi1024EEEvPT0_PfPT_S4_PiS7_iiiii,"axG",@progbits,_ZN5aiter43moe_smooth_per_token_scaled_quant_kernel_v1ItDB8_Li256ELi16ELb0ELb1ELi1024EEEvPT0_PfPT_S4_PiS7_iiiii,comdat
.Lfunc_end167:
	.size	_ZN5aiter43moe_smooth_per_token_scaled_quant_kernel_v1ItDB8_Li256ELi16ELb0ELb1ELi1024EEEvPT0_PfPT_S4_PiS7_iiiii, .Lfunc_end167-_ZN5aiter43moe_smooth_per_token_scaled_quant_kernel_v1ItDB8_Li256ELi16ELb0ELb1ELi1024EEEvPT0_PfPT_S4_PiS7_iiiii
                                        ; -- End function
	.section	.AMDGPU.csdata,"",@progbits
; Kernel info:
; codeLenInByte = 1604
; NumSgprs: 32
; NumVgprs: 52
; NumAgprs: 0
; TotalNumVgprs: 52
; ScratchSize: 0
; MemoryBound: 0
; FloatMode: 240
; IeeeMode: 1
; LDSByteSize: 4112 bytes/workgroup (compile time only)
; SGPRBlocks: 3
; VGPRBlocks: 6
; NumSGPRsForWavesPerEU: 32
; NumVGPRsForWavesPerEU: 52
; AccumOffset: 52
; Occupancy: 8
; WaveLimiterHint : 0
; COMPUTE_PGM_RSRC2:SCRATCH_EN: 0
; COMPUTE_PGM_RSRC2:USER_SGPR: 6
; COMPUTE_PGM_RSRC2:TRAP_HANDLER: 0
; COMPUTE_PGM_RSRC2:TGID_X_EN: 1
; COMPUTE_PGM_RSRC2:TGID_Y_EN: 0
; COMPUTE_PGM_RSRC2:TGID_Z_EN: 0
; COMPUTE_PGM_RSRC2:TIDIG_COMP_CNT: 0
; COMPUTE_PGM_RSRC3_GFX90A:ACCUM_OFFSET: 12
; COMPUTE_PGM_RSRC3_GFX90A:TG_SPLIT: 0
	.section	.text._ZN5aiter43moe_smooth_per_token_scaled_quant_kernel_v1IDF16_DB8_Li256ELi16ELb0ELb0ELi1024EEEvPT0_PfPT_S4_PiS7_iiiii,"axG",@progbits,_ZN5aiter43moe_smooth_per_token_scaled_quant_kernel_v1IDF16_DB8_Li256ELi16ELb0ELb0ELi1024EEEvPT0_PfPT_S4_PiS7_iiiii,comdat
	.protected	_ZN5aiter43moe_smooth_per_token_scaled_quant_kernel_v1IDF16_DB8_Li256ELi16ELb0ELb0ELi1024EEEvPT0_PfPT_S4_PiS7_iiiii ; -- Begin function _ZN5aiter43moe_smooth_per_token_scaled_quant_kernel_v1IDF16_DB8_Li256ELi16ELb0ELb0ELi1024EEEvPT0_PfPT_S4_PiS7_iiiii
	.globl	_ZN5aiter43moe_smooth_per_token_scaled_quant_kernel_v1IDF16_DB8_Li256ELi16ELb0ELb0ELi1024EEEvPT0_PfPT_S4_PiS7_iiiii
	.p2align	8
	.type	_ZN5aiter43moe_smooth_per_token_scaled_quant_kernel_v1IDF16_DB8_Li256ELi16ELb0ELb0ELi1024EEEvPT0_PfPT_S4_PiS7_iiiii,@function
_ZN5aiter43moe_smooth_per_token_scaled_quant_kernel_v1IDF16_DB8_Li256ELi16ELb0ELb0ELi1024EEEvPT0_PfPT_S4_PiS7_iiiii: ; @_ZN5aiter43moe_smooth_per_token_scaled_quant_kernel_v1IDF16_DB8_Li256ELi16ELb0ELb0ELi1024EEEvPT0_PfPT_S4_PiS7_iiiii
; %bb.0:
	s_load_dwordx4 s[8:11], s[4:5], 0x34
	s_load_dwordx2 s[0:1], s[4:5], 0x10
	s_load_dwordx2 s[2:3], s[4:5], 0x20
	v_and_b32_e32 v1, 63, v0
	s_mov_b32 s15, 0x20000
	s_waitcnt lgkmcnt(0)
	s_mul_i32 s20, s6, s8
	s_ashr_i32 s21, s20, 31
	s_lshl_b64 s[12:13], s[20:21], 2
	s_add_u32 s12, s2, s12
	s_addc_u32 s2, s3, s13
	s_and_b32 s13, s2, 0xffff
	s_mul_hi_i32 s3, s10, s6
	s_mul_i32 s2, s10, s6
	s_lshl_b32 s14, s8, 2
	v_lshlrev_b32_e32 v2, 2, v1
	s_lshl_b64 s[2:3], s[2:3], 1
	buffer_load_dword v32, v2, s[12:15], 0 offen
	s_add_u32 s12, s0, s2
	s_addc_u32 s0, s1, s3
	s_lshl_b32 s14, s9, 1
	s_and_b32 s13, s0, 0xffff
	v_lshlrev_b32_e32 v10, 5, v0
	buffer_load_dwordx4 v[6:9], v10, s[12:15], 0 offen
	buffer_load_dwordx4 v[2:5], v10, s[12:15], 16 offen
	s_mov_b32 s21, 0
	s_cmp_lt_i32 s8, 1
	s_waitcnt vmcnt(2)
	s_barrier
	s_cbranch_scc1 .LBB168_11
; %bb.1:
	s_add_i32 s2, s9, 15
	s_load_dwordx4 s[16:19], s[4:5], 0x0
	s_load_dwordx2 s[10:11], s[4:5], 0x18
	s_ashr_i32 s3, s2, 31
	s_add_i32 s4, s9, 3
	s_waitcnt vmcnt(1)
	v_cvt_f32_f16_sdwa v11, v6 dst_sel:DWORD dst_unused:UNUSED_PAD src0_sel:WORD_1
	v_cvt_f32_f16_e32 v10, v6
	v_cvt_f32_f16_sdwa v13, v7 dst_sel:DWORD dst_unused:UNUSED_PAD src0_sel:WORD_1
	v_cvt_f32_f16_e32 v12, v7
	;; [unrolled: 2-line block ×4, first 2 shown]
	s_waitcnt vmcnt(0)
	v_cvt_f32_f16_sdwa v9, v2 dst_sel:DWORD dst_unused:UNUSED_PAD src0_sel:WORD_1
	v_cvt_f32_f16_e32 v8, v2
	v_cvt_f32_f16_sdwa v17, v3 dst_sel:DWORD dst_unused:UNUSED_PAD src0_sel:WORD_1
	v_cvt_f32_f16_e32 v16, v3
	;; [unrolled: 2-line block ×4, first 2 shown]
	s_lshr_b32 s3, s3, 28
	s_ashr_i32 s5, s4, 31
	v_cmp_eq_u32_e32 vcc, 63, v1
	v_lshrrev_b32_e32 v1, 4, v0
	s_add_i32 s2, s2, s3
	s_lshr_b32 s5, s5, 30
	v_and_b32_e32 v35, 60, v1
	v_and_b32_e32 v1, 3, v0
	s_ashr_i32 s2, s2, 4
	s_add_i32 s4, s4, s5
	s_mov_b32 s22, s9
	v_lshlrev_b32_e32 v33, 4, v0
	s_lshl_b32 s14, s9, 2
	v_lshlrev_b32_e32 v34, 6, v0
	v_lshlrev_b32_e32 v36, 2, v1
	v_cmp_eq_u32_e64 s[0:1], 0, v0
	v_cmp_gt_u32_e64 s[2:3], s2, v0
	s_and_b32 s6, s4, -4
	s_mov_b32 s9, 0x2edbe6ff
	v_mov_b32_e32 v37, 0
	v_mov_b32_e32 v38, 0xc3e00000
	;; [unrolled: 1-line block ×3, first 2 shown]
	s_mov_b32 s23, 0x5040100
	s_mov_b32 s24, 0x1060504
	;; [unrolled: 1-line block ×3, first 2 shown]
	s_branch .LBB168_4
.LBB168_2:                              ;   in Loop: Header=BB168_4 Depth=1
	s_or_b64 exec, exec, s[12:13]
.LBB168_3:                              ;   in Loop: Header=BB168_4 Depth=1
	s_add_i32 s21, s21, 1
	s_cmp_eq_u32 s8, s21
	s_cbranch_scc1 .LBB168_11
.LBB168_4:                              ; =>This Inner Loop Header: Depth=1
	v_readlane_b32 s4, v32, s21
	s_cmp_lt_i32 s4, 0
	s_cbranch_scc1 .LBB168_3
; %bb.5:                                ;   in Loop: Header=BB168_4 Depth=1
	s_mul_i32 s4, s4, s22
	s_ashr_i32 s5, s4, 31
	s_lshl_b64 s[4:5], s[4:5], 2
	s_waitcnt lgkmcnt(0)
	s_add_u32 s12, s10, s4
	s_addc_u32 s4, s11, s5
	s_and_b32 s13, s4, 0xffff
	buffer_load_dwordx4 v[20:23], v34, s[12:15], 0 offen
	buffer_load_dwordx4 v[40:43], v34, s[12:15], 16 offen
	;; [unrolled: 1-line block ×4, first 2 shown]
	s_waitcnt vmcnt(3)
	v_pk_mul_f32 v[30:31], v[20:21], v[10:11]
	v_pk_mul_f32 v[28:29], v[22:23], v[12:13]
	s_waitcnt vmcnt(2)
	v_pk_mul_f32 v[26:27], v[40:41], v[6:7]
	v_max3_f32 v40, |v30|, s9, |v31|
	v_max3_f32 v40, v40, |v28|, |v29|
	v_pk_mul_f32 v[24:25], v[42:43], v[14:15]
	v_max3_f32 v40, v40, |v26|, |v27|
	s_waitcnt vmcnt(1)
	v_pk_mul_f32 v[22:23], v[44:45], v[8:9]
	v_max3_f32 v40, v40, |v24|, |v25|
	v_pk_mul_f32 v[20:21], v[46:47], v[16:17]
	v_max3_f32 v40, v40, |v22|, |v23|
	s_waitcnt vmcnt(0)
	v_pk_mul_f32 v[4:5], v[48:49], v[2:3]
	v_max3_f32 v40, v40, |v20|, |v21|
	v_pk_mul_f32 v[0:1], v[50:51], v[18:19]
	v_max3_f32 v40, v40, |v4|, |v5|
	v_max3_f32 v40, v40, |v0|, |v1|
	s_nop 1
	v_mov_b32_dpp v41, v40 quad_perm:[1,0,3,2] row_mask:0xf bank_mask:0xf
	v_cmp_gt_f32_e64 s[4:5], v40, v41
	v_cndmask_b32_e64 v40, v41, v40, s[4:5]
	s_nop 1
	v_mov_b32_dpp v41, v40 quad_perm:[2,3,0,1] row_mask:0xf bank_mask:0xf
	v_cmp_gt_f32_e64 s[4:5], v40, v41
	v_cndmask_b32_e64 v40, v41, v40, s[4:5]
	s_nop 1
	v_mov_b32_dpp v41, v40 row_half_mirror row_mask:0xf bank_mask:0xf
	v_cmp_gt_f32_e64 s[4:5], v40, v41
	v_cndmask_b32_e64 v40, v41, v40, s[4:5]
	s_nop 1
	v_mov_b32_dpp v41, v40 row_mirror row_mask:0xf bank_mask:0xf
	v_cmp_gt_f32_e64 s[4:5], v40, v41
	v_cndmask_b32_e64 v40, v41, v40, s[4:5]
	s_nop 1
	v_mov_b32_dpp v41, v40 row_bcast:15 row_mask:0xf bank_mask:0xf
	v_cmp_gt_f32_e64 s[4:5], v40, v41
	v_cndmask_b32_e64 v40, v41, v40, s[4:5]
	s_nop 1
	v_mov_b32_dpp v41, v40 row_bcast:31 row_mask:0xf bank_mask:0xf
	s_and_saveexec_b64 s[12:13], vcc
	s_cbranch_execz .LBB168_7
; %bb.6:                                ;   in Loop: Header=BB168_4 Depth=1
	v_cmp_gt_f32_e64 s[4:5], v40, v41
	v_cndmask_b32_e64 v40, v41, v40, s[4:5]
	ds_write_b32 v35, v40
.LBB168_7:                              ;   in Loop: Header=BB168_4 Depth=1
	s_or_b64 exec, exec, s[12:13]
	s_waitcnt lgkmcnt(0)
	s_barrier
	ds_read_b32 v40, v36
	s_waitcnt lgkmcnt(0)
	s_nop 0
	v_mov_b32_dpp v41, v40 quad_perm:[1,0,3,2] row_mask:0xf bank_mask:0xf
	v_cmp_gt_f32_e64 s[4:5], v40, v41
	v_cndmask_b32_e64 v40, v41, v40, s[4:5]
	s_nop 1
	v_mov_b32_dpp v41, v40 quad_perm:[2,3,0,1] row_mask:0xf bank_mask:0xf
	v_cmp_gt_f32_e64 s[4:5], v40, v41
	v_cndmask_b32_e64 v40, v41, v40, s[4:5]
	v_mul_f32_e32 v40, 0x3b124925, v40
	s_add_i32 s4, s20, s21
	s_and_saveexec_b64 s[12:13], s[0:1]
	s_cbranch_execz .LBB168_9
; %bb.8:                                ;   in Loop: Header=BB168_4 Depth=1
	s_ashr_i32 s5, s4, 31
	s_lshl_b64 s[26:27], s[4:5], 2
	s_add_u32 s26, s18, s26
	s_addc_u32 s27, s19, s27
	global_store_dword v37, v40, s[26:27]
.LBB168_9:                              ;   in Loop: Header=BB168_4 Depth=1
	s_or_b64 exec, exec, s[12:13]
	s_and_saveexec_b64 s[12:13], s[2:3]
	s_cbranch_execz .LBB168_2
; %bb.10:                               ;   in Loop: Header=BB168_4 Depth=1
	v_rcp_f32_e32 v40, v40
	s_mul_hi_i32 s5, s4, s22
	s_mul_i32 s4, s4, s22
	s_add_u32 s4, s16, s4
	v_mov_b32_e32 v41, v40
	;;#ASMSTART
	v_pk_mul_f32 v[30:31], v[30:31], v[40:41]
	;;#ASMEND
	;;#ASMSTART
	v_med3_f32 v30, v30, v38, v39
v_med3_f32 v31, v31, v38, v39
v_cvt_pk_fp8_f32 v42, v30, v31
	;;#ASMEND
	;;#ASMSTART
	v_pk_mul_f32 v[28:29], v[28:29], v[40:41]
	;;#ASMEND
	;;#ASMSTART
	v_med3_f32 v28, v28, v38, v39
v_med3_f32 v29, v29, v38, v39
v_cvt_pk_fp8_f32 v30, v28, v29
	;;#ASMEND
	;; [unrolled: 8-line block ×6, first 2 shown]
	;;#ASMSTART
	v_pk_mul_f32 v[4:5], v[4:5], v[40:41]
	;;#ASMEND
	s_addc_u32 s5, s17, s5
	v_perm_b32 v28, v30, v42, s23
	;;#ASMSTART
	v_med3_f32 v4, v4, v38, v39
v_med3_f32 v5, v5, v38, v39
v_cvt_pk_fp8_f32 v20, v4, v5
	;;#ASMEND
	;;#ASMSTART
	v_pk_mul_f32 v[0:1], v[0:1], v[40:41]
	;;#ASMEND
	s_and_b32 s5, s5, 0xffff
	s_mov_b32 s7, s15
	v_perm_b32 v28, v28, v30, s24
	v_perm_b32 v29, v29, v26, s25
	;; [unrolled: 1-line block ×3, first 2 shown]
	;;#ASMSTART
	v_med3_f32 v0, v0, v38, v39
v_med3_f32 v1, v1, v38, v39
v_cvt_pk_fp8_f32 v4, v0, v1
	;;#ASMEND
	v_perm_b32 v31, v20, v4, s25
	buffer_store_dwordx4 v[28:31], v33, s[4:7], 0 offen
	;;#ASMSTART
	s_nop 0
	;;#ASMEND
	s_branch .LBB168_2
.LBB168_11:
	s_endpgm
	.section	.rodata,"a",@progbits
	.p2align	6, 0x0
	.amdhsa_kernel _ZN5aiter43moe_smooth_per_token_scaled_quant_kernel_v1IDF16_DB8_Li256ELi16ELb0ELb0ELi1024EEEvPT0_PfPT_S4_PiS7_iiiii
		.amdhsa_group_segment_fixed_size 16
		.amdhsa_private_segment_fixed_size 0
		.amdhsa_kernarg_size 68
		.amdhsa_user_sgpr_count 6
		.amdhsa_user_sgpr_private_segment_buffer 1
		.amdhsa_user_sgpr_dispatch_ptr 0
		.amdhsa_user_sgpr_queue_ptr 0
		.amdhsa_user_sgpr_kernarg_segment_ptr 1
		.amdhsa_user_sgpr_dispatch_id 0
		.amdhsa_user_sgpr_flat_scratch_init 0
		.amdhsa_user_sgpr_kernarg_preload_length 0
		.amdhsa_user_sgpr_kernarg_preload_offset 0
		.amdhsa_user_sgpr_private_segment_size 0
		.amdhsa_uses_dynamic_stack 0
		.amdhsa_system_sgpr_private_segment_wavefront_offset 0
		.amdhsa_system_sgpr_workgroup_id_x 1
		.amdhsa_system_sgpr_workgroup_id_y 0
		.amdhsa_system_sgpr_workgroup_id_z 0
		.amdhsa_system_sgpr_workgroup_info 0
		.amdhsa_system_vgpr_workitem_id 0
		.amdhsa_next_free_vgpr 52
		.amdhsa_next_free_sgpr 28
		.amdhsa_accum_offset 52
		.amdhsa_reserve_vcc 1
		.amdhsa_reserve_flat_scratch 0
		.amdhsa_float_round_mode_32 0
		.amdhsa_float_round_mode_16_64 0
		.amdhsa_float_denorm_mode_32 3
		.amdhsa_float_denorm_mode_16_64 3
		.amdhsa_dx10_clamp 1
		.amdhsa_ieee_mode 1
		.amdhsa_fp16_overflow 0
		.amdhsa_tg_split 0
		.amdhsa_exception_fp_ieee_invalid_op 0
		.amdhsa_exception_fp_denorm_src 0
		.amdhsa_exception_fp_ieee_div_zero 0
		.amdhsa_exception_fp_ieee_overflow 0
		.amdhsa_exception_fp_ieee_underflow 0
		.amdhsa_exception_fp_ieee_inexact 0
		.amdhsa_exception_int_div_zero 0
	.end_amdhsa_kernel
	.section	.text._ZN5aiter43moe_smooth_per_token_scaled_quant_kernel_v1IDF16_DB8_Li256ELi16ELb0ELb0ELi1024EEEvPT0_PfPT_S4_PiS7_iiiii,"axG",@progbits,_ZN5aiter43moe_smooth_per_token_scaled_quant_kernel_v1IDF16_DB8_Li256ELi16ELb0ELb0ELi1024EEEvPT0_PfPT_S4_PiS7_iiiii,comdat
.Lfunc_end168:
	.size	_ZN5aiter43moe_smooth_per_token_scaled_quant_kernel_v1IDF16_DB8_Li256ELi16ELb0ELb0ELi1024EEEvPT0_PfPT_S4_PiS7_iiiii, .Lfunc_end168-_ZN5aiter43moe_smooth_per_token_scaled_quant_kernel_v1IDF16_DB8_Li256ELi16ELb0ELb0ELi1024EEEvPT0_PfPT_S4_PiS7_iiiii
                                        ; -- End function
	.section	.AMDGPU.csdata,"",@progbits
; Kernel info:
; codeLenInByte = 1340
; NumSgprs: 32
; NumVgprs: 52
; NumAgprs: 0
; TotalNumVgprs: 52
; ScratchSize: 0
; MemoryBound: 0
; FloatMode: 240
; IeeeMode: 1
; LDSByteSize: 16 bytes/workgroup (compile time only)
; SGPRBlocks: 3
; VGPRBlocks: 6
; NumSGPRsForWavesPerEU: 32
; NumVGPRsForWavesPerEU: 52
; AccumOffset: 52
; Occupancy: 8
; WaveLimiterHint : 0
; COMPUTE_PGM_RSRC2:SCRATCH_EN: 0
; COMPUTE_PGM_RSRC2:USER_SGPR: 6
; COMPUTE_PGM_RSRC2:TRAP_HANDLER: 0
; COMPUTE_PGM_RSRC2:TGID_X_EN: 1
; COMPUTE_PGM_RSRC2:TGID_Y_EN: 0
; COMPUTE_PGM_RSRC2:TGID_Z_EN: 0
; COMPUTE_PGM_RSRC2:TIDIG_COMP_CNT: 0
; COMPUTE_PGM_RSRC3_GFX90A:ACCUM_OFFSET: 12
; COMPUTE_PGM_RSRC3_GFX90A:TG_SPLIT: 0
	.section	.text._ZN5aiter43moe_smooth_per_token_scaled_quant_kernel_v1ItDB8_Li256ELi16ELb0ELb0ELi1024EEEvPT0_PfPT_S4_PiS7_iiiii,"axG",@progbits,_ZN5aiter43moe_smooth_per_token_scaled_quant_kernel_v1ItDB8_Li256ELi16ELb0ELb0ELi1024EEEvPT0_PfPT_S4_PiS7_iiiii,comdat
	.protected	_ZN5aiter43moe_smooth_per_token_scaled_quant_kernel_v1ItDB8_Li256ELi16ELb0ELb0ELi1024EEEvPT0_PfPT_S4_PiS7_iiiii ; -- Begin function _ZN5aiter43moe_smooth_per_token_scaled_quant_kernel_v1ItDB8_Li256ELi16ELb0ELb0ELi1024EEEvPT0_PfPT_S4_PiS7_iiiii
	.globl	_ZN5aiter43moe_smooth_per_token_scaled_quant_kernel_v1ItDB8_Li256ELi16ELb0ELb0ELi1024EEEvPT0_PfPT_S4_PiS7_iiiii
	.p2align	8
	.type	_ZN5aiter43moe_smooth_per_token_scaled_quant_kernel_v1ItDB8_Li256ELi16ELb0ELb0ELi1024EEEvPT0_PfPT_S4_PiS7_iiiii,@function
_ZN5aiter43moe_smooth_per_token_scaled_quant_kernel_v1ItDB8_Li256ELi16ELb0ELb0ELi1024EEEvPT0_PfPT_S4_PiS7_iiiii: ; @_ZN5aiter43moe_smooth_per_token_scaled_quant_kernel_v1ItDB8_Li256ELi16ELb0ELb0ELi1024EEEvPT0_PfPT_S4_PiS7_iiiii
; %bb.0:
	s_load_dwordx4 s[8:11], s[4:5], 0x34
	s_load_dwordx2 s[0:1], s[4:5], 0x10
	s_load_dwordx2 s[2:3], s[4:5], 0x20
	v_and_b32_e32 v1, 63, v0
	s_mov_b32 s15, 0x20000
	s_waitcnt lgkmcnt(0)
	s_mul_i32 s20, s6, s8
	s_ashr_i32 s21, s20, 31
	s_lshl_b64 s[12:13], s[20:21], 2
	s_add_u32 s12, s2, s12
	s_addc_u32 s2, s3, s13
	s_and_b32 s13, s2, 0xffff
	s_mul_hi_i32 s3, s10, s6
	s_mul_i32 s2, s10, s6
	s_lshl_b32 s14, s8, 2
	v_lshlrev_b32_e32 v2, 2, v1
	s_lshl_b64 s[2:3], s[2:3], 1
	buffer_load_dword v32, v2, s[12:15], 0 offen
	s_add_u32 s12, s0, s2
	s_addc_u32 s0, s1, s3
	s_lshl_b32 s14, s9, 1
	s_and_b32 s13, s0, 0xffff
	v_lshlrev_b32_e32 v10, 5, v0
	buffer_load_dwordx4 v[6:9], v10, s[12:15], 0 offen
	buffer_load_dwordx4 v[2:5], v10, s[12:15], 16 offen
	s_mov_b32 s21, 0
	s_cmp_lt_i32 s8, 1
	s_waitcnt vmcnt(2)
	s_barrier
	s_cbranch_scc1 .LBB169_11
; %bb.1:
	s_add_i32 s2, s9, 15
	s_load_dwordx4 s[16:19], s[4:5], 0x0
	s_load_dwordx2 s[10:11], s[4:5], 0x18
	s_ashr_i32 s3, s2, 31
	s_add_i32 s4, s9, 3
	s_waitcnt vmcnt(1)
	v_cvt_f32_u32_sdwa v11, v6 dst_sel:DWORD dst_unused:UNUSED_PAD src0_sel:WORD_1
	v_cvt_f32_u32_sdwa v10, v6 dst_sel:DWORD dst_unused:UNUSED_PAD src0_sel:WORD_0
	v_cvt_f32_u32_sdwa v13, v7 dst_sel:DWORD dst_unused:UNUSED_PAD src0_sel:WORD_1
	v_cvt_f32_u32_sdwa v12, v7 dst_sel:DWORD dst_unused:UNUSED_PAD src0_sel:WORD_0
	;; [unrolled: 2-line block ×4, first 2 shown]
	s_waitcnt vmcnt(0)
	v_cvt_f32_u32_sdwa v9, v2 dst_sel:DWORD dst_unused:UNUSED_PAD src0_sel:WORD_1
	v_cvt_f32_u32_sdwa v8, v2 dst_sel:DWORD dst_unused:UNUSED_PAD src0_sel:WORD_0
	v_cvt_f32_u32_sdwa v17, v3 dst_sel:DWORD dst_unused:UNUSED_PAD src0_sel:WORD_1
	v_cvt_f32_u32_sdwa v16, v3 dst_sel:DWORD dst_unused:UNUSED_PAD src0_sel:WORD_0
	;; [unrolled: 2-line block ×4, first 2 shown]
	s_lshr_b32 s3, s3, 28
	s_ashr_i32 s5, s4, 31
	v_cmp_eq_u32_e32 vcc, 63, v1
	v_lshrrev_b32_e32 v1, 4, v0
	s_add_i32 s2, s2, s3
	s_lshr_b32 s5, s5, 30
	v_and_b32_e32 v35, 60, v1
	v_and_b32_e32 v1, 3, v0
	s_ashr_i32 s2, s2, 4
	s_add_i32 s4, s4, s5
	s_mov_b32 s22, s9
	v_lshlrev_b32_e32 v33, 4, v0
	s_lshl_b32 s14, s9, 2
	v_lshlrev_b32_e32 v34, 6, v0
	v_lshlrev_b32_e32 v36, 2, v1
	v_cmp_eq_u32_e64 s[0:1], 0, v0
	v_cmp_gt_u32_e64 s[2:3], s2, v0
	s_and_b32 s6, s4, -4
	s_mov_b32 s9, 0x2edbe6ff
	v_mov_b32_e32 v37, 0
	v_mov_b32_e32 v38, 0xc3e00000
	;; [unrolled: 1-line block ×3, first 2 shown]
	s_mov_b32 s23, 0x5040100
	s_mov_b32 s24, 0x1060504
	;; [unrolled: 1-line block ×3, first 2 shown]
	s_branch .LBB169_4
.LBB169_2:                              ;   in Loop: Header=BB169_4 Depth=1
	s_or_b64 exec, exec, s[12:13]
.LBB169_3:                              ;   in Loop: Header=BB169_4 Depth=1
	s_add_i32 s21, s21, 1
	s_cmp_eq_u32 s8, s21
	s_cbranch_scc1 .LBB169_11
.LBB169_4:                              ; =>This Inner Loop Header: Depth=1
	v_readlane_b32 s4, v32, s21
	s_cmp_lt_i32 s4, 0
	s_cbranch_scc1 .LBB169_3
; %bb.5:                                ;   in Loop: Header=BB169_4 Depth=1
	s_mul_i32 s4, s4, s22
	s_ashr_i32 s5, s4, 31
	s_lshl_b64 s[4:5], s[4:5], 2
	s_waitcnt lgkmcnt(0)
	s_add_u32 s12, s10, s4
	s_addc_u32 s4, s11, s5
	s_and_b32 s13, s4, 0xffff
	buffer_load_dwordx4 v[20:23], v34, s[12:15], 0 offen
	buffer_load_dwordx4 v[40:43], v34, s[12:15], 16 offen
	;; [unrolled: 1-line block ×4, first 2 shown]
	s_waitcnt vmcnt(3)
	v_pk_mul_f32 v[30:31], v[20:21], v[10:11]
	v_pk_mul_f32 v[28:29], v[22:23], v[12:13]
	s_waitcnt vmcnt(2)
	v_pk_mul_f32 v[26:27], v[40:41], v[6:7]
	v_max3_f32 v40, |v30|, s9, |v31|
	v_max3_f32 v40, v40, |v28|, |v29|
	v_pk_mul_f32 v[24:25], v[42:43], v[14:15]
	v_max3_f32 v40, v40, |v26|, |v27|
	s_waitcnt vmcnt(1)
	v_pk_mul_f32 v[22:23], v[44:45], v[8:9]
	v_max3_f32 v40, v40, |v24|, |v25|
	v_pk_mul_f32 v[20:21], v[46:47], v[16:17]
	v_max3_f32 v40, v40, |v22|, |v23|
	s_waitcnt vmcnt(0)
	v_pk_mul_f32 v[4:5], v[48:49], v[2:3]
	v_max3_f32 v40, v40, |v20|, |v21|
	v_pk_mul_f32 v[0:1], v[50:51], v[18:19]
	v_max3_f32 v40, v40, |v4|, |v5|
	v_max3_f32 v40, v40, |v0|, |v1|
	s_nop 1
	v_mov_b32_dpp v41, v40 quad_perm:[1,0,3,2] row_mask:0xf bank_mask:0xf
	v_cmp_gt_f32_e64 s[4:5], v40, v41
	v_cndmask_b32_e64 v40, v41, v40, s[4:5]
	s_nop 1
	v_mov_b32_dpp v41, v40 quad_perm:[2,3,0,1] row_mask:0xf bank_mask:0xf
	v_cmp_gt_f32_e64 s[4:5], v40, v41
	v_cndmask_b32_e64 v40, v41, v40, s[4:5]
	s_nop 1
	v_mov_b32_dpp v41, v40 row_half_mirror row_mask:0xf bank_mask:0xf
	v_cmp_gt_f32_e64 s[4:5], v40, v41
	v_cndmask_b32_e64 v40, v41, v40, s[4:5]
	s_nop 1
	v_mov_b32_dpp v41, v40 row_mirror row_mask:0xf bank_mask:0xf
	v_cmp_gt_f32_e64 s[4:5], v40, v41
	v_cndmask_b32_e64 v40, v41, v40, s[4:5]
	s_nop 1
	v_mov_b32_dpp v41, v40 row_bcast:15 row_mask:0xf bank_mask:0xf
	v_cmp_gt_f32_e64 s[4:5], v40, v41
	v_cndmask_b32_e64 v40, v41, v40, s[4:5]
	s_nop 1
	v_mov_b32_dpp v41, v40 row_bcast:31 row_mask:0xf bank_mask:0xf
	s_and_saveexec_b64 s[12:13], vcc
	s_cbranch_execz .LBB169_7
; %bb.6:                                ;   in Loop: Header=BB169_4 Depth=1
	v_cmp_gt_f32_e64 s[4:5], v40, v41
	v_cndmask_b32_e64 v40, v41, v40, s[4:5]
	ds_write_b32 v35, v40
.LBB169_7:                              ;   in Loop: Header=BB169_4 Depth=1
	s_or_b64 exec, exec, s[12:13]
	s_waitcnt lgkmcnt(0)
	s_barrier
	ds_read_b32 v40, v36
	s_waitcnt lgkmcnt(0)
	s_nop 0
	v_mov_b32_dpp v41, v40 quad_perm:[1,0,3,2] row_mask:0xf bank_mask:0xf
	v_cmp_gt_f32_e64 s[4:5], v40, v41
	v_cndmask_b32_e64 v40, v41, v40, s[4:5]
	s_nop 1
	v_mov_b32_dpp v41, v40 quad_perm:[2,3,0,1] row_mask:0xf bank_mask:0xf
	v_cmp_gt_f32_e64 s[4:5], v40, v41
	v_cndmask_b32_e64 v40, v41, v40, s[4:5]
	v_mul_f32_e32 v40, 0x3b124925, v40
	s_add_i32 s4, s20, s21
	s_and_saveexec_b64 s[12:13], s[0:1]
	s_cbranch_execz .LBB169_9
; %bb.8:                                ;   in Loop: Header=BB169_4 Depth=1
	s_ashr_i32 s5, s4, 31
	s_lshl_b64 s[26:27], s[4:5], 2
	s_add_u32 s26, s18, s26
	s_addc_u32 s27, s19, s27
	global_store_dword v37, v40, s[26:27]
.LBB169_9:                              ;   in Loop: Header=BB169_4 Depth=1
	s_or_b64 exec, exec, s[12:13]
	s_and_saveexec_b64 s[12:13], s[2:3]
	s_cbranch_execz .LBB169_2
; %bb.10:                               ;   in Loop: Header=BB169_4 Depth=1
	v_rcp_f32_e32 v40, v40
	s_mul_hi_i32 s5, s4, s22
	s_mul_i32 s4, s4, s22
	s_add_u32 s4, s16, s4
	v_mov_b32_e32 v41, v40
	;;#ASMSTART
	v_pk_mul_f32 v[30:31], v[30:31], v[40:41]
	;;#ASMEND
	;;#ASMSTART
	v_med3_f32 v30, v30, v38, v39
v_med3_f32 v31, v31, v38, v39
v_cvt_pk_fp8_f32 v42, v30, v31
	;;#ASMEND
	;;#ASMSTART
	v_pk_mul_f32 v[28:29], v[28:29], v[40:41]
	;;#ASMEND
	;;#ASMSTART
	v_med3_f32 v28, v28, v38, v39
v_med3_f32 v29, v29, v38, v39
v_cvt_pk_fp8_f32 v30, v28, v29
	;;#ASMEND
	;; [unrolled: 8-line block ×6, first 2 shown]
	;;#ASMSTART
	v_pk_mul_f32 v[4:5], v[4:5], v[40:41]
	;;#ASMEND
	s_addc_u32 s5, s17, s5
	v_perm_b32 v28, v30, v42, s23
	;;#ASMSTART
	v_med3_f32 v4, v4, v38, v39
v_med3_f32 v5, v5, v38, v39
v_cvt_pk_fp8_f32 v20, v4, v5
	;;#ASMEND
	;;#ASMSTART
	v_pk_mul_f32 v[0:1], v[0:1], v[40:41]
	;;#ASMEND
	s_and_b32 s5, s5, 0xffff
	s_mov_b32 s7, s15
	v_perm_b32 v28, v28, v30, s24
	v_perm_b32 v29, v29, v26, s25
	;; [unrolled: 1-line block ×3, first 2 shown]
	;;#ASMSTART
	v_med3_f32 v0, v0, v38, v39
v_med3_f32 v1, v1, v38, v39
v_cvt_pk_fp8_f32 v4, v0, v1
	;;#ASMEND
	v_perm_b32 v31, v20, v4, s25
	buffer_store_dwordx4 v[28:31], v33, s[4:7], 0 offen
	;;#ASMSTART
	s_nop 0
	;;#ASMEND
	s_branch .LBB169_2
.LBB169_11:
	s_endpgm
	.section	.rodata,"a",@progbits
	.p2align	6, 0x0
	.amdhsa_kernel _ZN5aiter43moe_smooth_per_token_scaled_quant_kernel_v1ItDB8_Li256ELi16ELb0ELb0ELi1024EEEvPT0_PfPT_S4_PiS7_iiiii
		.amdhsa_group_segment_fixed_size 16
		.amdhsa_private_segment_fixed_size 0
		.amdhsa_kernarg_size 68
		.amdhsa_user_sgpr_count 6
		.amdhsa_user_sgpr_private_segment_buffer 1
		.amdhsa_user_sgpr_dispatch_ptr 0
		.amdhsa_user_sgpr_queue_ptr 0
		.amdhsa_user_sgpr_kernarg_segment_ptr 1
		.amdhsa_user_sgpr_dispatch_id 0
		.amdhsa_user_sgpr_flat_scratch_init 0
		.amdhsa_user_sgpr_kernarg_preload_length 0
		.amdhsa_user_sgpr_kernarg_preload_offset 0
		.amdhsa_user_sgpr_private_segment_size 0
		.amdhsa_uses_dynamic_stack 0
		.amdhsa_system_sgpr_private_segment_wavefront_offset 0
		.amdhsa_system_sgpr_workgroup_id_x 1
		.amdhsa_system_sgpr_workgroup_id_y 0
		.amdhsa_system_sgpr_workgroup_id_z 0
		.amdhsa_system_sgpr_workgroup_info 0
		.amdhsa_system_vgpr_workitem_id 0
		.amdhsa_next_free_vgpr 52
		.amdhsa_next_free_sgpr 28
		.amdhsa_accum_offset 52
		.amdhsa_reserve_vcc 1
		.amdhsa_reserve_flat_scratch 0
		.amdhsa_float_round_mode_32 0
		.amdhsa_float_round_mode_16_64 0
		.amdhsa_float_denorm_mode_32 3
		.amdhsa_float_denorm_mode_16_64 3
		.amdhsa_dx10_clamp 1
		.amdhsa_ieee_mode 1
		.amdhsa_fp16_overflow 0
		.amdhsa_tg_split 0
		.amdhsa_exception_fp_ieee_invalid_op 0
		.amdhsa_exception_fp_denorm_src 0
		.amdhsa_exception_fp_ieee_div_zero 0
		.amdhsa_exception_fp_ieee_overflow 0
		.amdhsa_exception_fp_ieee_underflow 0
		.amdhsa_exception_fp_ieee_inexact 0
		.amdhsa_exception_int_div_zero 0
	.end_amdhsa_kernel
	.section	.text._ZN5aiter43moe_smooth_per_token_scaled_quant_kernel_v1ItDB8_Li256ELi16ELb0ELb0ELi1024EEEvPT0_PfPT_S4_PiS7_iiiii,"axG",@progbits,_ZN5aiter43moe_smooth_per_token_scaled_quant_kernel_v1ItDB8_Li256ELi16ELb0ELb0ELi1024EEEvPT0_PfPT_S4_PiS7_iiiii,comdat
.Lfunc_end169:
	.size	_ZN5aiter43moe_smooth_per_token_scaled_quant_kernel_v1ItDB8_Li256ELi16ELb0ELb0ELi1024EEEvPT0_PfPT_S4_PiS7_iiiii, .Lfunc_end169-_ZN5aiter43moe_smooth_per_token_scaled_quant_kernel_v1ItDB8_Li256ELi16ELb0ELb0ELi1024EEEvPT0_PfPT_S4_PiS7_iiiii
                                        ; -- End function
	.section	.AMDGPU.csdata,"",@progbits
; Kernel info:
; codeLenInByte = 1372
; NumSgprs: 32
; NumVgprs: 52
; NumAgprs: 0
; TotalNumVgprs: 52
; ScratchSize: 0
; MemoryBound: 0
; FloatMode: 240
; IeeeMode: 1
; LDSByteSize: 16 bytes/workgroup (compile time only)
; SGPRBlocks: 3
; VGPRBlocks: 6
; NumSGPRsForWavesPerEU: 32
; NumVGPRsForWavesPerEU: 52
; AccumOffset: 52
; Occupancy: 8
; WaveLimiterHint : 0
; COMPUTE_PGM_RSRC2:SCRATCH_EN: 0
; COMPUTE_PGM_RSRC2:USER_SGPR: 6
; COMPUTE_PGM_RSRC2:TRAP_HANDLER: 0
; COMPUTE_PGM_RSRC2:TGID_X_EN: 1
; COMPUTE_PGM_RSRC2:TGID_Y_EN: 0
; COMPUTE_PGM_RSRC2:TGID_Z_EN: 0
; COMPUTE_PGM_RSRC2:TIDIG_COMP_CNT: 0
; COMPUTE_PGM_RSRC3_GFX90A:ACCUM_OFFSET: 12
; COMPUTE_PGM_RSRC3_GFX90A:TG_SPLIT: 0
	.section	.text._ZN5aiter43moe_smooth_per_token_scaled_quant_kernel_v1IDF16_DB8_Li512ELi16ELb1ELb1ELi1024EEEvPT0_PfPT_S4_PiS7_iiiii,"axG",@progbits,_ZN5aiter43moe_smooth_per_token_scaled_quant_kernel_v1IDF16_DB8_Li512ELi16ELb1ELb1ELi1024EEEvPT0_PfPT_S4_PiS7_iiiii,comdat
	.protected	_ZN5aiter43moe_smooth_per_token_scaled_quant_kernel_v1IDF16_DB8_Li512ELi16ELb1ELb1ELi1024EEEvPT0_PfPT_S4_PiS7_iiiii ; -- Begin function _ZN5aiter43moe_smooth_per_token_scaled_quant_kernel_v1IDF16_DB8_Li512ELi16ELb1ELb1ELi1024EEEvPT0_PfPT_S4_PiS7_iiiii
	.globl	_ZN5aiter43moe_smooth_per_token_scaled_quant_kernel_v1IDF16_DB8_Li512ELi16ELb1ELb1ELi1024EEEvPT0_PfPT_S4_PiS7_iiiii
	.p2align	8
	.type	_ZN5aiter43moe_smooth_per_token_scaled_quant_kernel_v1IDF16_DB8_Li512ELi16ELb1ELb1ELi1024EEEvPT0_PfPT_S4_PiS7_iiiii,@function
_ZN5aiter43moe_smooth_per_token_scaled_quant_kernel_v1IDF16_DB8_Li512ELi16ELb1ELb1ELi1024EEEvPT0_PfPT_S4_PiS7_iiiii: ; @_ZN5aiter43moe_smooth_per_token_scaled_quant_kernel_v1IDF16_DB8_Li512ELi16ELb1ELb1ELi1024EEEvPT0_PfPT_S4_PiS7_iiiii
; %bb.0:
	s_load_dword s7, s[4:5], 0x40
	s_load_dwordx8 s[8:15], s[4:5], 0x20
	s_load_dwordx2 s[16:17], s[4:5], 0x10
	v_and_b32_e32 v1, 0x3c0, v0
	v_lshlrev_b32_e32 v1, 2, v1
	s_waitcnt lgkmcnt(0)
	s_lshl_b32 s2, s7, 2
	s_and_b32 s1, s11, 0xffff
	s_mov_b32 s3, 0x20000
	s_mov_b32 s0, s10
	v_lshlrev_b32_e32 v2, 2, v0
	v_readfirstlane_b32 s10, v1
	;;#ASMSTART
	s_mov_b32 m0 s10
	buffer_load_dword v2, s[0:3], 0 offen offset:0 lds
	
	;;#ASMEND
	v_add_u32_e32 v1, 0x800, v1
	v_readfirstlane_b32 s10, v1
	v_add_u32_e32 v1, 0x800, v2
	;;#ASMSTART
	s_mov_b32 m0 s10
	buffer_load_dword v1, s[0:3], 0 offen offset:0 lds
	
	;;#ASMEND
	s_mul_i32 s0, s6, s13
	s_ashr_i32 s1, s0, 31
	s_lshl_b64 s[0:1], s[0:1], 2
	s_add_u32 s0, s8, s0
	v_and_b32_e32 v1, 63, v0
	s_addc_u32 s1, s9, s1
	s_lshl_b32 s2, s13, 2
	s_and_b32 s1, s1, 0xffff
	v_lshlrev_b32_e32 v2, 2, v1
	buffer_load_dword v32, v2, s[0:3], 0 offen
	s_mul_hi_i32 s1, s15, s6
	s_mul_i32 s0, s15, s6
	s_lshl_b64 s[0:1], s[0:1], 1
	s_add_u32 s0, s16, s0
	s_addc_u32 s1, s17, s1
	s_lshl_b32 s2, s14, 1
	s_and_b32 s1, s1, 0xffff
	v_lshlrev_b32_e32 v10, 5, v0
	buffer_load_dwordx4 v[6:9], v10, s[0:3], 0 offen
	buffer_load_dwordx4 v[2:5], v10, s[0:3], 16 offen
	v_cmp_gt_i32_e32 vcc, s13, v1
	s_waitcnt vmcnt(2)
	s_barrier
	v_cmp_gt_i32_e64 s[2:3], s7, v32
	v_cmp_lt_i32_e64 s[0:1], -1, v32
	s_and_b64 s[2:3], vcc, s[2:3]
	s_and_b64 s[2:3], s[2:3], s[0:1]
	s_and_saveexec_b64 s[0:1], s[2:3]
	s_cbranch_execz .LBB170_2
; %bb.1:
	v_lshlrev_b32_e32 v10, 2, v32
	ds_read_b32 v32, v10
.LBB170_2:
	s_or_b64 exec, exec, s[0:1]
	s_cmp_lt_i32 s13, 1
	s_cbranch_scc1 .LBB170_13
; %bb.3:
	s_add_i32 s2, s14, 15
	s_load_dwordx4 s[8:11], s[4:5], 0x0
	s_load_dwordx2 s[24:25], s[4:5], 0x18
	s_ashr_i32 s3, s2, 31
	s_add_i32 s4, s14, 3
	s_waitcnt vmcnt(1)
	v_cvt_f32_f16_sdwa v11, v6 dst_sel:DWORD dst_unused:UNUSED_PAD src0_sel:WORD_1
	v_cvt_f32_f16_e32 v10, v6
	v_cvt_f32_f16_sdwa v13, v7 dst_sel:DWORD dst_unused:UNUSED_PAD src0_sel:WORD_1
	v_cvt_f32_f16_e32 v12, v7
	;; [unrolled: 2-line block ×4, first 2 shown]
	s_waitcnt vmcnt(0)
	v_cvt_f32_f16_sdwa v9, v2 dst_sel:DWORD dst_unused:UNUSED_PAD src0_sel:WORD_1
	v_cvt_f32_f16_e32 v8, v2
	v_cvt_f32_f16_sdwa v17, v3 dst_sel:DWORD dst_unused:UNUSED_PAD src0_sel:WORD_1
	v_cvt_f32_f16_e32 v16, v3
	;; [unrolled: 2-line block ×4, first 2 shown]
	s_lshr_b32 s3, s3, 28
	s_ashr_i32 s5, s4, 31
	v_cmp_eq_u32_e32 vcc, 63, v1
	v_lshrrev_b32_e32 v1, 4, v0
	v_mov_b32_e32 v4, 0x1000
	s_add_i32 s2, s2, s3
	s_lshr_b32 s5, s5, 30
	v_and_or_b32 v35, v1, 60, v4
	v_and_b32_e32 v1, 7, v0
	s_ashr_i32 s2, s2, 4
	s_add_i32 s4, s4, s5
	v_lshlrev_b32_e32 v33, 4, v0
	s_lshl_b32 s18, s14, 2
	v_lshlrev_b32_e32 v34, 6, v0
	v_lshl_or_b32 v36, v1, 2, v4
	s_mov_b32 s15, 0
	v_cmp_eq_u32_e64 s[0:1], 0, v0
	v_cmp_gt_u32_e64 s[2:3], s2, v0
	s_and_b32 s22, s4, -4
	s_mov_b32 s19, 0x20000
	s_mov_b32 s26, 0x2edbe6ff
	v_mov_b32_e32 v37, 0
	v_mov_b32_e32 v38, 0xc3e00000
	;; [unrolled: 1-line block ×3, first 2 shown]
	s_mov_b32 s27, 0x5040100
	s_mov_b32 s28, 0x1060504
	;; [unrolled: 1-line block ×3, first 2 shown]
	s_branch .LBB170_6
.LBB170_4:                              ;   in Loop: Header=BB170_6 Depth=1
	s_or_b64 exec, exec, s[4:5]
.LBB170_5:                              ;   in Loop: Header=BB170_6 Depth=1
	s_add_i32 s15, s15, 1
	s_add_i32 s6, s6, s12
	s_cmp_eq_u32 s13, s15
	s_cbranch_scc1 .LBB170_13
.LBB170_6:                              ; =>This Inner Loop Header: Depth=1
	s_waitcnt lgkmcnt(0)
	v_readlane_b32 s4, v32, s15
	s_cmp_lt_i32 s4, 0
	s_cbranch_scc1 .LBB170_5
; %bb.7:                                ;   in Loop: Header=BB170_6 Depth=1
	s_mul_i32 s4, s4, s14
	s_ashr_i32 s5, s4, 31
	s_lshl_b64 s[4:5], s[4:5], 2
	s_add_u32 s16, s24, s4
	s_addc_u32 s4, s25, s5
	s_and_b32 s17, s4, 0xffff
	buffer_load_dwordx4 v[20:23], v34, s[16:19], 0 offen
	buffer_load_dwordx4 v[40:43], v34, s[16:19], 16 offen
	;; [unrolled: 1-line block ×4, first 2 shown]
	s_waitcnt vmcnt(3)
	v_pk_mul_f32 v[30:31], v[20:21], v[10:11]
	v_pk_mul_f32 v[28:29], v[22:23], v[12:13]
	s_waitcnt vmcnt(2)
	v_pk_mul_f32 v[26:27], v[40:41], v[6:7]
	v_max3_f32 v40, |v30|, s26, |v31|
	v_max3_f32 v40, v40, |v28|, |v29|
	v_pk_mul_f32 v[24:25], v[42:43], v[14:15]
	v_max3_f32 v40, v40, |v26|, |v27|
	s_waitcnt vmcnt(1)
	v_pk_mul_f32 v[22:23], v[44:45], v[8:9]
	v_max3_f32 v40, v40, |v24|, |v25|
	v_pk_mul_f32 v[20:21], v[46:47], v[16:17]
	v_max3_f32 v40, v40, |v22|, |v23|
	s_waitcnt vmcnt(0)
	v_pk_mul_f32 v[4:5], v[48:49], v[2:3]
	v_max3_f32 v40, v40, |v20|, |v21|
	v_pk_mul_f32 v[0:1], v[50:51], v[18:19]
	v_max3_f32 v40, v40, |v4|, |v5|
	v_max3_f32 v40, v40, |v0|, |v1|
	s_nop 1
	v_mov_b32_dpp v41, v40 quad_perm:[1,0,3,2] row_mask:0xf bank_mask:0xf
	v_cmp_gt_f32_e64 s[4:5], v40, v41
	v_cndmask_b32_e64 v40, v41, v40, s[4:5]
	s_nop 1
	v_mov_b32_dpp v41, v40 quad_perm:[2,3,0,1] row_mask:0xf bank_mask:0xf
	v_cmp_gt_f32_e64 s[4:5], v40, v41
	v_cndmask_b32_e64 v40, v41, v40, s[4:5]
	s_nop 1
	v_mov_b32_dpp v41, v40 row_half_mirror row_mask:0xf bank_mask:0xf
	v_cmp_gt_f32_e64 s[4:5], v40, v41
	v_cndmask_b32_e64 v40, v41, v40, s[4:5]
	s_nop 1
	v_mov_b32_dpp v41, v40 row_mirror row_mask:0xf bank_mask:0xf
	v_cmp_gt_f32_e64 s[4:5], v40, v41
	v_cndmask_b32_e64 v40, v41, v40, s[4:5]
	s_nop 1
	v_mov_b32_dpp v41, v40 row_bcast:15 row_mask:0xf bank_mask:0xf
	v_cmp_gt_f32_e64 s[4:5], v40, v41
	v_cndmask_b32_e64 v40, v41, v40, s[4:5]
	s_nop 1
	v_mov_b32_dpp v41, v40 row_bcast:31 row_mask:0xf bank_mask:0xf
	s_and_saveexec_b64 s[16:17], vcc
	s_cbranch_execz .LBB170_9
; %bb.8:                                ;   in Loop: Header=BB170_6 Depth=1
	v_cmp_gt_f32_e64 s[4:5], v40, v41
	v_cndmask_b32_e64 v40, v41, v40, s[4:5]
	ds_write_b32 v35, v40
.LBB170_9:                              ;   in Loop: Header=BB170_6 Depth=1
	s_or_b64 exec, exec, s[16:17]
	s_waitcnt lgkmcnt(0)
	s_barrier
	ds_read_b32 v40, v36
	s_waitcnt lgkmcnt(0)
	s_nop 0
	v_mov_b32_dpp v41, v40 quad_perm:[1,0,3,2] row_mask:0xf bank_mask:0xf
	v_cmp_gt_f32_e64 s[4:5], v40, v41
	v_cndmask_b32_e64 v40, v41, v40, s[4:5]
	s_nop 1
	v_mov_b32_dpp v41, v40 quad_perm:[2,3,0,1] row_mask:0xf bank_mask:0xf
	v_cmp_gt_f32_e64 s[4:5], v40, v41
	v_cndmask_b32_e64 v40, v41, v40, s[4:5]
	s_nop 1
	v_mov_b32_dpp v41, v40 row_half_mirror row_mask:0xf bank_mask:0xf
	v_cmp_gt_f32_e64 s[4:5], v40, v41
	v_cndmask_b32_e64 v40, v41, v40, s[4:5]
	v_mul_f32_e32 v40, 0x3b124925, v40
	s_and_saveexec_b64 s[4:5], s[0:1]
	s_cbranch_execz .LBB170_11
; %bb.10:                               ;   in Loop: Header=BB170_6 Depth=1
	s_ashr_i32 s7, s6, 31
	s_lshl_b64 s[16:17], s[6:7], 2
	s_add_u32 s16, s10, s16
	s_addc_u32 s17, s11, s17
	global_store_dword v37, v40, s[16:17]
.LBB170_11:                             ;   in Loop: Header=BB170_6 Depth=1
	s_or_b64 exec, exec, s[4:5]
	s_and_saveexec_b64 s[4:5], s[2:3]
	s_cbranch_execz .LBB170_4
; %bb.12:                               ;   in Loop: Header=BB170_6 Depth=1
	v_rcp_f32_e32 v40, v40
	s_mul_i32 s16, s6, s14
	s_mul_hi_i32 s7, s6, s14
	s_add_u32 s20, s8, s16
	v_mov_b32_e32 v41, v40
	;;#ASMSTART
	v_pk_mul_f32 v[30:31], v[30:31], v[40:41]
	;;#ASMEND
	;;#ASMSTART
	v_med3_f32 v30, v30, v38, v39
v_med3_f32 v31, v31, v38, v39
v_cvt_pk_fp8_f32 v42, v30, v31
	;;#ASMEND
	;;#ASMSTART
	v_pk_mul_f32 v[28:29], v[28:29], v[40:41]
	;;#ASMEND
	;;#ASMSTART
	v_med3_f32 v28, v28, v38, v39
v_med3_f32 v29, v29, v38, v39
v_cvt_pk_fp8_f32 v30, v28, v29
	;;#ASMEND
	;; [unrolled: 8-line block ×6, first 2 shown]
	;;#ASMSTART
	v_pk_mul_f32 v[4:5], v[4:5], v[40:41]
	;;#ASMEND
	s_addc_u32 s7, s9, s7
	v_perm_b32 v28, v30, v42, s27
	;;#ASMSTART
	v_med3_f32 v4, v4, v38, v39
v_med3_f32 v5, v5, v38, v39
v_cvt_pk_fp8_f32 v20, v4, v5
	;;#ASMEND
	;;#ASMSTART
	v_pk_mul_f32 v[0:1], v[0:1], v[40:41]
	;;#ASMEND
	s_and_b32 s21, s7, 0xffff
	s_mov_b32 s23, s19
	v_perm_b32 v28, v28, v30, s28
	v_perm_b32 v29, v29, v26, s29
	;; [unrolled: 1-line block ×3, first 2 shown]
	;;#ASMSTART
	v_med3_f32 v0, v0, v38, v39
v_med3_f32 v1, v1, v38, v39
v_cvt_pk_fp8_f32 v4, v0, v1
	;;#ASMEND
	v_perm_b32 v31, v20, v4, s29
	buffer_store_dwordx4 v[28:31], v33, s[20:23], 0 offen
	;;#ASMSTART
	s_nop 0
	;;#ASMEND
	s_branch .LBB170_4
.LBB170_13:
	s_endpgm
	.section	.rodata,"a",@progbits
	.p2align	6, 0x0
	.amdhsa_kernel _ZN5aiter43moe_smooth_per_token_scaled_quant_kernel_v1IDF16_DB8_Li512ELi16ELb1ELb1ELi1024EEEvPT0_PfPT_S4_PiS7_iiiii
		.amdhsa_group_segment_fixed_size 4128
		.amdhsa_private_segment_fixed_size 0
		.amdhsa_kernarg_size 68
		.amdhsa_user_sgpr_count 6
		.amdhsa_user_sgpr_private_segment_buffer 1
		.amdhsa_user_sgpr_dispatch_ptr 0
		.amdhsa_user_sgpr_queue_ptr 0
		.amdhsa_user_sgpr_kernarg_segment_ptr 1
		.amdhsa_user_sgpr_dispatch_id 0
		.amdhsa_user_sgpr_flat_scratch_init 0
		.amdhsa_user_sgpr_kernarg_preload_length 0
		.amdhsa_user_sgpr_kernarg_preload_offset 0
		.amdhsa_user_sgpr_private_segment_size 0
		.amdhsa_uses_dynamic_stack 0
		.amdhsa_system_sgpr_private_segment_wavefront_offset 0
		.amdhsa_system_sgpr_workgroup_id_x 1
		.amdhsa_system_sgpr_workgroup_id_y 0
		.amdhsa_system_sgpr_workgroup_id_z 0
		.amdhsa_system_sgpr_workgroup_info 0
		.amdhsa_system_vgpr_workitem_id 0
		.amdhsa_next_free_vgpr 52
		.amdhsa_next_free_sgpr 30
		.amdhsa_accum_offset 52
		.amdhsa_reserve_vcc 1
		.amdhsa_reserve_flat_scratch 0
		.amdhsa_float_round_mode_32 0
		.amdhsa_float_round_mode_16_64 0
		.amdhsa_float_denorm_mode_32 3
		.amdhsa_float_denorm_mode_16_64 3
		.amdhsa_dx10_clamp 1
		.amdhsa_ieee_mode 1
		.amdhsa_fp16_overflow 0
		.amdhsa_tg_split 0
		.amdhsa_exception_fp_ieee_invalid_op 0
		.amdhsa_exception_fp_denorm_src 0
		.amdhsa_exception_fp_ieee_div_zero 0
		.amdhsa_exception_fp_ieee_overflow 0
		.amdhsa_exception_fp_ieee_underflow 0
		.amdhsa_exception_fp_ieee_inexact 0
		.amdhsa_exception_int_div_zero 0
	.end_amdhsa_kernel
	.section	.text._ZN5aiter43moe_smooth_per_token_scaled_quant_kernel_v1IDF16_DB8_Li512ELi16ELb1ELb1ELi1024EEEvPT0_PfPT_S4_PiS7_iiiii,"axG",@progbits,_ZN5aiter43moe_smooth_per_token_scaled_quant_kernel_v1IDF16_DB8_Li512ELi16ELb1ELb1ELi1024EEEvPT0_PfPT_S4_PiS7_iiiii,comdat
.Lfunc_end170:
	.size	_ZN5aiter43moe_smooth_per_token_scaled_quant_kernel_v1IDF16_DB8_Li512ELi16ELb1ELb1ELi1024EEEvPT0_PfPT_S4_PiS7_iiiii, .Lfunc_end170-_ZN5aiter43moe_smooth_per_token_scaled_quant_kernel_v1IDF16_DB8_Li512ELi16ELb1ELb1ELi1024EEEvPT0_PfPT_S4_PiS7_iiiii
                                        ; -- End function
	.section	.AMDGPU.csdata,"",@progbits
; Kernel info:
; codeLenInByte = 1528
; NumSgprs: 34
; NumVgprs: 52
; NumAgprs: 0
; TotalNumVgprs: 52
; ScratchSize: 0
; MemoryBound: 0
; FloatMode: 240
; IeeeMode: 1
; LDSByteSize: 4128 bytes/workgroup (compile time only)
; SGPRBlocks: 4
; VGPRBlocks: 6
; NumSGPRsForWavesPerEU: 34
; NumVGPRsForWavesPerEU: 52
; AccumOffset: 52
; Occupancy: 8
; WaveLimiterHint : 0
; COMPUTE_PGM_RSRC2:SCRATCH_EN: 0
; COMPUTE_PGM_RSRC2:USER_SGPR: 6
; COMPUTE_PGM_RSRC2:TRAP_HANDLER: 0
; COMPUTE_PGM_RSRC2:TGID_X_EN: 1
; COMPUTE_PGM_RSRC2:TGID_Y_EN: 0
; COMPUTE_PGM_RSRC2:TGID_Z_EN: 0
; COMPUTE_PGM_RSRC2:TIDIG_COMP_CNT: 0
; COMPUTE_PGM_RSRC3_GFX90A:ACCUM_OFFSET: 12
; COMPUTE_PGM_RSRC3_GFX90A:TG_SPLIT: 0
	.section	.text._ZN5aiter43moe_smooth_per_token_scaled_quant_kernel_v1ItDB8_Li512ELi16ELb1ELb1ELi1024EEEvPT0_PfPT_S4_PiS7_iiiii,"axG",@progbits,_ZN5aiter43moe_smooth_per_token_scaled_quant_kernel_v1ItDB8_Li512ELi16ELb1ELb1ELi1024EEEvPT0_PfPT_S4_PiS7_iiiii,comdat
	.protected	_ZN5aiter43moe_smooth_per_token_scaled_quant_kernel_v1ItDB8_Li512ELi16ELb1ELb1ELi1024EEEvPT0_PfPT_S4_PiS7_iiiii ; -- Begin function _ZN5aiter43moe_smooth_per_token_scaled_quant_kernel_v1ItDB8_Li512ELi16ELb1ELb1ELi1024EEEvPT0_PfPT_S4_PiS7_iiiii
	.globl	_ZN5aiter43moe_smooth_per_token_scaled_quant_kernel_v1ItDB8_Li512ELi16ELb1ELb1ELi1024EEEvPT0_PfPT_S4_PiS7_iiiii
	.p2align	8
	.type	_ZN5aiter43moe_smooth_per_token_scaled_quant_kernel_v1ItDB8_Li512ELi16ELb1ELb1ELi1024EEEvPT0_PfPT_S4_PiS7_iiiii,@function
_ZN5aiter43moe_smooth_per_token_scaled_quant_kernel_v1ItDB8_Li512ELi16ELb1ELb1ELi1024EEEvPT0_PfPT_S4_PiS7_iiiii: ; @_ZN5aiter43moe_smooth_per_token_scaled_quant_kernel_v1ItDB8_Li512ELi16ELb1ELb1ELi1024EEEvPT0_PfPT_S4_PiS7_iiiii
; %bb.0:
	s_load_dword s7, s[4:5], 0x40
	s_load_dwordx8 s[8:15], s[4:5], 0x20
	s_load_dwordx2 s[16:17], s[4:5], 0x10
	v_and_b32_e32 v1, 0x3c0, v0
	v_lshlrev_b32_e32 v1, 2, v1
	s_waitcnt lgkmcnt(0)
	s_lshl_b32 s2, s7, 2
	s_and_b32 s1, s11, 0xffff
	s_mov_b32 s3, 0x20000
	s_mov_b32 s0, s10
	v_lshlrev_b32_e32 v2, 2, v0
	v_readfirstlane_b32 s10, v1
	;;#ASMSTART
	s_mov_b32 m0 s10
	buffer_load_dword v2, s[0:3], 0 offen offset:0 lds
	
	;;#ASMEND
	v_add_u32_e32 v1, 0x800, v1
	v_readfirstlane_b32 s10, v1
	v_add_u32_e32 v1, 0x800, v2
	;;#ASMSTART
	s_mov_b32 m0 s10
	buffer_load_dword v1, s[0:3], 0 offen offset:0 lds
	
	;;#ASMEND
	s_mul_i32 s0, s6, s13
	s_ashr_i32 s1, s0, 31
	s_lshl_b64 s[0:1], s[0:1], 2
	s_add_u32 s0, s8, s0
	v_and_b32_e32 v1, 63, v0
	s_addc_u32 s1, s9, s1
	s_lshl_b32 s2, s13, 2
	s_and_b32 s1, s1, 0xffff
	v_lshlrev_b32_e32 v2, 2, v1
	buffer_load_dword v32, v2, s[0:3], 0 offen
	s_mul_hi_i32 s1, s15, s6
	s_mul_i32 s0, s15, s6
	s_lshl_b64 s[0:1], s[0:1], 1
	s_add_u32 s0, s16, s0
	s_addc_u32 s1, s17, s1
	s_lshl_b32 s2, s14, 1
	s_and_b32 s1, s1, 0xffff
	v_lshlrev_b32_e32 v10, 5, v0
	buffer_load_dwordx4 v[6:9], v10, s[0:3], 0 offen
	buffer_load_dwordx4 v[2:5], v10, s[0:3], 16 offen
	v_cmp_gt_i32_e32 vcc, s13, v1
	s_waitcnt vmcnt(2)
	s_barrier
	v_cmp_gt_i32_e64 s[2:3], s7, v32
	v_cmp_lt_i32_e64 s[0:1], -1, v32
	s_and_b64 s[2:3], vcc, s[2:3]
	s_and_b64 s[2:3], s[2:3], s[0:1]
	s_and_saveexec_b64 s[0:1], s[2:3]
	s_cbranch_execz .LBB171_2
; %bb.1:
	v_lshlrev_b32_e32 v10, 2, v32
	ds_read_b32 v32, v10
.LBB171_2:
	s_or_b64 exec, exec, s[0:1]
	s_cmp_lt_i32 s13, 1
	s_cbranch_scc1 .LBB171_13
; %bb.3:
	s_add_i32 s2, s14, 15
	s_load_dwordx4 s[8:11], s[4:5], 0x0
	s_load_dwordx2 s[24:25], s[4:5], 0x18
	s_ashr_i32 s3, s2, 31
	s_add_i32 s4, s14, 3
	s_waitcnt vmcnt(1)
	v_cvt_f32_u32_sdwa v11, v6 dst_sel:DWORD dst_unused:UNUSED_PAD src0_sel:WORD_1
	v_cvt_f32_u32_sdwa v10, v6 dst_sel:DWORD dst_unused:UNUSED_PAD src0_sel:WORD_0
	v_cvt_f32_u32_sdwa v13, v7 dst_sel:DWORD dst_unused:UNUSED_PAD src0_sel:WORD_1
	v_cvt_f32_u32_sdwa v12, v7 dst_sel:DWORD dst_unused:UNUSED_PAD src0_sel:WORD_0
	;; [unrolled: 2-line block ×4, first 2 shown]
	s_waitcnt vmcnt(0)
	v_cvt_f32_u32_sdwa v9, v2 dst_sel:DWORD dst_unused:UNUSED_PAD src0_sel:WORD_1
	v_cvt_f32_u32_sdwa v8, v2 dst_sel:DWORD dst_unused:UNUSED_PAD src0_sel:WORD_0
	v_cvt_f32_u32_sdwa v17, v3 dst_sel:DWORD dst_unused:UNUSED_PAD src0_sel:WORD_1
	v_cvt_f32_u32_sdwa v16, v3 dst_sel:DWORD dst_unused:UNUSED_PAD src0_sel:WORD_0
	v_cvt_f32_u32_sdwa v3, v4 dst_sel:DWORD dst_unused:UNUSED_PAD src0_sel:WORD_1
	v_cvt_f32_u32_sdwa v2, v4 dst_sel:DWORD dst_unused:UNUSED_PAD src0_sel:WORD_0
	v_cvt_f32_u32_sdwa v19, v5 dst_sel:DWORD dst_unused:UNUSED_PAD src0_sel:WORD_1
	v_cvt_f32_u32_sdwa v18, v5 dst_sel:DWORD dst_unused:UNUSED_PAD src0_sel:WORD_0
	s_lshr_b32 s3, s3, 28
	s_ashr_i32 s5, s4, 31
	v_cmp_eq_u32_e32 vcc, 63, v1
	v_lshrrev_b32_e32 v1, 4, v0
	v_mov_b32_e32 v4, 0x1000
	s_add_i32 s2, s2, s3
	s_lshr_b32 s5, s5, 30
	v_and_or_b32 v35, v1, 60, v4
	v_and_b32_e32 v1, 7, v0
	s_ashr_i32 s2, s2, 4
	s_add_i32 s4, s4, s5
	v_lshlrev_b32_e32 v33, 4, v0
	s_lshl_b32 s18, s14, 2
	v_lshlrev_b32_e32 v34, 6, v0
	v_lshl_or_b32 v36, v1, 2, v4
	s_mov_b32 s15, 0
	v_cmp_eq_u32_e64 s[0:1], 0, v0
	v_cmp_gt_u32_e64 s[2:3], s2, v0
	s_and_b32 s22, s4, -4
	s_mov_b32 s19, 0x20000
	s_mov_b32 s26, 0x2edbe6ff
	v_mov_b32_e32 v37, 0
	v_mov_b32_e32 v38, 0xc3e00000
	;; [unrolled: 1-line block ×3, first 2 shown]
	s_mov_b32 s27, 0x5040100
	s_mov_b32 s28, 0x1060504
	;; [unrolled: 1-line block ×3, first 2 shown]
	s_branch .LBB171_6
.LBB171_4:                              ;   in Loop: Header=BB171_6 Depth=1
	s_or_b64 exec, exec, s[4:5]
.LBB171_5:                              ;   in Loop: Header=BB171_6 Depth=1
	s_add_i32 s15, s15, 1
	s_add_i32 s6, s6, s12
	s_cmp_eq_u32 s13, s15
	s_cbranch_scc1 .LBB171_13
.LBB171_6:                              ; =>This Inner Loop Header: Depth=1
	s_waitcnt lgkmcnt(0)
	v_readlane_b32 s4, v32, s15
	s_cmp_lt_i32 s4, 0
	s_cbranch_scc1 .LBB171_5
; %bb.7:                                ;   in Loop: Header=BB171_6 Depth=1
	s_mul_i32 s4, s4, s14
	s_ashr_i32 s5, s4, 31
	s_lshl_b64 s[4:5], s[4:5], 2
	s_add_u32 s16, s24, s4
	s_addc_u32 s4, s25, s5
	s_and_b32 s17, s4, 0xffff
	buffer_load_dwordx4 v[20:23], v34, s[16:19], 0 offen
	buffer_load_dwordx4 v[40:43], v34, s[16:19], 16 offen
	;; [unrolled: 1-line block ×4, first 2 shown]
	s_waitcnt vmcnt(3)
	v_pk_mul_f32 v[30:31], v[20:21], v[10:11]
	v_pk_mul_f32 v[28:29], v[22:23], v[12:13]
	s_waitcnt vmcnt(2)
	v_pk_mul_f32 v[26:27], v[40:41], v[6:7]
	v_max3_f32 v40, |v30|, s26, |v31|
	v_max3_f32 v40, v40, |v28|, |v29|
	v_pk_mul_f32 v[24:25], v[42:43], v[14:15]
	v_max3_f32 v40, v40, |v26|, |v27|
	s_waitcnt vmcnt(1)
	v_pk_mul_f32 v[22:23], v[44:45], v[8:9]
	v_max3_f32 v40, v40, |v24|, |v25|
	v_pk_mul_f32 v[20:21], v[46:47], v[16:17]
	v_max3_f32 v40, v40, |v22|, |v23|
	s_waitcnt vmcnt(0)
	v_pk_mul_f32 v[4:5], v[48:49], v[2:3]
	v_max3_f32 v40, v40, |v20|, |v21|
	v_pk_mul_f32 v[0:1], v[50:51], v[18:19]
	v_max3_f32 v40, v40, |v4|, |v5|
	v_max3_f32 v40, v40, |v0|, |v1|
	s_nop 1
	v_mov_b32_dpp v41, v40 quad_perm:[1,0,3,2] row_mask:0xf bank_mask:0xf
	v_cmp_gt_f32_e64 s[4:5], v40, v41
	v_cndmask_b32_e64 v40, v41, v40, s[4:5]
	s_nop 1
	v_mov_b32_dpp v41, v40 quad_perm:[2,3,0,1] row_mask:0xf bank_mask:0xf
	v_cmp_gt_f32_e64 s[4:5], v40, v41
	v_cndmask_b32_e64 v40, v41, v40, s[4:5]
	s_nop 1
	v_mov_b32_dpp v41, v40 row_half_mirror row_mask:0xf bank_mask:0xf
	v_cmp_gt_f32_e64 s[4:5], v40, v41
	v_cndmask_b32_e64 v40, v41, v40, s[4:5]
	s_nop 1
	v_mov_b32_dpp v41, v40 row_mirror row_mask:0xf bank_mask:0xf
	v_cmp_gt_f32_e64 s[4:5], v40, v41
	v_cndmask_b32_e64 v40, v41, v40, s[4:5]
	s_nop 1
	v_mov_b32_dpp v41, v40 row_bcast:15 row_mask:0xf bank_mask:0xf
	v_cmp_gt_f32_e64 s[4:5], v40, v41
	v_cndmask_b32_e64 v40, v41, v40, s[4:5]
	s_nop 1
	v_mov_b32_dpp v41, v40 row_bcast:31 row_mask:0xf bank_mask:0xf
	s_and_saveexec_b64 s[16:17], vcc
	s_cbranch_execz .LBB171_9
; %bb.8:                                ;   in Loop: Header=BB171_6 Depth=1
	v_cmp_gt_f32_e64 s[4:5], v40, v41
	v_cndmask_b32_e64 v40, v41, v40, s[4:5]
	ds_write_b32 v35, v40
.LBB171_9:                              ;   in Loop: Header=BB171_6 Depth=1
	s_or_b64 exec, exec, s[16:17]
	s_waitcnt lgkmcnt(0)
	s_barrier
	ds_read_b32 v40, v36
	s_waitcnt lgkmcnt(0)
	s_nop 0
	v_mov_b32_dpp v41, v40 quad_perm:[1,0,3,2] row_mask:0xf bank_mask:0xf
	v_cmp_gt_f32_e64 s[4:5], v40, v41
	v_cndmask_b32_e64 v40, v41, v40, s[4:5]
	s_nop 1
	v_mov_b32_dpp v41, v40 quad_perm:[2,3,0,1] row_mask:0xf bank_mask:0xf
	v_cmp_gt_f32_e64 s[4:5], v40, v41
	v_cndmask_b32_e64 v40, v41, v40, s[4:5]
	s_nop 1
	v_mov_b32_dpp v41, v40 row_half_mirror row_mask:0xf bank_mask:0xf
	v_cmp_gt_f32_e64 s[4:5], v40, v41
	v_cndmask_b32_e64 v40, v41, v40, s[4:5]
	v_mul_f32_e32 v40, 0x3b124925, v40
	s_and_saveexec_b64 s[4:5], s[0:1]
	s_cbranch_execz .LBB171_11
; %bb.10:                               ;   in Loop: Header=BB171_6 Depth=1
	s_ashr_i32 s7, s6, 31
	s_lshl_b64 s[16:17], s[6:7], 2
	s_add_u32 s16, s10, s16
	s_addc_u32 s17, s11, s17
	global_store_dword v37, v40, s[16:17]
.LBB171_11:                             ;   in Loop: Header=BB171_6 Depth=1
	s_or_b64 exec, exec, s[4:5]
	s_and_saveexec_b64 s[4:5], s[2:3]
	s_cbranch_execz .LBB171_4
; %bb.12:                               ;   in Loop: Header=BB171_6 Depth=1
	v_rcp_f32_e32 v40, v40
	s_mul_i32 s16, s6, s14
	s_mul_hi_i32 s7, s6, s14
	s_add_u32 s20, s8, s16
	v_mov_b32_e32 v41, v40
	;;#ASMSTART
	v_pk_mul_f32 v[30:31], v[30:31], v[40:41]
	;;#ASMEND
	;;#ASMSTART
	v_med3_f32 v30, v30, v38, v39
v_med3_f32 v31, v31, v38, v39
v_cvt_pk_fp8_f32 v42, v30, v31
	;;#ASMEND
	;;#ASMSTART
	v_pk_mul_f32 v[28:29], v[28:29], v[40:41]
	;;#ASMEND
	;;#ASMSTART
	v_med3_f32 v28, v28, v38, v39
v_med3_f32 v29, v29, v38, v39
v_cvt_pk_fp8_f32 v30, v28, v29
	;;#ASMEND
	;; [unrolled: 8-line block ×6, first 2 shown]
	;;#ASMSTART
	v_pk_mul_f32 v[4:5], v[4:5], v[40:41]
	;;#ASMEND
	s_addc_u32 s7, s9, s7
	v_perm_b32 v28, v30, v42, s27
	;;#ASMSTART
	v_med3_f32 v4, v4, v38, v39
v_med3_f32 v5, v5, v38, v39
v_cvt_pk_fp8_f32 v20, v4, v5
	;;#ASMEND
	;;#ASMSTART
	v_pk_mul_f32 v[0:1], v[0:1], v[40:41]
	;;#ASMEND
	s_and_b32 s21, s7, 0xffff
	s_mov_b32 s23, s19
	v_perm_b32 v28, v28, v30, s28
	v_perm_b32 v29, v29, v26, s29
	;; [unrolled: 1-line block ×3, first 2 shown]
	;;#ASMSTART
	v_med3_f32 v0, v0, v38, v39
v_med3_f32 v1, v1, v38, v39
v_cvt_pk_fp8_f32 v4, v0, v1
	;;#ASMEND
	v_perm_b32 v31, v20, v4, s29
	buffer_store_dwordx4 v[28:31], v33, s[20:23], 0 offen
	;;#ASMSTART
	s_nop 0
	;;#ASMEND
	s_branch .LBB171_4
.LBB171_13:
	s_endpgm
	.section	.rodata,"a",@progbits
	.p2align	6, 0x0
	.amdhsa_kernel _ZN5aiter43moe_smooth_per_token_scaled_quant_kernel_v1ItDB8_Li512ELi16ELb1ELb1ELi1024EEEvPT0_PfPT_S4_PiS7_iiiii
		.amdhsa_group_segment_fixed_size 4128
		.amdhsa_private_segment_fixed_size 0
		.amdhsa_kernarg_size 68
		.amdhsa_user_sgpr_count 6
		.amdhsa_user_sgpr_private_segment_buffer 1
		.amdhsa_user_sgpr_dispatch_ptr 0
		.amdhsa_user_sgpr_queue_ptr 0
		.amdhsa_user_sgpr_kernarg_segment_ptr 1
		.amdhsa_user_sgpr_dispatch_id 0
		.amdhsa_user_sgpr_flat_scratch_init 0
		.amdhsa_user_sgpr_kernarg_preload_length 0
		.amdhsa_user_sgpr_kernarg_preload_offset 0
		.amdhsa_user_sgpr_private_segment_size 0
		.amdhsa_uses_dynamic_stack 0
		.amdhsa_system_sgpr_private_segment_wavefront_offset 0
		.amdhsa_system_sgpr_workgroup_id_x 1
		.amdhsa_system_sgpr_workgroup_id_y 0
		.amdhsa_system_sgpr_workgroup_id_z 0
		.amdhsa_system_sgpr_workgroup_info 0
		.amdhsa_system_vgpr_workitem_id 0
		.amdhsa_next_free_vgpr 52
		.amdhsa_next_free_sgpr 30
		.amdhsa_accum_offset 52
		.amdhsa_reserve_vcc 1
		.amdhsa_reserve_flat_scratch 0
		.amdhsa_float_round_mode_32 0
		.amdhsa_float_round_mode_16_64 0
		.amdhsa_float_denorm_mode_32 3
		.amdhsa_float_denorm_mode_16_64 3
		.amdhsa_dx10_clamp 1
		.amdhsa_ieee_mode 1
		.amdhsa_fp16_overflow 0
		.amdhsa_tg_split 0
		.amdhsa_exception_fp_ieee_invalid_op 0
		.amdhsa_exception_fp_denorm_src 0
		.amdhsa_exception_fp_ieee_div_zero 0
		.amdhsa_exception_fp_ieee_overflow 0
		.amdhsa_exception_fp_ieee_underflow 0
		.amdhsa_exception_fp_ieee_inexact 0
		.amdhsa_exception_int_div_zero 0
	.end_amdhsa_kernel
	.section	.text._ZN5aiter43moe_smooth_per_token_scaled_quant_kernel_v1ItDB8_Li512ELi16ELb1ELb1ELi1024EEEvPT0_PfPT_S4_PiS7_iiiii,"axG",@progbits,_ZN5aiter43moe_smooth_per_token_scaled_quant_kernel_v1ItDB8_Li512ELi16ELb1ELb1ELi1024EEEvPT0_PfPT_S4_PiS7_iiiii,comdat
.Lfunc_end171:
	.size	_ZN5aiter43moe_smooth_per_token_scaled_quant_kernel_v1ItDB8_Li512ELi16ELb1ELb1ELi1024EEEvPT0_PfPT_S4_PiS7_iiiii, .Lfunc_end171-_ZN5aiter43moe_smooth_per_token_scaled_quant_kernel_v1ItDB8_Li512ELi16ELb1ELb1ELi1024EEEvPT0_PfPT_S4_PiS7_iiiii
                                        ; -- End function
	.section	.AMDGPU.csdata,"",@progbits
; Kernel info:
; codeLenInByte = 1560
; NumSgprs: 34
; NumVgprs: 52
; NumAgprs: 0
; TotalNumVgprs: 52
; ScratchSize: 0
; MemoryBound: 0
; FloatMode: 240
; IeeeMode: 1
; LDSByteSize: 4128 bytes/workgroup (compile time only)
; SGPRBlocks: 4
; VGPRBlocks: 6
; NumSGPRsForWavesPerEU: 34
; NumVGPRsForWavesPerEU: 52
; AccumOffset: 52
; Occupancy: 8
; WaveLimiterHint : 0
; COMPUTE_PGM_RSRC2:SCRATCH_EN: 0
; COMPUTE_PGM_RSRC2:USER_SGPR: 6
; COMPUTE_PGM_RSRC2:TRAP_HANDLER: 0
; COMPUTE_PGM_RSRC2:TGID_X_EN: 1
; COMPUTE_PGM_RSRC2:TGID_Y_EN: 0
; COMPUTE_PGM_RSRC2:TGID_Z_EN: 0
; COMPUTE_PGM_RSRC2:TIDIG_COMP_CNT: 0
; COMPUTE_PGM_RSRC3_GFX90A:ACCUM_OFFSET: 12
; COMPUTE_PGM_RSRC3_GFX90A:TG_SPLIT: 0
	.section	.text._ZN5aiter43moe_smooth_per_token_scaled_quant_kernel_v1IDF16_DB8_Li512ELi16ELb1ELb0ELi1024EEEvPT0_PfPT_S4_PiS7_iiiii,"axG",@progbits,_ZN5aiter43moe_smooth_per_token_scaled_quant_kernel_v1IDF16_DB8_Li512ELi16ELb1ELb0ELi1024EEEvPT0_PfPT_S4_PiS7_iiiii,comdat
	.protected	_ZN5aiter43moe_smooth_per_token_scaled_quant_kernel_v1IDF16_DB8_Li512ELi16ELb1ELb0ELi1024EEEvPT0_PfPT_S4_PiS7_iiiii ; -- Begin function _ZN5aiter43moe_smooth_per_token_scaled_quant_kernel_v1IDF16_DB8_Li512ELi16ELb1ELb0ELi1024EEEvPT0_PfPT_S4_PiS7_iiiii
	.globl	_ZN5aiter43moe_smooth_per_token_scaled_quant_kernel_v1IDF16_DB8_Li512ELi16ELb1ELb0ELi1024EEEvPT0_PfPT_S4_PiS7_iiiii
	.p2align	8
	.type	_ZN5aiter43moe_smooth_per_token_scaled_quant_kernel_v1IDF16_DB8_Li512ELi16ELb1ELb0ELi1024EEEvPT0_PfPT_S4_PiS7_iiiii,@function
_ZN5aiter43moe_smooth_per_token_scaled_quant_kernel_v1IDF16_DB8_Li512ELi16ELb1ELb0ELi1024EEEvPT0_PfPT_S4_PiS7_iiiii: ; @_ZN5aiter43moe_smooth_per_token_scaled_quant_kernel_v1IDF16_DB8_Li512ELi16ELb1ELb0ELi1024EEEvPT0_PfPT_S4_PiS7_iiiii
; %bb.0:
	s_load_dwordx4 s[8:11], s[4:5], 0x30
	s_load_dwordx2 s[0:1], s[4:5], 0x10
	s_load_dwordx2 s[2:3], s[4:5], 0x20
	v_and_b32_e32 v1, 63, v0
	s_mov_b32 s15, 0x20000
	s_waitcnt lgkmcnt(0)
	s_mul_i32 s12, s6, s9
	s_ashr_i32 s13, s12, 31
	s_lshl_b64 s[12:13], s[12:13], 2
	s_add_u32 s12, s2, s12
	s_addc_u32 s2, s3, s13
	s_and_b32 s13, s2, 0xffff
	s_mul_hi_i32 s3, s11, s6
	s_mul_i32 s2, s11, s6
	s_lshl_b32 s14, s9, 2
	v_lshlrev_b32_e32 v2, 2, v1
	s_lshl_b64 s[2:3], s[2:3], 1
	buffer_load_dword v32, v2, s[12:15], 0 offen
	s_add_u32 s12, s0, s2
	s_addc_u32 s0, s1, s3
	s_lshl_b32 s14, s10, 1
	s_and_b32 s13, s0, 0xffff
	v_lshlrev_b32_e32 v10, 5, v0
	buffer_load_dwordx4 v[6:9], v10, s[12:15], 0 offen
	buffer_load_dwordx4 v[2:5], v10, s[12:15], 16 offen
	s_mov_b32 s11, 0
	s_cmp_lt_i32 s9, 1
	s_waitcnt vmcnt(2)
	s_barrier
	s_cbranch_scc1 .LBB172_11
; %bb.1:
	s_add_i32 s2, s10, 15
	s_load_dwordx4 s[16:19], s[4:5], 0x0
	s_load_dwordx2 s[24:25], s[4:5], 0x18
	s_ashr_i32 s3, s2, 31
	s_add_i32 s4, s10, 3
	s_waitcnt vmcnt(1)
	v_cvt_f32_f16_sdwa v11, v6 dst_sel:DWORD dst_unused:UNUSED_PAD src0_sel:WORD_1
	v_cvt_f32_f16_e32 v10, v6
	v_cvt_f32_f16_sdwa v13, v7 dst_sel:DWORD dst_unused:UNUSED_PAD src0_sel:WORD_1
	v_cvt_f32_f16_e32 v12, v7
	;; [unrolled: 2-line block ×4, first 2 shown]
	s_waitcnt vmcnt(0)
	v_cvt_f32_f16_sdwa v9, v2 dst_sel:DWORD dst_unused:UNUSED_PAD src0_sel:WORD_1
	v_cvt_f32_f16_e32 v8, v2
	v_cvt_f32_f16_sdwa v17, v3 dst_sel:DWORD dst_unused:UNUSED_PAD src0_sel:WORD_1
	v_cvt_f32_f16_e32 v16, v3
	;; [unrolled: 2-line block ×4, first 2 shown]
	s_lshr_b32 s3, s3, 28
	s_ashr_i32 s5, s4, 31
	v_cmp_eq_u32_e32 vcc, 63, v1
	v_lshrrev_b32_e32 v1, 4, v0
	s_add_i32 s2, s2, s3
	s_lshr_b32 s5, s5, 30
	v_and_b32_e32 v35, 60, v1
	v_and_b32_e32 v1, 7, v0
	s_ashr_i32 s2, s2, 4
	s_add_i32 s4, s4, s5
	v_lshlrev_b32_e32 v33, 4, v0
	s_lshl_b32 s14, s10, 2
	v_lshlrev_b32_e32 v34, 6, v0
	v_lshlrev_b32_e32 v36, 2, v1
	v_cmp_eq_u32_e64 s[0:1], 0, v0
	v_cmp_gt_u32_e64 s[2:3], s2, v0
	s_and_b32 s22, s4, -4
	s_mov_b32 s26, 0x2edbe6ff
	v_mov_b32_e32 v37, 0
	v_mov_b32_e32 v38, 0xc3e00000
	;; [unrolled: 1-line block ×3, first 2 shown]
	s_mov_b32 s27, 0x5040100
	s_mov_b32 s28, 0x1060504
	;; [unrolled: 1-line block ×3, first 2 shown]
	s_branch .LBB172_4
.LBB172_2:                              ;   in Loop: Header=BB172_4 Depth=1
	s_or_b64 exec, exec, s[4:5]
.LBB172_3:                              ;   in Loop: Header=BB172_4 Depth=1
	s_add_i32 s11, s11, 1
	s_add_i32 s6, s6, s8
	s_cmp_eq_u32 s9, s11
	s_cbranch_scc1 .LBB172_11
.LBB172_4:                              ; =>This Inner Loop Header: Depth=1
	v_readlane_b32 s4, v32, s11
	s_cmp_lt_i32 s4, 0
	s_cbranch_scc1 .LBB172_3
; %bb.5:                                ;   in Loop: Header=BB172_4 Depth=1
	s_mul_i32 s4, s4, s10
	s_ashr_i32 s5, s4, 31
	s_lshl_b64 s[4:5], s[4:5], 2
	s_waitcnt lgkmcnt(0)
	s_add_u32 s12, s24, s4
	s_addc_u32 s4, s25, s5
	s_and_b32 s13, s4, 0xffff
	buffer_load_dwordx4 v[20:23], v34, s[12:15], 0 offen
	buffer_load_dwordx4 v[40:43], v34, s[12:15], 16 offen
	;; [unrolled: 1-line block ×4, first 2 shown]
	s_waitcnt vmcnt(3)
	v_pk_mul_f32 v[30:31], v[20:21], v[10:11]
	v_pk_mul_f32 v[28:29], v[22:23], v[12:13]
	s_waitcnt vmcnt(2)
	v_pk_mul_f32 v[26:27], v[40:41], v[6:7]
	v_max3_f32 v40, |v30|, s26, |v31|
	v_max3_f32 v40, v40, |v28|, |v29|
	v_pk_mul_f32 v[24:25], v[42:43], v[14:15]
	v_max3_f32 v40, v40, |v26|, |v27|
	s_waitcnt vmcnt(1)
	v_pk_mul_f32 v[22:23], v[44:45], v[8:9]
	v_max3_f32 v40, v40, |v24|, |v25|
	v_pk_mul_f32 v[20:21], v[46:47], v[16:17]
	v_max3_f32 v40, v40, |v22|, |v23|
	s_waitcnt vmcnt(0)
	v_pk_mul_f32 v[4:5], v[48:49], v[2:3]
	v_max3_f32 v40, v40, |v20|, |v21|
	v_pk_mul_f32 v[0:1], v[50:51], v[18:19]
	v_max3_f32 v40, v40, |v4|, |v5|
	v_max3_f32 v40, v40, |v0|, |v1|
	s_nop 1
	v_mov_b32_dpp v41, v40 quad_perm:[1,0,3,2] row_mask:0xf bank_mask:0xf
	v_cmp_gt_f32_e64 s[4:5], v40, v41
	v_cndmask_b32_e64 v40, v41, v40, s[4:5]
	s_nop 1
	v_mov_b32_dpp v41, v40 quad_perm:[2,3,0,1] row_mask:0xf bank_mask:0xf
	v_cmp_gt_f32_e64 s[4:5], v40, v41
	v_cndmask_b32_e64 v40, v41, v40, s[4:5]
	s_nop 1
	v_mov_b32_dpp v41, v40 row_half_mirror row_mask:0xf bank_mask:0xf
	v_cmp_gt_f32_e64 s[4:5], v40, v41
	v_cndmask_b32_e64 v40, v41, v40, s[4:5]
	s_nop 1
	v_mov_b32_dpp v41, v40 row_mirror row_mask:0xf bank_mask:0xf
	v_cmp_gt_f32_e64 s[4:5], v40, v41
	v_cndmask_b32_e64 v40, v41, v40, s[4:5]
	s_nop 1
	v_mov_b32_dpp v41, v40 row_bcast:15 row_mask:0xf bank_mask:0xf
	v_cmp_gt_f32_e64 s[4:5], v40, v41
	v_cndmask_b32_e64 v40, v41, v40, s[4:5]
	s_nop 1
	v_mov_b32_dpp v41, v40 row_bcast:31 row_mask:0xf bank_mask:0xf
	s_and_saveexec_b64 s[12:13], vcc
	s_cbranch_execz .LBB172_7
; %bb.6:                                ;   in Loop: Header=BB172_4 Depth=1
	v_cmp_gt_f32_e64 s[4:5], v40, v41
	v_cndmask_b32_e64 v40, v41, v40, s[4:5]
	ds_write_b32 v35, v40
.LBB172_7:                              ;   in Loop: Header=BB172_4 Depth=1
	s_or_b64 exec, exec, s[12:13]
	s_waitcnt lgkmcnt(0)
	s_barrier
	ds_read_b32 v40, v36
	s_waitcnt lgkmcnt(0)
	s_nop 0
	v_mov_b32_dpp v41, v40 quad_perm:[1,0,3,2] row_mask:0xf bank_mask:0xf
	v_cmp_gt_f32_e64 s[4:5], v40, v41
	v_cndmask_b32_e64 v40, v41, v40, s[4:5]
	s_nop 1
	v_mov_b32_dpp v41, v40 quad_perm:[2,3,0,1] row_mask:0xf bank_mask:0xf
	v_cmp_gt_f32_e64 s[4:5], v40, v41
	v_cndmask_b32_e64 v40, v41, v40, s[4:5]
	s_nop 1
	v_mov_b32_dpp v41, v40 row_half_mirror row_mask:0xf bank_mask:0xf
	v_cmp_gt_f32_e64 s[4:5], v40, v41
	v_cndmask_b32_e64 v40, v41, v40, s[4:5]
	v_mul_f32_e32 v40, 0x3b124925, v40
	s_and_saveexec_b64 s[4:5], s[0:1]
	s_cbranch_execz .LBB172_9
; %bb.8:                                ;   in Loop: Header=BB172_4 Depth=1
	s_ashr_i32 s7, s6, 31
	s_lshl_b64 s[12:13], s[6:7], 2
	s_add_u32 s12, s18, s12
	s_addc_u32 s13, s19, s13
	global_store_dword v37, v40, s[12:13]
.LBB172_9:                              ;   in Loop: Header=BB172_4 Depth=1
	s_or_b64 exec, exec, s[4:5]
	s_and_saveexec_b64 s[4:5], s[2:3]
	s_cbranch_execz .LBB172_2
; %bb.10:                               ;   in Loop: Header=BB172_4 Depth=1
	v_rcp_f32_e32 v40, v40
	s_mul_i32 s12, s6, s10
	s_mul_hi_i32 s7, s6, s10
	s_add_u32 s20, s16, s12
	v_mov_b32_e32 v41, v40
	;;#ASMSTART
	v_pk_mul_f32 v[30:31], v[30:31], v[40:41]
	;;#ASMEND
	;;#ASMSTART
	v_med3_f32 v30, v30, v38, v39
v_med3_f32 v31, v31, v38, v39
v_cvt_pk_fp8_f32 v42, v30, v31
	;;#ASMEND
	;;#ASMSTART
	v_pk_mul_f32 v[28:29], v[28:29], v[40:41]
	;;#ASMEND
	;;#ASMSTART
	v_med3_f32 v28, v28, v38, v39
v_med3_f32 v29, v29, v38, v39
v_cvt_pk_fp8_f32 v30, v28, v29
	;;#ASMEND
	;; [unrolled: 8-line block ×6, first 2 shown]
	;;#ASMSTART
	v_pk_mul_f32 v[4:5], v[4:5], v[40:41]
	;;#ASMEND
	s_addc_u32 s7, s17, s7
	v_perm_b32 v28, v30, v42, s27
	;;#ASMSTART
	v_med3_f32 v4, v4, v38, v39
v_med3_f32 v5, v5, v38, v39
v_cvt_pk_fp8_f32 v20, v4, v5
	;;#ASMEND
	;;#ASMSTART
	v_pk_mul_f32 v[0:1], v[0:1], v[40:41]
	;;#ASMEND
	s_and_b32 s21, s7, 0xffff
	s_mov_b32 s23, s15
	v_perm_b32 v28, v28, v30, s28
	v_perm_b32 v29, v29, v26, s29
	;; [unrolled: 1-line block ×3, first 2 shown]
	;;#ASMSTART
	v_med3_f32 v0, v0, v38, v39
v_med3_f32 v1, v1, v38, v39
v_cvt_pk_fp8_f32 v4, v0, v1
	;;#ASMEND
	v_perm_b32 v31, v20, v4, s29
	buffer_store_dwordx4 v[28:31], v33, s[20:23], 0 offen
	;;#ASMSTART
	s_nop 0
	;;#ASMEND
	s_branch .LBB172_2
.LBB172_11:
	s_endpgm
	.section	.rodata,"a",@progbits
	.p2align	6, 0x0
	.amdhsa_kernel _ZN5aiter43moe_smooth_per_token_scaled_quant_kernel_v1IDF16_DB8_Li512ELi16ELb1ELb0ELi1024EEEvPT0_PfPT_S4_PiS7_iiiii
		.amdhsa_group_segment_fixed_size 32
		.amdhsa_private_segment_fixed_size 0
		.amdhsa_kernarg_size 68
		.amdhsa_user_sgpr_count 6
		.amdhsa_user_sgpr_private_segment_buffer 1
		.amdhsa_user_sgpr_dispatch_ptr 0
		.amdhsa_user_sgpr_queue_ptr 0
		.amdhsa_user_sgpr_kernarg_segment_ptr 1
		.amdhsa_user_sgpr_dispatch_id 0
		.amdhsa_user_sgpr_flat_scratch_init 0
		.amdhsa_user_sgpr_kernarg_preload_length 0
		.amdhsa_user_sgpr_kernarg_preload_offset 0
		.amdhsa_user_sgpr_private_segment_size 0
		.amdhsa_uses_dynamic_stack 0
		.amdhsa_system_sgpr_private_segment_wavefront_offset 0
		.amdhsa_system_sgpr_workgroup_id_x 1
		.amdhsa_system_sgpr_workgroup_id_y 0
		.amdhsa_system_sgpr_workgroup_id_z 0
		.amdhsa_system_sgpr_workgroup_info 0
		.amdhsa_system_vgpr_workitem_id 0
		.amdhsa_next_free_vgpr 52
		.amdhsa_next_free_sgpr 30
		.amdhsa_accum_offset 52
		.amdhsa_reserve_vcc 1
		.amdhsa_reserve_flat_scratch 0
		.amdhsa_float_round_mode_32 0
		.amdhsa_float_round_mode_16_64 0
		.amdhsa_float_denorm_mode_32 3
		.amdhsa_float_denorm_mode_16_64 3
		.amdhsa_dx10_clamp 1
		.amdhsa_ieee_mode 1
		.amdhsa_fp16_overflow 0
		.amdhsa_tg_split 0
		.amdhsa_exception_fp_ieee_invalid_op 0
		.amdhsa_exception_fp_denorm_src 0
		.amdhsa_exception_fp_ieee_div_zero 0
		.amdhsa_exception_fp_ieee_overflow 0
		.amdhsa_exception_fp_ieee_underflow 0
		.amdhsa_exception_fp_ieee_inexact 0
		.amdhsa_exception_int_div_zero 0
	.end_amdhsa_kernel
	.section	.text._ZN5aiter43moe_smooth_per_token_scaled_quant_kernel_v1IDF16_DB8_Li512ELi16ELb1ELb0ELi1024EEEvPT0_PfPT_S4_PiS7_iiiii,"axG",@progbits,_ZN5aiter43moe_smooth_per_token_scaled_quant_kernel_v1IDF16_DB8_Li512ELi16ELb1ELb0ELi1024EEEvPT0_PfPT_S4_PiS7_iiiii,comdat
.Lfunc_end172:
	.size	_ZN5aiter43moe_smooth_per_token_scaled_quant_kernel_v1IDF16_DB8_Li512ELi16ELb1ELb0ELi1024EEEvPT0_PfPT_S4_PiS7_iiiii, .Lfunc_end172-_ZN5aiter43moe_smooth_per_token_scaled_quant_kernel_v1IDF16_DB8_Li512ELi16ELb1ELb0ELi1024EEEvPT0_PfPT_S4_PiS7_iiiii
                                        ; -- End function
	.section	.AMDGPU.csdata,"",@progbits
; Kernel info:
; codeLenInByte = 1364
; NumSgprs: 34
; NumVgprs: 52
; NumAgprs: 0
; TotalNumVgprs: 52
; ScratchSize: 0
; MemoryBound: 0
; FloatMode: 240
; IeeeMode: 1
; LDSByteSize: 32 bytes/workgroup (compile time only)
; SGPRBlocks: 4
; VGPRBlocks: 6
; NumSGPRsForWavesPerEU: 34
; NumVGPRsForWavesPerEU: 52
; AccumOffset: 52
; Occupancy: 8
; WaveLimiterHint : 0
; COMPUTE_PGM_RSRC2:SCRATCH_EN: 0
; COMPUTE_PGM_RSRC2:USER_SGPR: 6
; COMPUTE_PGM_RSRC2:TRAP_HANDLER: 0
; COMPUTE_PGM_RSRC2:TGID_X_EN: 1
; COMPUTE_PGM_RSRC2:TGID_Y_EN: 0
; COMPUTE_PGM_RSRC2:TGID_Z_EN: 0
; COMPUTE_PGM_RSRC2:TIDIG_COMP_CNT: 0
; COMPUTE_PGM_RSRC3_GFX90A:ACCUM_OFFSET: 12
; COMPUTE_PGM_RSRC3_GFX90A:TG_SPLIT: 0
	.section	.text._ZN5aiter43moe_smooth_per_token_scaled_quant_kernel_v1ItDB8_Li512ELi16ELb1ELb0ELi1024EEEvPT0_PfPT_S4_PiS7_iiiii,"axG",@progbits,_ZN5aiter43moe_smooth_per_token_scaled_quant_kernel_v1ItDB8_Li512ELi16ELb1ELb0ELi1024EEEvPT0_PfPT_S4_PiS7_iiiii,comdat
	.protected	_ZN5aiter43moe_smooth_per_token_scaled_quant_kernel_v1ItDB8_Li512ELi16ELb1ELb0ELi1024EEEvPT0_PfPT_S4_PiS7_iiiii ; -- Begin function _ZN5aiter43moe_smooth_per_token_scaled_quant_kernel_v1ItDB8_Li512ELi16ELb1ELb0ELi1024EEEvPT0_PfPT_S4_PiS7_iiiii
	.globl	_ZN5aiter43moe_smooth_per_token_scaled_quant_kernel_v1ItDB8_Li512ELi16ELb1ELb0ELi1024EEEvPT0_PfPT_S4_PiS7_iiiii
	.p2align	8
	.type	_ZN5aiter43moe_smooth_per_token_scaled_quant_kernel_v1ItDB8_Li512ELi16ELb1ELb0ELi1024EEEvPT0_PfPT_S4_PiS7_iiiii,@function
_ZN5aiter43moe_smooth_per_token_scaled_quant_kernel_v1ItDB8_Li512ELi16ELb1ELb0ELi1024EEEvPT0_PfPT_S4_PiS7_iiiii: ; @_ZN5aiter43moe_smooth_per_token_scaled_quant_kernel_v1ItDB8_Li512ELi16ELb1ELb0ELi1024EEEvPT0_PfPT_S4_PiS7_iiiii
; %bb.0:
	s_load_dwordx4 s[8:11], s[4:5], 0x30
	s_load_dwordx2 s[0:1], s[4:5], 0x10
	s_load_dwordx2 s[2:3], s[4:5], 0x20
	v_and_b32_e32 v1, 63, v0
	s_mov_b32 s15, 0x20000
	s_waitcnt lgkmcnt(0)
	s_mul_i32 s12, s6, s9
	s_ashr_i32 s13, s12, 31
	s_lshl_b64 s[12:13], s[12:13], 2
	s_add_u32 s12, s2, s12
	s_addc_u32 s2, s3, s13
	s_and_b32 s13, s2, 0xffff
	s_mul_hi_i32 s3, s11, s6
	s_mul_i32 s2, s11, s6
	s_lshl_b32 s14, s9, 2
	v_lshlrev_b32_e32 v2, 2, v1
	s_lshl_b64 s[2:3], s[2:3], 1
	buffer_load_dword v32, v2, s[12:15], 0 offen
	s_add_u32 s12, s0, s2
	s_addc_u32 s0, s1, s3
	s_lshl_b32 s14, s10, 1
	s_and_b32 s13, s0, 0xffff
	v_lshlrev_b32_e32 v10, 5, v0
	buffer_load_dwordx4 v[6:9], v10, s[12:15], 0 offen
	buffer_load_dwordx4 v[2:5], v10, s[12:15], 16 offen
	s_mov_b32 s11, 0
	s_cmp_lt_i32 s9, 1
	s_waitcnt vmcnt(2)
	s_barrier
	s_cbranch_scc1 .LBB173_11
; %bb.1:
	s_add_i32 s2, s10, 15
	s_load_dwordx4 s[16:19], s[4:5], 0x0
	s_load_dwordx2 s[24:25], s[4:5], 0x18
	s_ashr_i32 s3, s2, 31
	s_add_i32 s4, s10, 3
	s_waitcnt vmcnt(1)
	v_cvt_f32_u32_sdwa v11, v6 dst_sel:DWORD dst_unused:UNUSED_PAD src0_sel:WORD_1
	v_cvt_f32_u32_sdwa v10, v6 dst_sel:DWORD dst_unused:UNUSED_PAD src0_sel:WORD_0
	v_cvt_f32_u32_sdwa v13, v7 dst_sel:DWORD dst_unused:UNUSED_PAD src0_sel:WORD_1
	v_cvt_f32_u32_sdwa v12, v7 dst_sel:DWORD dst_unused:UNUSED_PAD src0_sel:WORD_0
	;; [unrolled: 2-line block ×4, first 2 shown]
	s_waitcnt vmcnt(0)
	v_cvt_f32_u32_sdwa v9, v2 dst_sel:DWORD dst_unused:UNUSED_PAD src0_sel:WORD_1
	v_cvt_f32_u32_sdwa v8, v2 dst_sel:DWORD dst_unused:UNUSED_PAD src0_sel:WORD_0
	v_cvt_f32_u32_sdwa v17, v3 dst_sel:DWORD dst_unused:UNUSED_PAD src0_sel:WORD_1
	v_cvt_f32_u32_sdwa v16, v3 dst_sel:DWORD dst_unused:UNUSED_PAD src0_sel:WORD_0
	;; [unrolled: 2-line block ×4, first 2 shown]
	s_lshr_b32 s3, s3, 28
	s_ashr_i32 s5, s4, 31
	v_cmp_eq_u32_e32 vcc, 63, v1
	v_lshrrev_b32_e32 v1, 4, v0
	s_add_i32 s2, s2, s3
	s_lshr_b32 s5, s5, 30
	v_and_b32_e32 v35, 60, v1
	v_and_b32_e32 v1, 7, v0
	s_ashr_i32 s2, s2, 4
	s_add_i32 s4, s4, s5
	v_lshlrev_b32_e32 v33, 4, v0
	s_lshl_b32 s14, s10, 2
	v_lshlrev_b32_e32 v34, 6, v0
	v_lshlrev_b32_e32 v36, 2, v1
	v_cmp_eq_u32_e64 s[0:1], 0, v0
	v_cmp_gt_u32_e64 s[2:3], s2, v0
	s_and_b32 s22, s4, -4
	s_mov_b32 s26, 0x2edbe6ff
	v_mov_b32_e32 v37, 0
	v_mov_b32_e32 v38, 0xc3e00000
	;; [unrolled: 1-line block ×3, first 2 shown]
	s_mov_b32 s27, 0x5040100
	s_mov_b32 s28, 0x1060504
	s_mov_b32 s29, 0x1000504
	s_branch .LBB173_4
.LBB173_2:                              ;   in Loop: Header=BB173_4 Depth=1
	s_or_b64 exec, exec, s[4:5]
.LBB173_3:                              ;   in Loop: Header=BB173_4 Depth=1
	s_add_i32 s11, s11, 1
	s_add_i32 s6, s6, s8
	s_cmp_eq_u32 s9, s11
	s_cbranch_scc1 .LBB173_11
.LBB173_4:                              ; =>This Inner Loop Header: Depth=1
	v_readlane_b32 s4, v32, s11
	s_cmp_lt_i32 s4, 0
	s_cbranch_scc1 .LBB173_3
; %bb.5:                                ;   in Loop: Header=BB173_4 Depth=1
	s_mul_i32 s4, s4, s10
	s_ashr_i32 s5, s4, 31
	s_lshl_b64 s[4:5], s[4:5], 2
	s_waitcnt lgkmcnt(0)
	s_add_u32 s12, s24, s4
	s_addc_u32 s4, s25, s5
	s_and_b32 s13, s4, 0xffff
	buffer_load_dwordx4 v[20:23], v34, s[12:15], 0 offen
	buffer_load_dwordx4 v[40:43], v34, s[12:15], 16 offen
	;; [unrolled: 1-line block ×4, first 2 shown]
	s_waitcnt vmcnt(3)
	v_pk_mul_f32 v[30:31], v[20:21], v[10:11]
	v_pk_mul_f32 v[28:29], v[22:23], v[12:13]
	s_waitcnt vmcnt(2)
	v_pk_mul_f32 v[26:27], v[40:41], v[6:7]
	v_max3_f32 v40, |v30|, s26, |v31|
	v_max3_f32 v40, v40, |v28|, |v29|
	v_pk_mul_f32 v[24:25], v[42:43], v[14:15]
	v_max3_f32 v40, v40, |v26|, |v27|
	s_waitcnt vmcnt(1)
	v_pk_mul_f32 v[22:23], v[44:45], v[8:9]
	v_max3_f32 v40, v40, |v24|, |v25|
	v_pk_mul_f32 v[20:21], v[46:47], v[16:17]
	v_max3_f32 v40, v40, |v22|, |v23|
	s_waitcnt vmcnt(0)
	v_pk_mul_f32 v[4:5], v[48:49], v[2:3]
	v_max3_f32 v40, v40, |v20|, |v21|
	v_pk_mul_f32 v[0:1], v[50:51], v[18:19]
	v_max3_f32 v40, v40, |v4|, |v5|
	v_max3_f32 v40, v40, |v0|, |v1|
	s_nop 1
	v_mov_b32_dpp v41, v40 quad_perm:[1,0,3,2] row_mask:0xf bank_mask:0xf
	v_cmp_gt_f32_e64 s[4:5], v40, v41
	v_cndmask_b32_e64 v40, v41, v40, s[4:5]
	s_nop 1
	v_mov_b32_dpp v41, v40 quad_perm:[2,3,0,1] row_mask:0xf bank_mask:0xf
	v_cmp_gt_f32_e64 s[4:5], v40, v41
	v_cndmask_b32_e64 v40, v41, v40, s[4:5]
	s_nop 1
	v_mov_b32_dpp v41, v40 row_half_mirror row_mask:0xf bank_mask:0xf
	v_cmp_gt_f32_e64 s[4:5], v40, v41
	v_cndmask_b32_e64 v40, v41, v40, s[4:5]
	s_nop 1
	v_mov_b32_dpp v41, v40 row_mirror row_mask:0xf bank_mask:0xf
	v_cmp_gt_f32_e64 s[4:5], v40, v41
	v_cndmask_b32_e64 v40, v41, v40, s[4:5]
	s_nop 1
	v_mov_b32_dpp v41, v40 row_bcast:15 row_mask:0xf bank_mask:0xf
	v_cmp_gt_f32_e64 s[4:5], v40, v41
	v_cndmask_b32_e64 v40, v41, v40, s[4:5]
	s_nop 1
	v_mov_b32_dpp v41, v40 row_bcast:31 row_mask:0xf bank_mask:0xf
	s_and_saveexec_b64 s[12:13], vcc
	s_cbranch_execz .LBB173_7
; %bb.6:                                ;   in Loop: Header=BB173_4 Depth=1
	v_cmp_gt_f32_e64 s[4:5], v40, v41
	v_cndmask_b32_e64 v40, v41, v40, s[4:5]
	ds_write_b32 v35, v40
.LBB173_7:                              ;   in Loop: Header=BB173_4 Depth=1
	s_or_b64 exec, exec, s[12:13]
	s_waitcnt lgkmcnt(0)
	s_barrier
	ds_read_b32 v40, v36
	s_waitcnt lgkmcnt(0)
	s_nop 0
	v_mov_b32_dpp v41, v40 quad_perm:[1,0,3,2] row_mask:0xf bank_mask:0xf
	v_cmp_gt_f32_e64 s[4:5], v40, v41
	v_cndmask_b32_e64 v40, v41, v40, s[4:5]
	s_nop 1
	v_mov_b32_dpp v41, v40 quad_perm:[2,3,0,1] row_mask:0xf bank_mask:0xf
	v_cmp_gt_f32_e64 s[4:5], v40, v41
	v_cndmask_b32_e64 v40, v41, v40, s[4:5]
	s_nop 1
	v_mov_b32_dpp v41, v40 row_half_mirror row_mask:0xf bank_mask:0xf
	v_cmp_gt_f32_e64 s[4:5], v40, v41
	v_cndmask_b32_e64 v40, v41, v40, s[4:5]
	v_mul_f32_e32 v40, 0x3b124925, v40
	s_and_saveexec_b64 s[4:5], s[0:1]
	s_cbranch_execz .LBB173_9
; %bb.8:                                ;   in Loop: Header=BB173_4 Depth=1
	s_ashr_i32 s7, s6, 31
	s_lshl_b64 s[12:13], s[6:7], 2
	s_add_u32 s12, s18, s12
	s_addc_u32 s13, s19, s13
	global_store_dword v37, v40, s[12:13]
.LBB173_9:                              ;   in Loop: Header=BB173_4 Depth=1
	s_or_b64 exec, exec, s[4:5]
	s_and_saveexec_b64 s[4:5], s[2:3]
	s_cbranch_execz .LBB173_2
; %bb.10:                               ;   in Loop: Header=BB173_4 Depth=1
	v_rcp_f32_e32 v40, v40
	s_mul_i32 s12, s6, s10
	s_mul_hi_i32 s7, s6, s10
	s_add_u32 s20, s16, s12
	v_mov_b32_e32 v41, v40
	;;#ASMSTART
	v_pk_mul_f32 v[30:31], v[30:31], v[40:41]
	;;#ASMEND
	;;#ASMSTART
	v_med3_f32 v30, v30, v38, v39
v_med3_f32 v31, v31, v38, v39
v_cvt_pk_fp8_f32 v42, v30, v31
	;;#ASMEND
	;;#ASMSTART
	v_pk_mul_f32 v[28:29], v[28:29], v[40:41]
	;;#ASMEND
	;;#ASMSTART
	v_med3_f32 v28, v28, v38, v39
v_med3_f32 v29, v29, v38, v39
v_cvt_pk_fp8_f32 v30, v28, v29
	;;#ASMEND
	;; [unrolled: 8-line block ×6, first 2 shown]
	;;#ASMSTART
	v_pk_mul_f32 v[4:5], v[4:5], v[40:41]
	;;#ASMEND
	s_addc_u32 s7, s17, s7
	v_perm_b32 v28, v30, v42, s27
	;;#ASMSTART
	v_med3_f32 v4, v4, v38, v39
v_med3_f32 v5, v5, v38, v39
v_cvt_pk_fp8_f32 v20, v4, v5
	;;#ASMEND
	;;#ASMSTART
	v_pk_mul_f32 v[0:1], v[0:1], v[40:41]
	;;#ASMEND
	s_and_b32 s21, s7, 0xffff
	s_mov_b32 s23, s15
	v_perm_b32 v28, v28, v30, s28
	v_perm_b32 v29, v29, v26, s29
	;; [unrolled: 1-line block ×3, first 2 shown]
	;;#ASMSTART
	v_med3_f32 v0, v0, v38, v39
v_med3_f32 v1, v1, v38, v39
v_cvt_pk_fp8_f32 v4, v0, v1
	;;#ASMEND
	v_perm_b32 v31, v20, v4, s29
	buffer_store_dwordx4 v[28:31], v33, s[20:23], 0 offen
	;;#ASMSTART
	s_nop 0
	;;#ASMEND
	s_branch .LBB173_2
.LBB173_11:
	s_endpgm
	.section	.rodata,"a",@progbits
	.p2align	6, 0x0
	.amdhsa_kernel _ZN5aiter43moe_smooth_per_token_scaled_quant_kernel_v1ItDB8_Li512ELi16ELb1ELb0ELi1024EEEvPT0_PfPT_S4_PiS7_iiiii
		.amdhsa_group_segment_fixed_size 32
		.amdhsa_private_segment_fixed_size 0
		.amdhsa_kernarg_size 68
		.amdhsa_user_sgpr_count 6
		.amdhsa_user_sgpr_private_segment_buffer 1
		.amdhsa_user_sgpr_dispatch_ptr 0
		.amdhsa_user_sgpr_queue_ptr 0
		.amdhsa_user_sgpr_kernarg_segment_ptr 1
		.amdhsa_user_sgpr_dispatch_id 0
		.amdhsa_user_sgpr_flat_scratch_init 0
		.amdhsa_user_sgpr_kernarg_preload_length 0
		.amdhsa_user_sgpr_kernarg_preload_offset 0
		.amdhsa_user_sgpr_private_segment_size 0
		.amdhsa_uses_dynamic_stack 0
		.amdhsa_system_sgpr_private_segment_wavefront_offset 0
		.amdhsa_system_sgpr_workgroup_id_x 1
		.amdhsa_system_sgpr_workgroup_id_y 0
		.amdhsa_system_sgpr_workgroup_id_z 0
		.amdhsa_system_sgpr_workgroup_info 0
		.amdhsa_system_vgpr_workitem_id 0
		.amdhsa_next_free_vgpr 52
		.amdhsa_next_free_sgpr 30
		.amdhsa_accum_offset 52
		.amdhsa_reserve_vcc 1
		.amdhsa_reserve_flat_scratch 0
		.amdhsa_float_round_mode_32 0
		.amdhsa_float_round_mode_16_64 0
		.amdhsa_float_denorm_mode_32 3
		.amdhsa_float_denorm_mode_16_64 3
		.amdhsa_dx10_clamp 1
		.amdhsa_ieee_mode 1
		.amdhsa_fp16_overflow 0
		.amdhsa_tg_split 0
		.amdhsa_exception_fp_ieee_invalid_op 0
		.amdhsa_exception_fp_denorm_src 0
		.amdhsa_exception_fp_ieee_div_zero 0
		.amdhsa_exception_fp_ieee_overflow 0
		.amdhsa_exception_fp_ieee_underflow 0
		.amdhsa_exception_fp_ieee_inexact 0
		.amdhsa_exception_int_div_zero 0
	.end_amdhsa_kernel
	.section	.text._ZN5aiter43moe_smooth_per_token_scaled_quant_kernel_v1ItDB8_Li512ELi16ELb1ELb0ELi1024EEEvPT0_PfPT_S4_PiS7_iiiii,"axG",@progbits,_ZN5aiter43moe_smooth_per_token_scaled_quant_kernel_v1ItDB8_Li512ELi16ELb1ELb0ELi1024EEEvPT0_PfPT_S4_PiS7_iiiii,comdat
.Lfunc_end173:
	.size	_ZN5aiter43moe_smooth_per_token_scaled_quant_kernel_v1ItDB8_Li512ELi16ELb1ELb0ELi1024EEEvPT0_PfPT_S4_PiS7_iiiii, .Lfunc_end173-_ZN5aiter43moe_smooth_per_token_scaled_quant_kernel_v1ItDB8_Li512ELi16ELb1ELb0ELi1024EEEvPT0_PfPT_S4_PiS7_iiiii
                                        ; -- End function
	.section	.AMDGPU.csdata,"",@progbits
; Kernel info:
; codeLenInByte = 1396
; NumSgprs: 34
; NumVgprs: 52
; NumAgprs: 0
; TotalNumVgprs: 52
; ScratchSize: 0
; MemoryBound: 0
; FloatMode: 240
; IeeeMode: 1
; LDSByteSize: 32 bytes/workgroup (compile time only)
; SGPRBlocks: 4
; VGPRBlocks: 6
; NumSGPRsForWavesPerEU: 34
; NumVGPRsForWavesPerEU: 52
; AccumOffset: 52
; Occupancy: 8
; WaveLimiterHint : 0
; COMPUTE_PGM_RSRC2:SCRATCH_EN: 0
; COMPUTE_PGM_RSRC2:USER_SGPR: 6
; COMPUTE_PGM_RSRC2:TRAP_HANDLER: 0
; COMPUTE_PGM_RSRC2:TGID_X_EN: 1
; COMPUTE_PGM_RSRC2:TGID_Y_EN: 0
; COMPUTE_PGM_RSRC2:TGID_Z_EN: 0
; COMPUTE_PGM_RSRC2:TIDIG_COMP_CNT: 0
; COMPUTE_PGM_RSRC3_GFX90A:ACCUM_OFFSET: 12
; COMPUTE_PGM_RSRC3_GFX90A:TG_SPLIT: 0
	.section	.text._ZN5aiter43moe_smooth_per_token_scaled_quant_kernel_v1IDF16_DB8_Li512ELi16ELb0ELb1ELi1024EEEvPT0_PfPT_S4_PiS7_iiiii,"axG",@progbits,_ZN5aiter43moe_smooth_per_token_scaled_quant_kernel_v1IDF16_DB8_Li512ELi16ELb0ELb1ELi1024EEEvPT0_PfPT_S4_PiS7_iiiii,comdat
	.protected	_ZN5aiter43moe_smooth_per_token_scaled_quant_kernel_v1IDF16_DB8_Li512ELi16ELb0ELb1ELi1024EEEvPT0_PfPT_S4_PiS7_iiiii ; -- Begin function _ZN5aiter43moe_smooth_per_token_scaled_quant_kernel_v1IDF16_DB8_Li512ELi16ELb0ELb1ELi1024EEEvPT0_PfPT_S4_PiS7_iiiii
	.globl	_ZN5aiter43moe_smooth_per_token_scaled_quant_kernel_v1IDF16_DB8_Li512ELi16ELb0ELb1ELi1024EEEvPT0_PfPT_S4_PiS7_iiiii
	.p2align	8
	.type	_ZN5aiter43moe_smooth_per_token_scaled_quant_kernel_v1IDF16_DB8_Li512ELi16ELb0ELb1ELi1024EEEvPT0_PfPT_S4_PiS7_iiiii,@function
_ZN5aiter43moe_smooth_per_token_scaled_quant_kernel_v1IDF16_DB8_Li512ELi16ELb0ELb1ELi1024EEEvPT0_PfPT_S4_PiS7_iiiii: ; @_ZN5aiter43moe_smooth_per_token_scaled_quant_kernel_v1IDF16_DB8_Li512ELi16ELb0ELb1ELi1024EEEvPT0_PfPT_S4_PiS7_iiiii
; %bb.0:
	s_load_dwordx4 s[8:11], s[4:5], 0x34
	s_load_dwordx4 s[12:15], s[4:5], 0x20
	s_load_dwordx2 s[16:17], s[4:5], 0x10
	v_and_b32_e32 v1, 0x3c0, v0
	v_lshlrev_b32_e32 v1, 2, v1
	s_waitcnt lgkmcnt(0)
	s_mul_i32 s20, s6, s8
	s_lshl_b32 s2, s11, 2
	s_and_b32 s1, s15, 0xffff
	s_mov_b32 s3, 0x20000
	s_mov_b32 s0, s14
	v_lshlrev_b32_e32 v2, 2, v0
	v_readfirstlane_b32 s7, v1
	;;#ASMSTART
	s_mov_b32 m0 s7
	buffer_load_dword v2, s[0:3], 0 offen offset:0 lds
	
	;;#ASMEND
	v_add_u32_e32 v1, 0x800, v1
	s_ashr_i32 s21, s20, 31
	v_readfirstlane_b32 s7, v1
	v_add_u32_e32 v1, 0x800, v2
	;;#ASMSTART
	s_mov_b32 m0 s7
	buffer_load_dword v1, s[0:3], 0 offen offset:0 lds
	
	;;#ASMEND
	s_lshl_b64 s[0:1], s[20:21], 2
	s_add_u32 s0, s12, s0
	v_and_b32_e32 v1, 63, v0
	s_addc_u32 s1, s13, s1
	s_lshl_b32 s2, s8, 2
	s_and_b32 s1, s1, 0xffff
	v_lshlrev_b32_e32 v2, 2, v1
	buffer_load_dword v32, v2, s[0:3], 0 offen
	s_mul_hi_i32 s1, s10, s6
	s_mul_i32 s0, s10, s6
	s_lshl_b64 s[0:1], s[0:1], 1
	s_add_u32 s0, s16, s0
	s_addc_u32 s1, s17, s1
	s_lshl_b32 s2, s9, 1
	s_and_b32 s1, s1, 0xffff
	v_lshlrev_b32_e32 v10, 5, v0
	buffer_load_dwordx4 v[6:9], v10, s[0:3], 0 offen
	buffer_load_dwordx4 v[2:5], v10, s[0:3], 16 offen
	v_cmp_gt_i32_e32 vcc, s8, v1
	s_waitcnt vmcnt(2)
	s_barrier
	v_cmp_gt_i32_e64 s[2:3], s11, v32
	v_cmp_lt_i32_e64 s[0:1], -1, v32
	s_and_b64 s[2:3], vcc, s[2:3]
	s_and_b64 s[2:3], s[2:3], s[0:1]
	s_and_saveexec_b64 s[0:1], s[2:3]
	s_cbranch_execz .LBB174_2
; %bb.1:
	v_lshlrev_b32_e32 v10, 2, v32
	ds_read_b32 v32, v10
.LBB174_2:
	s_or_b64 exec, exec, s[0:1]
	s_cmp_lt_i32 s8, 1
	s_cbranch_scc1 .LBB174_13
; %bb.3:
	s_add_i32 s2, s9, 15
	s_load_dwordx4 s[12:15], s[4:5], 0x0
	s_load_dwordx2 s[10:11], s[4:5], 0x18
	s_ashr_i32 s3, s2, 31
	s_add_i32 s4, s9, 3
	s_waitcnt vmcnt(1)
	v_cvt_f32_f16_sdwa v11, v6 dst_sel:DWORD dst_unused:UNUSED_PAD src0_sel:WORD_1
	v_cvt_f32_f16_e32 v10, v6
	v_cvt_f32_f16_sdwa v13, v7 dst_sel:DWORD dst_unused:UNUSED_PAD src0_sel:WORD_1
	v_cvt_f32_f16_e32 v12, v7
	;; [unrolled: 2-line block ×4, first 2 shown]
	s_waitcnt vmcnt(0)
	v_cvt_f32_f16_sdwa v9, v2 dst_sel:DWORD dst_unused:UNUSED_PAD src0_sel:WORD_1
	v_cvt_f32_f16_e32 v8, v2
	v_cvt_f32_f16_sdwa v17, v3 dst_sel:DWORD dst_unused:UNUSED_PAD src0_sel:WORD_1
	v_cvt_f32_f16_e32 v16, v3
	;; [unrolled: 2-line block ×4, first 2 shown]
	s_lshr_b32 s3, s3, 28
	s_ashr_i32 s5, s4, 31
	v_cmp_eq_u32_e32 vcc, 63, v1
	v_lshrrev_b32_e32 v1, 4, v0
	v_mov_b32_e32 v4, 0x1000
	s_add_i32 s2, s2, s3
	s_lshr_b32 s5, s5, 30
	v_and_or_b32 v35, v1, 60, v4
	v_and_b32_e32 v1, 7, v0
	s_ashr_i32 s2, s2, 4
	s_add_i32 s4, s4, s5
	s_mov_b32 s21, s9
	v_lshlrev_b32_e32 v33, 4, v0
	s_lshl_b32 s6, s9, 2
	v_lshlrev_b32_e32 v34, 6, v0
	v_lshl_or_b32 v36, v1, 2, v4
	s_mov_b32 s22, 0
	v_cmp_eq_u32_e64 s[0:1], 0, v0
	v_cmp_gt_u32_e64 s[2:3], s2, v0
	s_and_b32 s18, s4, -4
	s_mov_b32 s7, 0x20000
	s_mov_b32 s9, 0x2edbe6ff
	v_mov_b32_e32 v37, 0
	v_mov_b32_e32 v38, 0xc3e00000
	;; [unrolled: 1-line block ×3, first 2 shown]
	s_mov_b32 s23, 0x5040100
	s_mov_b32 s24, 0x1060504
	s_mov_b32 s25, 0x1000504
	s_branch .LBB174_6
.LBB174_4:                              ;   in Loop: Header=BB174_6 Depth=1
	s_or_b64 exec, exec, s[4:5]
.LBB174_5:                              ;   in Loop: Header=BB174_6 Depth=1
	s_add_i32 s22, s22, 1
	s_cmp_eq_u32 s8, s22
	s_cbranch_scc1 .LBB174_13
.LBB174_6:                              ; =>This Inner Loop Header: Depth=1
	s_waitcnt lgkmcnt(0)
	v_readlane_b32 s4, v32, s22
	s_cmp_lt_i32 s4, 0
	s_cbranch_scc1 .LBB174_5
; %bb.7:                                ;   in Loop: Header=BB174_6 Depth=1
	s_mul_i32 s4, s4, s21
	s_ashr_i32 s5, s4, 31
	s_lshl_b64 s[4:5], s[4:5], 2
	s_add_u32 s4, s10, s4
	s_addc_u32 s5, s11, s5
	s_and_b32 s5, s5, 0xffff
	buffer_load_dwordx4 v[20:23], v34, s[4:7], 0 offen
	buffer_load_dwordx4 v[40:43], v34, s[4:7], 16 offen
	;; [unrolled: 1-line block ×4, first 2 shown]
	s_waitcnt vmcnt(3)
	v_pk_mul_f32 v[30:31], v[20:21], v[10:11]
	v_pk_mul_f32 v[28:29], v[22:23], v[12:13]
	s_waitcnt vmcnt(2)
	v_pk_mul_f32 v[26:27], v[40:41], v[6:7]
	v_max3_f32 v40, |v30|, s9, |v31|
	v_max3_f32 v40, v40, |v28|, |v29|
	v_pk_mul_f32 v[24:25], v[42:43], v[14:15]
	v_max3_f32 v40, v40, |v26|, |v27|
	s_waitcnt vmcnt(1)
	v_pk_mul_f32 v[22:23], v[44:45], v[8:9]
	v_max3_f32 v40, v40, |v24|, |v25|
	v_pk_mul_f32 v[20:21], v[46:47], v[16:17]
	v_max3_f32 v40, v40, |v22|, |v23|
	s_waitcnt vmcnt(0)
	v_pk_mul_f32 v[4:5], v[48:49], v[2:3]
	v_max3_f32 v40, v40, |v20|, |v21|
	v_pk_mul_f32 v[0:1], v[50:51], v[18:19]
	v_max3_f32 v40, v40, |v4|, |v5|
	v_max3_f32 v40, v40, |v0|, |v1|
	s_nop 1
	v_mov_b32_dpp v41, v40 quad_perm:[1,0,3,2] row_mask:0xf bank_mask:0xf
	v_cmp_gt_f32_e64 s[4:5], v40, v41
	v_cndmask_b32_e64 v40, v41, v40, s[4:5]
	s_nop 1
	v_mov_b32_dpp v41, v40 quad_perm:[2,3,0,1] row_mask:0xf bank_mask:0xf
	v_cmp_gt_f32_e64 s[4:5], v40, v41
	v_cndmask_b32_e64 v40, v41, v40, s[4:5]
	s_nop 1
	v_mov_b32_dpp v41, v40 row_half_mirror row_mask:0xf bank_mask:0xf
	v_cmp_gt_f32_e64 s[4:5], v40, v41
	v_cndmask_b32_e64 v40, v41, v40, s[4:5]
	s_nop 1
	v_mov_b32_dpp v41, v40 row_mirror row_mask:0xf bank_mask:0xf
	v_cmp_gt_f32_e64 s[4:5], v40, v41
	v_cndmask_b32_e64 v40, v41, v40, s[4:5]
	s_nop 1
	v_mov_b32_dpp v41, v40 row_bcast:15 row_mask:0xf bank_mask:0xf
	v_cmp_gt_f32_e64 s[4:5], v40, v41
	v_cndmask_b32_e64 v40, v41, v40, s[4:5]
	s_nop 1
	v_mov_b32_dpp v41, v40 row_bcast:31 row_mask:0xf bank_mask:0xf
	s_and_saveexec_b64 s[16:17], vcc
	s_cbranch_execz .LBB174_9
; %bb.8:                                ;   in Loop: Header=BB174_6 Depth=1
	v_cmp_gt_f32_e64 s[4:5], v40, v41
	v_cndmask_b32_e64 v40, v41, v40, s[4:5]
	ds_write_b32 v35, v40
.LBB174_9:                              ;   in Loop: Header=BB174_6 Depth=1
	s_or_b64 exec, exec, s[16:17]
	s_waitcnt lgkmcnt(0)
	s_barrier
	ds_read_b32 v40, v36
	s_add_i32 s16, s20, s22
	s_waitcnt lgkmcnt(0)
	v_mov_b32_dpp v41, v40 quad_perm:[1,0,3,2] row_mask:0xf bank_mask:0xf
	v_cmp_gt_f32_e64 s[4:5], v40, v41
	v_cndmask_b32_e64 v40, v41, v40, s[4:5]
	s_nop 1
	v_mov_b32_dpp v41, v40 quad_perm:[2,3,0,1] row_mask:0xf bank_mask:0xf
	v_cmp_gt_f32_e64 s[4:5], v40, v41
	v_cndmask_b32_e64 v40, v41, v40, s[4:5]
	s_nop 1
	v_mov_b32_dpp v41, v40 row_half_mirror row_mask:0xf bank_mask:0xf
	v_cmp_gt_f32_e64 s[4:5], v40, v41
	v_cndmask_b32_e64 v40, v41, v40, s[4:5]
	v_mul_f32_e32 v40, 0x3b124925, v40
	s_and_saveexec_b64 s[4:5], s[0:1]
	s_cbranch_execz .LBB174_11
; %bb.10:                               ;   in Loop: Header=BB174_6 Depth=1
	s_ashr_i32 s17, s16, 31
	s_lshl_b64 s[26:27], s[16:17], 2
	s_add_u32 s26, s14, s26
	s_addc_u32 s27, s15, s27
	global_store_dword v37, v40, s[26:27]
.LBB174_11:                             ;   in Loop: Header=BB174_6 Depth=1
	s_or_b64 exec, exec, s[4:5]
	s_and_saveexec_b64 s[4:5], s[2:3]
	s_cbranch_execz .LBB174_4
; %bb.12:                               ;   in Loop: Header=BB174_6 Depth=1
	v_rcp_f32_e32 v40, v40
	s_mul_hi_i32 s17, s16, s21
	s_mul_i32 s16, s16, s21
	s_add_u32 s16, s12, s16
	v_mov_b32_e32 v41, v40
	;;#ASMSTART
	v_pk_mul_f32 v[30:31], v[30:31], v[40:41]
	;;#ASMEND
	;;#ASMSTART
	v_med3_f32 v30, v30, v38, v39
v_med3_f32 v31, v31, v38, v39
v_cvt_pk_fp8_f32 v42, v30, v31
	;;#ASMEND
	;;#ASMSTART
	v_pk_mul_f32 v[28:29], v[28:29], v[40:41]
	;;#ASMEND
	;;#ASMSTART
	v_med3_f32 v28, v28, v38, v39
v_med3_f32 v29, v29, v38, v39
v_cvt_pk_fp8_f32 v30, v28, v29
	;;#ASMEND
	;; [unrolled: 8-line block ×6, first 2 shown]
	;;#ASMSTART
	v_pk_mul_f32 v[4:5], v[4:5], v[40:41]
	;;#ASMEND
	s_addc_u32 s17, s13, s17
	v_perm_b32 v28, v30, v42, s23
	;;#ASMSTART
	v_med3_f32 v4, v4, v38, v39
v_med3_f32 v5, v5, v38, v39
v_cvt_pk_fp8_f32 v20, v4, v5
	;;#ASMEND
	;;#ASMSTART
	v_pk_mul_f32 v[0:1], v[0:1], v[40:41]
	;;#ASMEND
	s_and_b32 s17, s17, 0xffff
	s_mov_b32 s19, s7
	v_perm_b32 v28, v28, v30, s24
	v_perm_b32 v29, v29, v26, s25
	;; [unrolled: 1-line block ×3, first 2 shown]
	;;#ASMSTART
	v_med3_f32 v0, v0, v38, v39
v_med3_f32 v1, v1, v38, v39
v_cvt_pk_fp8_f32 v4, v0, v1
	;;#ASMEND
	v_perm_b32 v31, v20, v4, s25
	buffer_store_dwordx4 v[28:31], v33, s[16:19], 0 offen
	;;#ASMSTART
	s_nop 0
	;;#ASMEND
	s_branch .LBB174_4
.LBB174_13:
	s_endpgm
	.section	.rodata,"a",@progbits
	.p2align	6, 0x0
	.amdhsa_kernel _ZN5aiter43moe_smooth_per_token_scaled_quant_kernel_v1IDF16_DB8_Li512ELi16ELb0ELb1ELi1024EEEvPT0_PfPT_S4_PiS7_iiiii
		.amdhsa_group_segment_fixed_size 4128
		.amdhsa_private_segment_fixed_size 0
		.amdhsa_kernarg_size 68
		.amdhsa_user_sgpr_count 6
		.amdhsa_user_sgpr_private_segment_buffer 1
		.amdhsa_user_sgpr_dispatch_ptr 0
		.amdhsa_user_sgpr_queue_ptr 0
		.amdhsa_user_sgpr_kernarg_segment_ptr 1
		.amdhsa_user_sgpr_dispatch_id 0
		.amdhsa_user_sgpr_flat_scratch_init 0
		.amdhsa_user_sgpr_kernarg_preload_length 0
		.amdhsa_user_sgpr_kernarg_preload_offset 0
		.amdhsa_user_sgpr_private_segment_size 0
		.amdhsa_uses_dynamic_stack 0
		.amdhsa_system_sgpr_private_segment_wavefront_offset 0
		.amdhsa_system_sgpr_workgroup_id_x 1
		.amdhsa_system_sgpr_workgroup_id_y 0
		.amdhsa_system_sgpr_workgroup_id_z 0
		.amdhsa_system_sgpr_workgroup_info 0
		.amdhsa_system_vgpr_workitem_id 0
		.amdhsa_next_free_vgpr 52
		.amdhsa_next_free_sgpr 28
		.amdhsa_accum_offset 52
		.amdhsa_reserve_vcc 1
		.amdhsa_reserve_flat_scratch 0
		.amdhsa_float_round_mode_32 0
		.amdhsa_float_round_mode_16_64 0
		.amdhsa_float_denorm_mode_32 3
		.amdhsa_float_denorm_mode_16_64 3
		.amdhsa_dx10_clamp 1
		.amdhsa_ieee_mode 1
		.amdhsa_fp16_overflow 0
		.amdhsa_tg_split 0
		.amdhsa_exception_fp_ieee_invalid_op 0
		.amdhsa_exception_fp_denorm_src 0
		.amdhsa_exception_fp_ieee_div_zero 0
		.amdhsa_exception_fp_ieee_overflow 0
		.amdhsa_exception_fp_ieee_underflow 0
		.amdhsa_exception_fp_ieee_inexact 0
		.amdhsa_exception_int_div_zero 0
	.end_amdhsa_kernel
	.section	.text._ZN5aiter43moe_smooth_per_token_scaled_quant_kernel_v1IDF16_DB8_Li512ELi16ELb0ELb1ELi1024EEEvPT0_PfPT_S4_PiS7_iiiii,"axG",@progbits,_ZN5aiter43moe_smooth_per_token_scaled_quant_kernel_v1IDF16_DB8_Li512ELi16ELb0ELb1ELi1024EEEvPT0_PfPT_S4_PiS7_iiiii,comdat
.Lfunc_end174:
	.size	_ZN5aiter43moe_smooth_per_token_scaled_quant_kernel_v1IDF16_DB8_Li512ELi16ELb0ELb1ELi1024EEEvPT0_PfPT_S4_PiS7_iiiii, .Lfunc_end174-_ZN5aiter43moe_smooth_per_token_scaled_quant_kernel_v1IDF16_DB8_Li512ELi16ELb0ELb1ELi1024EEEvPT0_PfPT_S4_PiS7_iiiii
                                        ; -- End function
	.section	.AMDGPU.csdata,"",@progbits
; Kernel info:
; codeLenInByte = 1528
; NumSgprs: 32
; NumVgprs: 52
; NumAgprs: 0
; TotalNumVgprs: 52
; ScratchSize: 0
; MemoryBound: 0
; FloatMode: 240
; IeeeMode: 1
; LDSByteSize: 4128 bytes/workgroup (compile time only)
; SGPRBlocks: 3
; VGPRBlocks: 6
; NumSGPRsForWavesPerEU: 32
; NumVGPRsForWavesPerEU: 52
; AccumOffset: 52
; Occupancy: 8
; WaveLimiterHint : 0
; COMPUTE_PGM_RSRC2:SCRATCH_EN: 0
; COMPUTE_PGM_RSRC2:USER_SGPR: 6
; COMPUTE_PGM_RSRC2:TRAP_HANDLER: 0
; COMPUTE_PGM_RSRC2:TGID_X_EN: 1
; COMPUTE_PGM_RSRC2:TGID_Y_EN: 0
; COMPUTE_PGM_RSRC2:TGID_Z_EN: 0
; COMPUTE_PGM_RSRC2:TIDIG_COMP_CNT: 0
; COMPUTE_PGM_RSRC3_GFX90A:ACCUM_OFFSET: 12
; COMPUTE_PGM_RSRC3_GFX90A:TG_SPLIT: 0
	.section	.text._ZN5aiter43moe_smooth_per_token_scaled_quant_kernel_v1ItDB8_Li512ELi16ELb0ELb1ELi1024EEEvPT0_PfPT_S4_PiS7_iiiii,"axG",@progbits,_ZN5aiter43moe_smooth_per_token_scaled_quant_kernel_v1ItDB8_Li512ELi16ELb0ELb1ELi1024EEEvPT0_PfPT_S4_PiS7_iiiii,comdat
	.protected	_ZN5aiter43moe_smooth_per_token_scaled_quant_kernel_v1ItDB8_Li512ELi16ELb0ELb1ELi1024EEEvPT0_PfPT_S4_PiS7_iiiii ; -- Begin function _ZN5aiter43moe_smooth_per_token_scaled_quant_kernel_v1ItDB8_Li512ELi16ELb0ELb1ELi1024EEEvPT0_PfPT_S4_PiS7_iiiii
	.globl	_ZN5aiter43moe_smooth_per_token_scaled_quant_kernel_v1ItDB8_Li512ELi16ELb0ELb1ELi1024EEEvPT0_PfPT_S4_PiS7_iiiii
	.p2align	8
	.type	_ZN5aiter43moe_smooth_per_token_scaled_quant_kernel_v1ItDB8_Li512ELi16ELb0ELb1ELi1024EEEvPT0_PfPT_S4_PiS7_iiiii,@function
_ZN5aiter43moe_smooth_per_token_scaled_quant_kernel_v1ItDB8_Li512ELi16ELb0ELb1ELi1024EEEvPT0_PfPT_S4_PiS7_iiiii: ; @_ZN5aiter43moe_smooth_per_token_scaled_quant_kernel_v1ItDB8_Li512ELi16ELb0ELb1ELi1024EEEvPT0_PfPT_S4_PiS7_iiiii
; %bb.0:
	s_load_dwordx4 s[8:11], s[4:5], 0x34
	s_load_dwordx4 s[12:15], s[4:5], 0x20
	s_load_dwordx2 s[16:17], s[4:5], 0x10
	v_and_b32_e32 v1, 0x3c0, v0
	v_lshlrev_b32_e32 v1, 2, v1
	s_waitcnt lgkmcnt(0)
	s_mul_i32 s20, s6, s8
	s_lshl_b32 s2, s11, 2
	s_and_b32 s1, s15, 0xffff
	s_mov_b32 s3, 0x20000
	s_mov_b32 s0, s14
	v_lshlrev_b32_e32 v2, 2, v0
	v_readfirstlane_b32 s7, v1
	;;#ASMSTART
	s_mov_b32 m0 s7
	buffer_load_dword v2, s[0:3], 0 offen offset:0 lds
	
	;;#ASMEND
	v_add_u32_e32 v1, 0x800, v1
	s_ashr_i32 s21, s20, 31
	v_readfirstlane_b32 s7, v1
	v_add_u32_e32 v1, 0x800, v2
	;;#ASMSTART
	s_mov_b32 m0 s7
	buffer_load_dword v1, s[0:3], 0 offen offset:0 lds
	
	;;#ASMEND
	s_lshl_b64 s[0:1], s[20:21], 2
	s_add_u32 s0, s12, s0
	v_and_b32_e32 v1, 63, v0
	s_addc_u32 s1, s13, s1
	s_lshl_b32 s2, s8, 2
	s_and_b32 s1, s1, 0xffff
	v_lshlrev_b32_e32 v2, 2, v1
	buffer_load_dword v32, v2, s[0:3], 0 offen
	s_mul_hi_i32 s1, s10, s6
	s_mul_i32 s0, s10, s6
	s_lshl_b64 s[0:1], s[0:1], 1
	s_add_u32 s0, s16, s0
	s_addc_u32 s1, s17, s1
	s_lshl_b32 s2, s9, 1
	s_and_b32 s1, s1, 0xffff
	v_lshlrev_b32_e32 v10, 5, v0
	buffer_load_dwordx4 v[6:9], v10, s[0:3], 0 offen
	buffer_load_dwordx4 v[2:5], v10, s[0:3], 16 offen
	v_cmp_gt_i32_e32 vcc, s8, v1
	s_waitcnt vmcnt(2)
	s_barrier
	v_cmp_gt_i32_e64 s[2:3], s11, v32
	v_cmp_lt_i32_e64 s[0:1], -1, v32
	s_and_b64 s[2:3], vcc, s[2:3]
	s_and_b64 s[2:3], s[2:3], s[0:1]
	s_and_saveexec_b64 s[0:1], s[2:3]
	s_cbranch_execz .LBB175_2
; %bb.1:
	v_lshlrev_b32_e32 v10, 2, v32
	ds_read_b32 v32, v10
.LBB175_2:
	s_or_b64 exec, exec, s[0:1]
	s_cmp_lt_i32 s8, 1
	s_cbranch_scc1 .LBB175_13
; %bb.3:
	s_add_i32 s2, s9, 15
	s_load_dwordx4 s[12:15], s[4:5], 0x0
	s_load_dwordx2 s[10:11], s[4:5], 0x18
	s_ashr_i32 s3, s2, 31
	s_add_i32 s4, s9, 3
	s_waitcnt vmcnt(1)
	v_cvt_f32_u32_sdwa v11, v6 dst_sel:DWORD dst_unused:UNUSED_PAD src0_sel:WORD_1
	v_cvt_f32_u32_sdwa v10, v6 dst_sel:DWORD dst_unused:UNUSED_PAD src0_sel:WORD_0
	v_cvt_f32_u32_sdwa v13, v7 dst_sel:DWORD dst_unused:UNUSED_PAD src0_sel:WORD_1
	v_cvt_f32_u32_sdwa v12, v7 dst_sel:DWORD dst_unused:UNUSED_PAD src0_sel:WORD_0
	;; [unrolled: 2-line block ×4, first 2 shown]
	s_waitcnt vmcnt(0)
	v_cvt_f32_u32_sdwa v9, v2 dst_sel:DWORD dst_unused:UNUSED_PAD src0_sel:WORD_1
	v_cvt_f32_u32_sdwa v8, v2 dst_sel:DWORD dst_unused:UNUSED_PAD src0_sel:WORD_0
	v_cvt_f32_u32_sdwa v17, v3 dst_sel:DWORD dst_unused:UNUSED_PAD src0_sel:WORD_1
	v_cvt_f32_u32_sdwa v16, v3 dst_sel:DWORD dst_unused:UNUSED_PAD src0_sel:WORD_0
	;; [unrolled: 2-line block ×4, first 2 shown]
	s_lshr_b32 s3, s3, 28
	s_ashr_i32 s5, s4, 31
	v_cmp_eq_u32_e32 vcc, 63, v1
	v_lshrrev_b32_e32 v1, 4, v0
	v_mov_b32_e32 v4, 0x1000
	s_add_i32 s2, s2, s3
	s_lshr_b32 s5, s5, 30
	v_and_or_b32 v35, v1, 60, v4
	v_and_b32_e32 v1, 7, v0
	s_ashr_i32 s2, s2, 4
	s_add_i32 s4, s4, s5
	s_mov_b32 s21, s9
	v_lshlrev_b32_e32 v33, 4, v0
	s_lshl_b32 s6, s9, 2
	v_lshlrev_b32_e32 v34, 6, v0
	v_lshl_or_b32 v36, v1, 2, v4
	s_mov_b32 s22, 0
	v_cmp_eq_u32_e64 s[0:1], 0, v0
	v_cmp_gt_u32_e64 s[2:3], s2, v0
	s_and_b32 s18, s4, -4
	s_mov_b32 s7, 0x20000
	s_mov_b32 s9, 0x2edbe6ff
	v_mov_b32_e32 v37, 0
	v_mov_b32_e32 v38, 0xc3e00000
	;; [unrolled: 1-line block ×3, first 2 shown]
	s_mov_b32 s23, 0x5040100
	s_mov_b32 s24, 0x1060504
	;; [unrolled: 1-line block ×3, first 2 shown]
	s_branch .LBB175_6
.LBB175_4:                              ;   in Loop: Header=BB175_6 Depth=1
	s_or_b64 exec, exec, s[4:5]
.LBB175_5:                              ;   in Loop: Header=BB175_6 Depth=1
	s_add_i32 s22, s22, 1
	s_cmp_eq_u32 s8, s22
	s_cbranch_scc1 .LBB175_13
.LBB175_6:                              ; =>This Inner Loop Header: Depth=1
	s_waitcnt lgkmcnt(0)
	v_readlane_b32 s4, v32, s22
	s_cmp_lt_i32 s4, 0
	s_cbranch_scc1 .LBB175_5
; %bb.7:                                ;   in Loop: Header=BB175_6 Depth=1
	s_mul_i32 s4, s4, s21
	s_ashr_i32 s5, s4, 31
	s_lshl_b64 s[4:5], s[4:5], 2
	s_add_u32 s4, s10, s4
	s_addc_u32 s5, s11, s5
	s_and_b32 s5, s5, 0xffff
	buffer_load_dwordx4 v[20:23], v34, s[4:7], 0 offen
	buffer_load_dwordx4 v[40:43], v34, s[4:7], 16 offen
	;; [unrolled: 1-line block ×4, first 2 shown]
	s_waitcnt vmcnt(3)
	v_pk_mul_f32 v[30:31], v[20:21], v[10:11]
	v_pk_mul_f32 v[28:29], v[22:23], v[12:13]
	s_waitcnt vmcnt(2)
	v_pk_mul_f32 v[26:27], v[40:41], v[6:7]
	v_max3_f32 v40, |v30|, s9, |v31|
	v_max3_f32 v40, v40, |v28|, |v29|
	v_pk_mul_f32 v[24:25], v[42:43], v[14:15]
	v_max3_f32 v40, v40, |v26|, |v27|
	s_waitcnt vmcnt(1)
	v_pk_mul_f32 v[22:23], v[44:45], v[8:9]
	v_max3_f32 v40, v40, |v24|, |v25|
	v_pk_mul_f32 v[20:21], v[46:47], v[16:17]
	v_max3_f32 v40, v40, |v22|, |v23|
	s_waitcnt vmcnt(0)
	v_pk_mul_f32 v[4:5], v[48:49], v[2:3]
	v_max3_f32 v40, v40, |v20|, |v21|
	v_pk_mul_f32 v[0:1], v[50:51], v[18:19]
	v_max3_f32 v40, v40, |v4|, |v5|
	v_max3_f32 v40, v40, |v0|, |v1|
	s_nop 1
	v_mov_b32_dpp v41, v40 quad_perm:[1,0,3,2] row_mask:0xf bank_mask:0xf
	v_cmp_gt_f32_e64 s[4:5], v40, v41
	v_cndmask_b32_e64 v40, v41, v40, s[4:5]
	s_nop 1
	v_mov_b32_dpp v41, v40 quad_perm:[2,3,0,1] row_mask:0xf bank_mask:0xf
	v_cmp_gt_f32_e64 s[4:5], v40, v41
	v_cndmask_b32_e64 v40, v41, v40, s[4:5]
	s_nop 1
	v_mov_b32_dpp v41, v40 row_half_mirror row_mask:0xf bank_mask:0xf
	v_cmp_gt_f32_e64 s[4:5], v40, v41
	v_cndmask_b32_e64 v40, v41, v40, s[4:5]
	s_nop 1
	v_mov_b32_dpp v41, v40 row_mirror row_mask:0xf bank_mask:0xf
	v_cmp_gt_f32_e64 s[4:5], v40, v41
	v_cndmask_b32_e64 v40, v41, v40, s[4:5]
	s_nop 1
	v_mov_b32_dpp v41, v40 row_bcast:15 row_mask:0xf bank_mask:0xf
	v_cmp_gt_f32_e64 s[4:5], v40, v41
	v_cndmask_b32_e64 v40, v41, v40, s[4:5]
	s_nop 1
	v_mov_b32_dpp v41, v40 row_bcast:31 row_mask:0xf bank_mask:0xf
	s_and_saveexec_b64 s[16:17], vcc
	s_cbranch_execz .LBB175_9
; %bb.8:                                ;   in Loop: Header=BB175_6 Depth=1
	v_cmp_gt_f32_e64 s[4:5], v40, v41
	v_cndmask_b32_e64 v40, v41, v40, s[4:5]
	ds_write_b32 v35, v40
.LBB175_9:                              ;   in Loop: Header=BB175_6 Depth=1
	s_or_b64 exec, exec, s[16:17]
	s_waitcnt lgkmcnt(0)
	s_barrier
	ds_read_b32 v40, v36
	s_add_i32 s16, s20, s22
	s_waitcnt lgkmcnt(0)
	v_mov_b32_dpp v41, v40 quad_perm:[1,0,3,2] row_mask:0xf bank_mask:0xf
	v_cmp_gt_f32_e64 s[4:5], v40, v41
	v_cndmask_b32_e64 v40, v41, v40, s[4:5]
	s_nop 1
	v_mov_b32_dpp v41, v40 quad_perm:[2,3,0,1] row_mask:0xf bank_mask:0xf
	v_cmp_gt_f32_e64 s[4:5], v40, v41
	v_cndmask_b32_e64 v40, v41, v40, s[4:5]
	s_nop 1
	v_mov_b32_dpp v41, v40 row_half_mirror row_mask:0xf bank_mask:0xf
	v_cmp_gt_f32_e64 s[4:5], v40, v41
	v_cndmask_b32_e64 v40, v41, v40, s[4:5]
	v_mul_f32_e32 v40, 0x3b124925, v40
	s_and_saveexec_b64 s[4:5], s[0:1]
	s_cbranch_execz .LBB175_11
; %bb.10:                               ;   in Loop: Header=BB175_6 Depth=1
	s_ashr_i32 s17, s16, 31
	s_lshl_b64 s[26:27], s[16:17], 2
	s_add_u32 s26, s14, s26
	s_addc_u32 s27, s15, s27
	global_store_dword v37, v40, s[26:27]
.LBB175_11:                             ;   in Loop: Header=BB175_6 Depth=1
	s_or_b64 exec, exec, s[4:5]
	s_and_saveexec_b64 s[4:5], s[2:3]
	s_cbranch_execz .LBB175_4
; %bb.12:                               ;   in Loop: Header=BB175_6 Depth=1
	v_rcp_f32_e32 v40, v40
	s_mul_hi_i32 s17, s16, s21
	s_mul_i32 s16, s16, s21
	s_add_u32 s16, s12, s16
	v_mov_b32_e32 v41, v40
	;;#ASMSTART
	v_pk_mul_f32 v[30:31], v[30:31], v[40:41]
	;;#ASMEND
	;;#ASMSTART
	v_med3_f32 v30, v30, v38, v39
v_med3_f32 v31, v31, v38, v39
v_cvt_pk_fp8_f32 v42, v30, v31
	;;#ASMEND
	;;#ASMSTART
	v_pk_mul_f32 v[28:29], v[28:29], v[40:41]
	;;#ASMEND
	;;#ASMSTART
	v_med3_f32 v28, v28, v38, v39
v_med3_f32 v29, v29, v38, v39
v_cvt_pk_fp8_f32 v30, v28, v29
	;;#ASMEND
	;; [unrolled: 8-line block ×6, first 2 shown]
	;;#ASMSTART
	v_pk_mul_f32 v[4:5], v[4:5], v[40:41]
	;;#ASMEND
	s_addc_u32 s17, s13, s17
	v_perm_b32 v28, v30, v42, s23
	;;#ASMSTART
	v_med3_f32 v4, v4, v38, v39
v_med3_f32 v5, v5, v38, v39
v_cvt_pk_fp8_f32 v20, v4, v5
	;;#ASMEND
	;;#ASMSTART
	v_pk_mul_f32 v[0:1], v[0:1], v[40:41]
	;;#ASMEND
	s_and_b32 s17, s17, 0xffff
	s_mov_b32 s19, s7
	v_perm_b32 v28, v28, v30, s24
	v_perm_b32 v29, v29, v26, s25
	;; [unrolled: 1-line block ×3, first 2 shown]
	;;#ASMSTART
	v_med3_f32 v0, v0, v38, v39
v_med3_f32 v1, v1, v38, v39
v_cvt_pk_fp8_f32 v4, v0, v1
	;;#ASMEND
	v_perm_b32 v31, v20, v4, s25
	buffer_store_dwordx4 v[28:31], v33, s[16:19], 0 offen
	;;#ASMSTART
	s_nop 0
	;;#ASMEND
	s_branch .LBB175_4
.LBB175_13:
	s_endpgm
	.section	.rodata,"a",@progbits
	.p2align	6, 0x0
	.amdhsa_kernel _ZN5aiter43moe_smooth_per_token_scaled_quant_kernel_v1ItDB8_Li512ELi16ELb0ELb1ELi1024EEEvPT0_PfPT_S4_PiS7_iiiii
		.amdhsa_group_segment_fixed_size 4128
		.amdhsa_private_segment_fixed_size 0
		.amdhsa_kernarg_size 68
		.amdhsa_user_sgpr_count 6
		.amdhsa_user_sgpr_private_segment_buffer 1
		.amdhsa_user_sgpr_dispatch_ptr 0
		.amdhsa_user_sgpr_queue_ptr 0
		.amdhsa_user_sgpr_kernarg_segment_ptr 1
		.amdhsa_user_sgpr_dispatch_id 0
		.amdhsa_user_sgpr_flat_scratch_init 0
		.amdhsa_user_sgpr_kernarg_preload_length 0
		.amdhsa_user_sgpr_kernarg_preload_offset 0
		.amdhsa_user_sgpr_private_segment_size 0
		.amdhsa_uses_dynamic_stack 0
		.amdhsa_system_sgpr_private_segment_wavefront_offset 0
		.amdhsa_system_sgpr_workgroup_id_x 1
		.amdhsa_system_sgpr_workgroup_id_y 0
		.amdhsa_system_sgpr_workgroup_id_z 0
		.amdhsa_system_sgpr_workgroup_info 0
		.amdhsa_system_vgpr_workitem_id 0
		.amdhsa_next_free_vgpr 52
		.amdhsa_next_free_sgpr 28
		.amdhsa_accum_offset 52
		.amdhsa_reserve_vcc 1
		.amdhsa_reserve_flat_scratch 0
		.amdhsa_float_round_mode_32 0
		.amdhsa_float_round_mode_16_64 0
		.amdhsa_float_denorm_mode_32 3
		.amdhsa_float_denorm_mode_16_64 3
		.amdhsa_dx10_clamp 1
		.amdhsa_ieee_mode 1
		.amdhsa_fp16_overflow 0
		.amdhsa_tg_split 0
		.amdhsa_exception_fp_ieee_invalid_op 0
		.amdhsa_exception_fp_denorm_src 0
		.amdhsa_exception_fp_ieee_div_zero 0
		.amdhsa_exception_fp_ieee_overflow 0
		.amdhsa_exception_fp_ieee_underflow 0
		.amdhsa_exception_fp_ieee_inexact 0
		.amdhsa_exception_int_div_zero 0
	.end_amdhsa_kernel
	.section	.text._ZN5aiter43moe_smooth_per_token_scaled_quant_kernel_v1ItDB8_Li512ELi16ELb0ELb1ELi1024EEEvPT0_PfPT_S4_PiS7_iiiii,"axG",@progbits,_ZN5aiter43moe_smooth_per_token_scaled_quant_kernel_v1ItDB8_Li512ELi16ELb0ELb1ELi1024EEEvPT0_PfPT_S4_PiS7_iiiii,comdat
.Lfunc_end175:
	.size	_ZN5aiter43moe_smooth_per_token_scaled_quant_kernel_v1ItDB8_Li512ELi16ELb0ELb1ELi1024EEEvPT0_PfPT_S4_PiS7_iiiii, .Lfunc_end175-_ZN5aiter43moe_smooth_per_token_scaled_quant_kernel_v1ItDB8_Li512ELi16ELb0ELb1ELi1024EEEvPT0_PfPT_S4_PiS7_iiiii
                                        ; -- End function
	.section	.AMDGPU.csdata,"",@progbits
; Kernel info:
; codeLenInByte = 1560
; NumSgprs: 32
; NumVgprs: 52
; NumAgprs: 0
; TotalNumVgprs: 52
; ScratchSize: 0
; MemoryBound: 0
; FloatMode: 240
; IeeeMode: 1
; LDSByteSize: 4128 bytes/workgroup (compile time only)
; SGPRBlocks: 3
; VGPRBlocks: 6
; NumSGPRsForWavesPerEU: 32
; NumVGPRsForWavesPerEU: 52
; AccumOffset: 52
; Occupancy: 8
; WaveLimiterHint : 0
; COMPUTE_PGM_RSRC2:SCRATCH_EN: 0
; COMPUTE_PGM_RSRC2:USER_SGPR: 6
; COMPUTE_PGM_RSRC2:TRAP_HANDLER: 0
; COMPUTE_PGM_RSRC2:TGID_X_EN: 1
; COMPUTE_PGM_RSRC2:TGID_Y_EN: 0
; COMPUTE_PGM_RSRC2:TGID_Z_EN: 0
; COMPUTE_PGM_RSRC2:TIDIG_COMP_CNT: 0
; COMPUTE_PGM_RSRC3_GFX90A:ACCUM_OFFSET: 12
; COMPUTE_PGM_RSRC3_GFX90A:TG_SPLIT: 0
	.section	.text._ZN5aiter43moe_smooth_per_token_scaled_quant_kernel_v1IDF16_DB8_Li512ELi16ELb0ELb0ELi1024EEEvPT0_PfPT_S4_PiS7_iiiii,"axG",@progbits,_ZN5aiter43moe_smooth_per_token_scaled_quant_kernel_v1IDF16_DB8_Li512ELi16ELb0ELb0ELi1024EEEvPT0_PfPT_S4_PiS7_iiiii,comdat
	.protected	_ZN5aiter43moe_smooth_per_token_scaled_quant_kernel_v1IDF16_DB8_Li512ELi16ELb0ELb0ELi1024EEEvPT0_PfPT_S4_PiS7_iiiii ; -- Begin function _ZN5aiter43moe_smooth_per_token_scaled_quant_kernel_v1IDF16_DB8_Li512ELi16ELb0ELb0ELi1024EEEvPT0_PfPT_S4_PiS7_iiiii
	.globl	_ZN5aiter43moe_smooth_per_token_scaled_quant_kernel_v1IDF16_DB8_Li512ELi16ELb0ELb0ELi1024EEEvPT0_PfPT_S4_PiS7_iiiii
	.p2align	8
	.type	_ZN5aiter43moe_smooth_per_token_scaled_quant_kernel_v1IDF16_DB8_Li512ELi16ELb0ELb0ELi1024EEEvPT0_PfPT_S4_PiS7_iiiii,@function
_ZN5aiter43moe_smooth_per_token_scaled_quant_kernel_v1IDF16_DB8_Li512ELi16ELb0ELb0ELi1024EEEvPT0_PfPT_S4_PiS7_iiiii: ; @_ZN5aiter43moe_smooth_per_token_scaled_quant_kernel_v1IDF16_DB8_Li512ELi16ELb0ELb0ELi1024EEEvPT0_PfPT_S4_PiS7_iiiii
; %bb.0:
	s_load_dwordx4 s[8:11], s[4:5], 0x34
	s_load_dwordx2 s[0:1], s[4:5], 0x10
	s_load_dwordx2 s[2:3], s[4:5], 0x20
	v_and_b32_e32 v1, 63, v0
	s_mov_b32 s15, 0x20000
	s_waitcnt lgkmcnt(0)
	s_mul_i32 s20, s6, s8
	s_ashr_i32 s21, s20, 31
	s_lshl_b64 s[12:13], s[20:21], 2
	s_add_u32 s12, s2, s12
	s_addc_u32 s2, s3, s13
	s_and_b32 s13, s2, 0xffff
	s_mul_hi_i32 s3, s10, s6
	s_mul_i32 s2, s10, s6
	s_lshl_b32 s14, s8, 2
	v_lshlrev_b32_e32 v2, 2, v1
	s_lshl_b64 s[2:3], s[2:3], 1
	buffer_load_dword v32, v2, s[12:15], 0 offen
	s_add_u32 s12, s0, s2
	s_addc_u32 s0, s1, s3
	s_lshl_b32 s14, s9, 1
	s_and_b32 s13, s0, 0xffff
	v_lshlrev_b32_e32 v10, 5, v0
	buffer_load_dwordx4 v[6:9], v10, s[12:15], 0 offen
	buffer_load_dwordx4 v[2:5], v10, s[12:15], 16 offen
	s_mov_b32 s21, 0
	s_cmp_lt_i32 s8, 1
	s_waitcnt vmcnt(2)
	s_barrier
	s_cbranch_scc1 .LBB176_11
; %bb.1:
	s_add_i32 s2, s9, 15
	s_load_dwordx4 s[16:19], s[4:5], 0x0
	s_load_dwordx2 s[10:11], s[4:5], 0x18
	s_ashr_i32 s3, s2, 31
	s_add_i32 s4, s9, 3
	s_waitcnt vmcnt(1)
	v_cvt_f32_f16_sdwa v11, v6 dst_sel:DWORD dst_unused:UNUSED_PAD src0_sel:WORD_1
	v_cvt_f32_f16_e32 v10, v6
	v_cvt_f32_f16_sdwa v13, v7 dst_sel:DWORD dst_unused:UNUSED_PAD src0_sel:WORD_1
	v_cvt_f32_f16_e32 v12, v7
	;; [unrolled: 2-line block ×4, first 2 shown]
	s_waitcnt vmcnt(0)
	v_cvt_f32_f16_sdwa v9, v2 dst_sel:DWORD dst_unused:UNUSED_PAD src0_sel:WORD_1
	v_cvt_f32_f16_e32 v8, v2
	v_cvt_f32_f16_sdwa v17, v3 dst_sel:DWORD dst_unused:UNUSED_PAD src0_sel:WORD_1
	v_cvt_f32_f16_e32 v16, v3
	;; [unrolled: 2-line block ×4, first 2 shown]
	s_lshr_b32 s3, s3, 28
	s_ashr_i32 s5, s4, 31
	v_cmp_eq_u32_e32 vcc, 63, v1
	v_lshrrev_b32_e32 v1, 4, v0
	s_add_i32 s2, s2, s3
	s_lshr_b32 s5, s5, 30
	v_and_b32_e32 v35, 60, v1
	v_and_b32_e32 v1, 7, v0
	s_ashr_i32 s2, s2, 4
	s_add_i32 s4, s4, s5
	s_mov_b32 s22, s9
	v_lshlrev_b32_e32 v33, 4, v0
	s_lshl_b32 s14, s9, 2
	v_lshlrev_b32_e32 v34, 6, v0
	v_lshlrev_b32_e32 v36, 2, v1
	v_cmp_eq_u32_e64 s[0:1], 0, v0
	v_cmp_gt_u32_e64 s[2:3], s2, v0
	s_and_b32 s6, s4, -4
	s_mov_b32 s9, 0x2edbe6ff
	v_mov_b32_e32 v37, 0
	v_mov_b32_e32 v38, 0xc3e00000
	;; [unrolled: 1-line block ×3, first 2 shown]
	s_mov_b32 s23, 0x5040100
	s_mov_b32 s24, 0x1060504
	;; [unrolled: 1-line block ×3, first 2 shown]
	s_branch .LBB176_4
.LBB176_2:                              ;   in Loop: Header=BB176_4 Depth=1
	s_or_b64 exec, exec, s[12:13]
.LBB176_3:                              ;   in Loop: Header=BB176_4 Depth=1
	s_add_i32 s21, s21, 1
	s_cmp_eq_u32 s8, s21
	s_cbranch_scc1 .LBB176_11
.LBB176_4:                              ; =>This Inner Loop Header: Depth=1
	v_readlane_b32 s4, v32, s21
	s_cmp_lt_i32 s4, 0
	s_cbranch_scc1 .LBB176_3
; %bb.5:                                ;   in Loop: Header=BB176_4 Depth=1
	s_mul_i32 s4, s4, s22
	s_ashr_i32 s5, s4, 31
	s_lshl_b64 s[4:5], s[4:5], 2
	s_waitcnt lgkmcnt(0)
	s_add_u32 s12, s10, s4
	s_addc_u32 s4, s11, s5
	s_and_b32 s13, s4, 0xffff
	buffer_load_dwordx4 v[20:23], v34, s[12:15], 0 offen
	buffer_load_dwordx4 v[40:43], v34, s[12:15], 16 offen
	buffer_load_dwordx4 v[44:47], v34, s[12:15], 32 offen
	buffer_load_dwordx4 v[48:51], v34, s[12:15], 48 offen
	s_waitcnt vmcnt(3)
	v_pk_mul_f32 v[30:31], v[20:21], v[10:11]
	v_pk_mul_f32 v[28:29], v[22:23], v[12:13]
	s_waitcnt vmcnt(2)
	v_pk_mul_f32 v[26:27], v[40:41], v[6:7]
	v_max3_f32 v40, |v30|, s9, |v31|
	v_max3_f32 v40, v40, |v28|, |v29|
	v_pk_mul_f32 v[24:25], v[42:43], v[14:15]
	v_max3_f32 v40, v40, |v26|, |v27|
	s_waitcnt vmcnt(1)
	v_pk_mul_f32 v[22:23], v[44:45], v[8:9]
	v_max3_f32 v40, v40, |v24|, |v25|
	v_pk_mul_f32 v[20:21], v[46:47], v[16:17]
	v_max3_f32 v40, v40, |v22|, |v23|
	s_waitcnt vmcnt(0)
	v_pk_mul_f32 v[4:5], v[48:49], v[2:3]
	v_max3_f32 v40, v40, |v20|, |v21|
	v_pk_mul_f32 v[0:1], v[50:51], v[18:19]
	v_max3_f32 v40, v40, |v4|, |v5|
	v_max3_f32 v40, v40, |v0|, |v1|
	s_nop 1
	v_mov_b32_dpp v41, v40 quad_perm:[1,0,3,2] row_mask:0xf bank_mask:0xf
	v_cmp_gt_f32_e64 s[4:5], v40, v41
	v_cndmask_b32_e64 v40, v41, v40, s[4:5]
	s_nop 1
	v_mov_b32_dpp v41, v40 quad_perm:[2,3,0,1] row_mask:0xf bank_mask:0xf
	v_cmp_gt_f32_e64 s[4:5], v40, v41
	v_cndmask_b32_e64 v40, v41, v40, s[4:5]
	s_nop 1
	v_mov_b32_dpp v41, v40 row_half_mirror row_mask:0xf bank_mask:0xf
	v_cmp_gt_f32_e64 s[4:5], v40, v41
	v_cndmask_b32_e64 v40, v41, v40, s[4:5]
	s_nop 1
	v_mov_b32_dpp v41, v40 row_mirror row_mask:0xf bank_mask:0xf
	v_cmp_gt_f32_e64 s[4:5], v40, v41
	v_cndmask_b32_e64 v40, v41, v40, s[4:5]
	s_nop 1
	v_mov_b32_dpp v41, v40 row_bcast:15 row_mask:0xf bank_mask:0xf
	v_cmp_gt_f32_e64 s[4:5], v40, v41
	v_cndmask_b32_e64 v40, v41, v40, s[4:5]
	s_nop 1
	v_mov_b32_dpp v41, v40 row_bcast:31 row_mask:0xf bank_mask:0xf
	s_and_saveexec_b64 s[12:13], vcc
	s_cbranch_execz .LBB176_7
; %bb.6:                                ;   in Loop: Header=BB176_4 Depth=1
	v_cmp_gt_f32_e64 s[4:5], v40, v41
	v_cndmask_b32_e64 v40, v41, v40, s[4:5]
	ds_write_b32 v35, v40
.LBB176_7:                              ;   in Loop: Header=BB176_4 Depth=1
	s_or_b64 exec, exec, s[12:13]
	s_waitcnt lgkmcnt(0)
	s_barrier
	ds_read_b32 v40, v36
	s_waitcnt lgkmcnt(0)
	s_nop 0
	v_mov_b32_dpp v41, v40 quad_perm:[1,0,3,2] row_mask:0xf bank_mask:0xf
	v_cmp_gt_f32_e64 s[4:5], v40, v41
	v_cndmask_b32_e64 v40, v41, v40, s[4:5]
	s_nop 1
	v_mov_b32_dpp v41, v40 quad_perm:[2,3,0,1] row_mask:0xf bank_mask:0xf
	v_cmp_gt_f32_e64 s[4:5], v40, v41
	v_cndmask_b32_e64 v40, v41, v40, s[4:5]
	s_nop 1
	v_mov_b32_dpp v41, v40 row_half_mirror row_mask:0xf bank_mask:0xf
	v_cmp_gt_f32_e64 s[4:5], v40, v41
	v_cndmask_b32_e64 v40, v41, v40, s[4:5]
	v_mul_f32_e32 v40, 0x3b124925, v40
	s_add_i32 s4, s20, s21
	s_and_saveexec_b64 s[12:13], s[0:1]
	s_cbranch_execz .LBB176_9
; %bb.8:                                ;   in Loop: Header=BB176_4 Depth=1
	s_ashr_i32 s5, s4, 31
	s_lshl_b64 s[26:27], s[4:5], 2
	s_add_u32 s26, s18, s26
	s_addc_u32 s27, s19, s27
	global_store_dword v37, v40, s[26:27]
.LBB176_9:                              ;   in Loop: Header=BB176_4 Depth=1
	s_or_b64 exec, exec, s[12:13]
	s_and_saveexec_b64 s[12:13], s[2:3]
	s_cbranch_execz .LBB176_2
; %bb.10:                               ;   in Loop: Header=BB176_4 Depth=1
	v_rcp_f32_e32 v40, v40
	s_mul_hi_i32 s5, s4, s22
	s_mul_i32 s4, s4, s22
	s_add_u32 s4, s16, s4
	v_mov_b32_e32 v41, v40
	;;#ASMSTART
	v_pk_mul_f32 v[30:31], v[30:31], v[40:41]
	;;#ASMEND
	;;#ASMSTART
	v_med3_f32 v30, v30, v38, v39
v_med3_f32 v31, v31, v38, v39
v_cvt_pk_fp8_f32 v42, v30, v31
	;;#ASMEND
	;;#ASMSTART
	v_pk_mul_f32 v[28:29], v[28:29], v[40:41]
	;;#ASMEND
	;;#ASMSTART
	v_med3_f32 v28, v28, v38, v39
v_med3_f32 v29, v29, v38, v39
v_cvt_pk_fp8_f32 v30, v28, v29
	;;#ASMEND
	;; [unrolled: 8-line block ×6, first 2 shown]
	;;#ASMSTART
	v_pk_mul_f32 v[4:5], v[4:5], v[40:41]
	;;#ASMEND
	s_addc_u32 s5, s17, s5
	v_perm_b32 v28, v30, v42, s23
	;;#ASMSTART
	v_med3_f32 v4, v4, v38, v39
v_med3_f32 v5, v5, v38, v39
v_cvt_pk_fp8_f32 v20, v4, v5
	;;#ASMEND
	;;#ASMSTART
	v_pk_mul_f32 v[0:1], v[0:1], v[40:41]
	;;#ASMEND
	s_and_b32 s5, s5, 0xffff
	s_mov_b32 s7, s15
	v_perm_b32 v28, v28, v30, s24
	v_perm_b32 v29, v29, v26, s25
	;; [unrolled: 1-line block ×3, first 2 shown]
	;;#ASMSTART
	v_med3_f32 v0, v0, v38, v39
v_med3_f32 v1, v1, v38, v39
v_cvt_pk_fp8_f32 v4, v0, v1
	;;#ASMEND
	v_perm_b32 v31, v20, v4, s25
	buffer_store_dwordx4 v[28:31], v33, s[4:7], 0 offen
	;;#ASMSTART
	s_nop 0
	;;#ASMEND
	s_branch .LBB176_2
.LBB176_11:
	s_endpgm
	.section	.rodata,"a",@progbits
	.p2align	6, 0x0
	.amdhsa_kernel _ZN5aiter43moe_smooth_per_token_scaled_quant_kernel_v1IDF16_DB8_Li512ELi16ELb0ELb0ELi1024EEEvPT0_PfPT_S4_PiS7_iiiii
		.amdhsa_group_segment_fixed_size 32
		.amdhsa_private_segment_fixed_size 0
		.amdhsa_kernarg_size 68
		.amdhsa_user_sgpr_count 6
		.amdhsa_user_sgpr_private_segment_buffer 1
		.amdhsa_user_sgpr_dispatch_ptr 0
		.amdhsa_user_sgpr_queue_ptr 0
		.amdhsa_user_sgpr_kernarg_segment_ptr 1
		.amdhsa_user_sgpr_dispatch_id 0
		.amdhsa_user_sgpr_flat_scratch_init 0
		.amdhsa_user_sgpr_kernarg_preload_length 0
		.amdhsa_user_sgpr_kernarg_preload_offset 0
		.amdhsa_user_sgpr_private_segment_size 0
		.amdhsa_uses_dynamic_stack 0
		.amdhsa_system_sgpr_private_segment_wavefront_offset 0
		.amdhsa_system_sgpr_workgroup_id_x 1
		.amdhsa_system_sgpr_workgroup_id_y 0
		.amdhsa_system_sgpr_workgroup_id_z 0
		.amdhsa_system_sgpr_workgroup_info 0
		.amdhsa_system_vgpr_workitem_id 0
		.amdhsa_next_free_vgpr 52
		.amdhsa_next_free_sgpr 28
		.amdhsa_accum_offset 52
		.amdhsa_reserve_vcc 1
		.amdhsa_reserve_flat_scratch 0
		.amdhsa_float_round_mode_32 0
		.amdhsa_float_round_mode_16_64 0
		.amdhsa_float_denorm_mode_32 3
		.amdhsa_float_denorm_mode_16_64 3
		.amdhsa_dx10_clamp 1
		.amdhsa_ieee_mode 1
		.amdhsa_fp16_overflow 0
		.amdhsa_tg_split 0
		.amdhsa_exception_fp_ieee_invalid_op 0
		.amdhsa_exception_fp_denorm_src 0
		.amdhsa_exception_fp_ieee_div_zero 0
		.amdhsa_exception_fp_ieee_overflow 0
		.amdhsa_exception_fp_ieee_underflow 0
		.amdhsa_exception_fp_ieee_inexact 0
		.amdhsa_exception_int_div_zero 0
	.end_amdhsa_kernel
	.section	.text._ZN5aiter43moe_smooth_per_token_scaled_quant_kernel_v1IDF16_DB8_Li512ELi16ELb0ELb0ELi1024EEEvPT0_PfPT_S4_PiS7_iiiii,"axG",@progbits,_ZN5aiter43moe_smooth_per_token_scaled_quant_kernel_v1IDF16_DB8_Li512ELi16ELb0ELb0ELi1024EEEvPT0_PfPT_S4_PiS7_iiiii,comdat
.Lfunc_end176:
	.size	_ZN5aiter43moe_smooth_per_token_scaled_quant_kernel_v1IDF16_DB8_Li512ELi16ELb0ELb0ELi1024EEEvPT0_PfPT_S4_PiS7_iiiii, .Lfunc_end176-_ZN5aiter43moe_smooth_per_token_scaled_quant_kernel_v1IDF16_DB8_Li512ELi16ELb0ELb0ELi1024EEEvPT0_PfPT_S4_PiS7_iiiii
                                        ; -- End function
	.section	.AMDGPU.csdata,"",@progbits
; Kernel info:
; codeLenInByte = 1368
; NumSgprs: 32
; NumVgprs: 52
; NumAgprs: 0
; TotalNumVgprs: 52
; ScratchSize: 0
; MemoryBound: 0
; FloatMode: 240
; IeeeMode: 1
; LDSByteSize: 32 bytes/workgroup (compile time only)
; SGPRBlocks: 3
; VGPRBlocks: 6
; NumSGPRsForWavesPerEU: 32
; NumVGPRsForWavesPerEU: 52
; AccumOffset: 52
; Occupancy: 8
; WaveLimiterHint : 0
; COMPUTE_PGM_RSRC2:SCRATCH_EN: 0
; COMPUTE_PGM_RSRC2:USER_SGPR: 6
; COMPUTE_PGM_RSRC2:TRAP_HANDLER: 0
; COMPUTE_PGM_RSRC2:TGID_X_EN: 1
; COMPUTE_PGM_RSRC2:TGID_Y_EN: 0
; COMPUTE_PGM_RSRC2:TGID_Z_EN: 0
; COMPUTE_PGM_RSRC2:TIDIG_COMP_CNT: 0
; COMPUTE_PGM_RSRC3_GFX90A:ACCUM_OFFSET: 12
; COMPUTE_PGM_RSRC3_GFX90A:TG_SPLIT: 0
	.section	.text._ZN5aiter43moe_smooth_per_token_scaled_quant_kernel_v1ItDB8_Li512ELi16ELb0ELb0ELi1024EEEvPT0_PfPT_S4_PiS7_iiiii,"axG",@progbits,_ZN5aiter43moe_smooth_per_token_scaled_quant_kernel_v1ItDB8_Li512ELi16ELb0ELb0ELi1024EEEvPT0_PfPT_S4_PiS7_iiiii,comdat
	.protected	_ZN5aiter43moe_smooth_per_token_scaled_quant_kernel_v1ItDB8_Li512ELi16ELb0ELb0ELi1024EEEvPT0_PfPT_S4_PiS7_iiiii ; -- Begin function _ZN5aiter43moe_smooth_per_token_scaled_quant_kernel_v1ItDB8_Li512ELi16ELb0ELb0ELi1024EEEvPT0_PfPT_S4_PiS7_iiiii
	.globl	_ZN5aiter43moe_smooth_per_token_scaled_quant_kernel_v1ItDB8_Li512ELi16ELb0ELb0ELi1024EEEvPT0_PfPT_S4_PiS7_iiiii
	.p2align	8
	.type	_ZN5aiter43moe_smooth_per_token_scaled_quant_kernel_v1ItDB8_Li512ELi16ELb0ELb0ELi1024EEEvPT0_PfPT_S4_PiS7_iiiii,@function
_ZN5aiter43moe_smooth_per_token_scaled_quant_kernel_v1ItDB8_Li512ELi16ELb0ELb0ELi1024EEEvPT0_PfPT_S4_PiS7_iiiii: ; @_ZN5aiter43moe_smooth_per_token_scaled_quant_kernel_v1ItDB8_Li512ELi16ELb0ELb0ELi1024EEEvPT0_PfPT_S4_PiS7_iiiii
; %bb.0:
	s_load_dwordx4 s[8:11], s[4:5], 0x34
	s_load_dwordx2 s[0:1], s[4:5], 0x10
	s_load_dwordx2 s[2:3], s[4:5], 0x20
	v_and_b32_e32 v1, 63, v0
	s_mov_b32 s15, 0x20000
	s_waitcnt lgkmcnt(0)
	s_mul_i32 s20, s6, s8
	s_ashr_i32 s21, s20, 31
	s_lshl_b64 s[12:13], s[20:21], 2
	s_add_u32 s12, s2, s12
	s_addc_u32 s2, s3, s13
	s_and_b32 s13, s2, 0xffff
	s_mul_hi_i32 s3, s10, s6
	s_mul_i32 s2, s10, s6
	s_lshl_b32 s14, s8, 2
	v_lshlrev_b32_e32 v2, 2, v1
	s_lshl_b64 s[2:3], s[2:3], 1
	buffer_load_dword v32, v2, s[12:15], 0 offen
	s_add_u32 s12, s0, s2
	s_addc_u32 s0, s1, s3
	s_lshl_b32 s14, s9, 1
	s_and_b32 s13, s0, 0xffff
	v_lshlrev_b32_e32 v10, 5, v0
	buffer_load_dwordx4 v[6:9], v10, s[12:15], 0 offen
	buffer_load_dwordx4 v[2:5], v10, s[12:15], 16 offen
	s_mov_b32 s21, 0
	s_cmp_lt_i32 s8, 1
	s_waitcnt vmcnt(2)
	s_barrier
	s_cbranch_scc1 .LBB177_11
; %bb.1:
	s_add_i32 s2, s9, 15
	s_load_dwordx4 s[16:19], s[4:5], 0x0
	s_load_dwordx2 s[10:11], s[4:5], 0x18
	s_ashr_i32 s3, s2, 31
	s_add_i32 s4, s9, 3
	s_waitcnt vmcnt(1)
	v_cvt_f32_u32_sdwa v11, v6 dst_sel:DWORD dst_unused:UNUSED_PAD src0_sel:WORD_1
	v_cvt_f32_u32_sdwa v10, v6 dst_sel:DWORD dst_unused:UNUSED_PAD src0_sel:WORD_0
	v_cvt_f32_u32_sdwa v13, v7 dst_sel:DWORD dst_unused:UNUSED_PAD src0_sel:WORD_1
	v_cvt_f32_u32_sdwa v12, v7 dst_sel:DWORD dst_unused:UNUSED_PAD src0_sel:WORD_0
	;; [unrolled: 2-line block ×4, first 2 shown]
	s_waitcnt vmcnt(0)
	v_cvt_f32_u32_sdwa v9, v2 dst_sel:DWORD dst_unused:UNUSED_PAD src0_sel:WORD_1
	v_cvt_f32_u32_sdwa v8, v2 dst_sel:DWORD dst_unused:UNUSED_PAD src0_sel:WORD_0
	v_cvt_f32_u32_sdwa v17, v3 dst_sel:DWORD dst_unused:UNUSED_PAD src0_sel:WORD_1
	v_cvt_f32_u32_sdwa v16, v3 dst_sel:DWORD dst_unused:UNUSED_PAD src0_sel:WORD_0
	v_cvt_f32_u32_sdwa v3, v4 dst_sel:DWORD dst_unused:UNUSED_PAD src0_sel:WORD_1
	v_cvt_f32_u32_sdwa v2, v4 dst_sel:DWORD dst_unused:UNUSED_PAD src0_sel:WORD_0
	v_cvt_f32_u32_sdwa v19, v5 dst_sel:DWORD dst_unused:UNUSED_PAD src0_sel:WORD_1
	v_cvt_f32_u32_sdwa v18, v5 dst_sel:DWORD dst_unused:UNUSED_PAD src0_sel:WORD_0
	s_lshr_b32 s3, s3, 28
	s_ashr_i32 s5, s4, 31
	v_cmp_eq_u32_e32 vcc, 63, v1
	v_lshrrev_b32_e32 v1, 4, v0
	s_add_i32 s2, s2, s3
	s_lshr_b32 s5, s5, 30
	v_and_b32_e32 v35, 60, v1
	v_and_b32_e32 v1, 7, v0
	s_ashr_i32 s2, s2, 4
	s_add_i32 s4, s4, s5
	s_mov_b32 s22, s9
	v_lshlrev_b32_e32 v33, 4, v0
	s_lshl_b32 s14, s9, 2
	v_lshlrev_b32_e32 v34, 6, v0
	v_lshlrev_b32_e32 v36, 2, v1
	v_cmp_eq_u32_e64 s[0:1], 0, v0
	v_cmp_gt_u32_e64 s[2:3], s2, v0
	s_and_b32 s6, s4, -4
	s_mov_b32 s9, 0x2edbe6ff
	v_mov_b32_e32 v37, 0
	v_mov_b32_e32 v38, 0xc3e00000
	;; [unrolled: 1-line block ×3, first 2 shown]
	s_mov_b32 s23, 0x5040100
	s_mov_b32 s24, 0x1060504
	;; [unrolled: 1-line block ×3, first 2 shown]
	s_branch .LBB177_4
.LBB177_2:                              ;   in Loop: Header=BB177_4 Depth=1
	s_or_b64 exec, exec, s[12:13]
.LBB177_3:                              ;   in Loop: Header=BB177_4 Depth=1
	s_add_i32 s21, s21, 1
	s_cmp_eq_u32 s8, s21
	s_cbranch_scc1 .LBB177_11
.LBB177_4:                              ; =>This Inner Loop Header: Depth=1
	v_readlane_b32 s4, v32, s21
	s_cmp_lt_i32 s4, 0
	s_cbranch_scc1 .LBB177_3
; %bb.5:                                ;   in Loop: Header=BB177_4 Depth=1
	s_mul_i32 s4, s4, s22
	s_ashr_i32 s5, s4, 31
	s_lshl_b64 s[4:5], s[4:5], 2
	s_waitcnt lgkmcnt(0)
	s_add_u32 s12, s10, s4
	s_addc_u32 s4, s11, s5
	s_and_b32 s13, s4, 0xffff
	buffer_load_dwordx4 v[20:23], v34, s[12:15], 0 offen
	buffer_load_dwordx4 v[40:43], v34, s[12:15], 16 offen
	;; [unrolled: 1-line block ×4, first 2 shown]
	s_waitcnt vmcnt(3)
	v_pk_mul_f32 v[30:31], v[20:21], v[10:11]
	v_pk_mul_f32 v[28:29], v[22:23], v[12:13]
	s_waitcnt vmcnt(2)
	v_pk_mul_f32 v[26:27], v[40:41], v[6:7]
	v_max3_f32 v40, |v30|, s9, |v31|
	v_max3_f32 v40, v40, |v28|, |v29|
	v_pk_mul_f32 v[24:25], v[42:43], v[14:15]
	v_max3_f32 v40, v40, |v26|, |v27|
	s_waitcnt vmcnt(1)
	v_pk_mul_f32 v[22:23], v[44:45], v[8:9]
	v_max3_f32 v40, v40, |v24|, |v25|
	v_pk_mul_f32 v[20:21], v[46:47], v[16:17]
	v_max3_f32 v40, v40, |v22|, |v23|
	s_waitcnt vmcnt(0)
	v_pk_mul_f32 v[4:5], v[48:49], v[2:3]
	v_max3_f32 v40, v40, |v20|, |v21|
	v_pk_mul_f32 v[0:1], v[50:51], v[18:19]
	v_max3_f32 v40, v40, |v4|, |v5|
	v_max3_f32 v40, v40, |v0|, |v1|
	s_nop 1
	v_mov_b32_dpp v41, v40 quad_perm:[1,0,3,2] row_mask:0xf bank_mask:0xf
	v_cmp_gt_f32_e64 s[4:5], v40, v41
	v_cndmask_b32_e64 v40, v41, v40, s[4:5]
	s_nop 1
	v_mov_b32_dpp v41, v40 quad_perm:[2,3,0,1] row_mask:0xf bank_mask:0xf
	v_cmp_gt_f32_e64 s[4:5], v40, v41
	v_cndmask_b32_e64 v40, v41, v40, s[4:5]
	s_nop 1
	v_mov_b32_dpp v41, v40 row_half_mirror row_mask:0xf bank_mask:0xf
	v_cmp_gt_f32_e64 s[4:5], v40, v41
	v_cndmask_b32_e64 v40, v41, v40, s[4:5]
	s_nop 1
	v_mov_b32_dpp v41, v40 row_mirror row_mask:0xf bank_mask:0xf
	v_cmp_gt_f32_e64 s[4:5], v40, v41
	v_cndmask_b32_e64 v40, v41, v40, s[4:5]
	s_nop 1
	v_mov_b32_dpp v41, v40 row_bcast:15 row_mask:0xf bank_mask:0xf
	v_cmp_gt_f32_e64 s[4:5], v40, v41
	v_cndmask_b32_e64 v40, v41, v40, s[4:5]
	s_nop 1
	v_mov_b32_dpp v41, v40 row_bcast:31 row_mask:0xf bank_mask:0xf
	s_and_saveexec_b64 s[12:13], vcc
	s_cbranch_execz .LBB177_7
; %bb.6:                                ;   in Loop: Header=BB177_4 Depth=1
	v_cmp_gt_f32_e64 s[4:5], v40, v41
	v_cndmask_b32_e64 v40, v41, v40, s[4:5]
	ds_write_b32 v35, v40
.LBB177_7:                              ;   in Loop: Header=BB177_4 Depth=1
	s_or_b64 exec, exec, s[12:13]
	s_waitcnt lgkmcnt(0)
	s_barrier
	ds_read_b32 v40, v36
	s_waitcnt lgkmcnt(0)
	s_nop 0
	v_mov_b32_dpp v41, v40 quad_perm:[1,0,3,2] row_mask:0xf bank_mask:0xf
	v_cmp_gt_f32_e64 s[4:5], v40, v41
	v_cndmask_b32_e64 v40, v41, v40, s[4:5]
	s_nop 1
	v_mov_b32_dpp v41, v40 quad_perm:[2,3,0,1] row_mask:0xf bank_mask:0xf
	v_cmp_gt_f32_e64 s[4:5], v40, v41
	v_cndmask_b32_e64 v40, v41, v40, s[4:5]
	s_nop 1
	v_mov_b32_dpp v41, v40 row_half_mirror row_mask:0xf bank_mask:0xf
	v_cmp_gt_f32_e64 s[4:5], v40, v41
	v_cndmask_b32_e64 v40, v41, v40, s[4:5]
	v_mul_f32_e32 v40, 0x3b124925, v40
	s_add_i32 s4, s20, s21
	s_and_saveexec_b64 s[12:13], s[0:1]
	s_cbranch_execz .LBB177_9
; %bb.8:                                ;   in Loop: Header=BB177_4 Depth=1
	s_ashr_i32 s5, s4, 31
	s_lshl_b64 s[26:27], s[4:5], 2
	s_add_u32 s26, s18, s26
	s_addc_u32 s27, s19, s27
	global_store_dword v37, v40, s[26:27]
.LBB177_9:                              ;   in Loop: Header=BB177_4 Depth=1
	s_or_b64 exec, exec, s[12:13]
	s_and_saveexec_b64 s[12:13], s[2:3]
	s_cbranch_execz .LBB177_2
; %bb.10:                               ;   in Loop: Header=BB177_4 Depth=1
	v_rcp_f32_e32 v40, v40
	s_mul_hi_i32 s5, s4, s22
	s_mul_i32 s4, s4, s22
	s_add_u32 s4, s16, s4
	v_mov_b32_e32 v41, v40
	;;#ASMSTART
	v_pk_mul_f32 v[30:31], v[30:31], v[40:41]
	;;#ASMEND
	;;#ASMSTART
	v_med3_f32 v30, v30, v38, v39
v_med3_f32 v31, v31, v38, v39
v_cvt_pk_fp8_f32 v42, v30, v31
	;;#ASMEND
	;;#ASMSTART
	v_pk_mul_f32 v[28:29], v[28:29], v[40:41]
	;;#ASMEND
	;;#ASMSTART
	v_med3_f32 v28, v28, v38, v39
v_med3_f32 v29, v29, v38, v39
v_cvt_pk_fp8_f32 v30, v28, v29
	;;#ASMEND
	;;#ASMSTART
	v_pk_mul_f32 v[26:27], v[26:27], v[40:41]
	;;#ASMEND
	;;#ASMSTART
	v_med3_f32 v26, v26, v38, v39
v_med3_f32 v27, v27, v38, v39
v_cvt_pk_fp8_f32 v29, v26, v27
	;;#ASMEND
	;;#ASMSTART
	v_pk_mul_f32 v[24:25], v[24:25], v[40:41]
	;;#ASMEND
	;;#ASMSTART
	v_med3_f32 v24, v24, v38, v39
v_med3_f32 v25, v25, v38, v39
v_cvt_pk_fp8_f32 v26, v24, v25
	;;#ASMEND
	;;#ASMSTART
	v_pk_mul_f32 v[22:23], v[22:23], v[40:41]
	;;#ASMEND
	;;#ASMSTART
	v_med3_f32 v22, v22, v38, v39
v_med3_f32 v23, v23, v38, v39
v_cvt_pk_fp8_f32 v24, v22, v23
	;;#ASMEND
	;;#ASMSTART
	v_pk_mul_f32 v[20:21], v[20:21], v[40:41]
	;;#ASMEND
	;;#ASMSTART
	v_med3_f32 v20, v20, v38, v39
v_med3_f32 v21, v21, v38, v39
v_cvt_pk_fp8_f32 v22, v20, v21
	;;#ASMEND
	;;#ASMSTART
	v_pk_mul_f32 v[4:5], v[4:5], v[40:41]
	;;#ASMEND
	s_addc_u32 s5, s17, s5
	v_perm_b32 v28, v30, v42, s23
	;;#ASMSTART
	v_med3_f32 v4, v4, v38, v39
v_med3_f32 v5, v5, v38, v39
v_cvt_pk_fp8_f32 v20, v4, v5
	;;#ASMEND
	;;#ASMSTART
	v_pk_mul_f32 v[0:1], v[0:1], v[40:41]
	;;#ASMEND
	s_and_b32 s5, s5, 0xffff
	s_mov_b32 s7, s15
	v_perm_b32 v28, v28, v30, s24
	v_perm_b32 v29, v29, v26, s25
	;; [unrolled: 1-line block ×3, first 2 shown]
	;;#ASMSTART
	v_med3_f32 v0, v0, v38, v39
v_med3_f32 v1, v1, v38, v39
v_cvt_pk_fp8_f32 v4, v0, v1
	;;#ASMEND
	v_perm_b32 v31, v20, v4, s25
	buffer_store_dwordx4 v[28:31], v33, s[4:7], 0 offen
	;;#ASMSTART
	s_nop 0
	;;#ASMEND
	s_branch .LBB177_2
.LBB177_11:
	s_endpgm
	.section	.rodata,"a",@progbits
	.p2align	6, 0x0
	.amdhsa_kernel _ZN5aiter43moe_smooth_per_token_scaled_quant_kernel_v1ItDB8_Li512ELi16ELb0ELb0ELi1024EEEvPT0_PfPT_S4_PiS7_iiiii
		.amdhsa_group_segment_fixed_size 32
		.amdhsa_private_segment_fixed_size 0
		.amdhsa_kernarg_size 68
		.amdhsa_user_sgpr_count 6
		.amdhsa_user_sgpr_private_segment_buffer 1
		.amdhsa_user_sgpr_dispatch_ptr 0
		.amdhsa_user_sgpr_queue_ptr 0
		.amdhsa_user_sgpr_kernarg_segment_ptr 1
		.amdhsa_user_sgpr_dispatch_id 0
		.amdhsa_user_sgpr_flat_scratch_init 0
		.amdhsa_user_sgpr_kernarg_preload_length 0
		.amdhsa_user_sgpr_kernarg_preload_offset 0
		.amdhsa_user_sgpr_private_segment_size 0
		.amdhsa_uses_dynamic_stack 0
		.amdhsa_system_sgpr_private_segment_wavefront_offset 0
		.amdhsa_system_sgpr_workgroup_id_x 1
		.amdhsa_system_sgpr_workgroup_id_y 0
		.amdhsa_system_sgpr_workgroup_id_z 0
		.amdhsa_system_sgpr_workgroup_info 0
		.amdhsa_system_vgpr_workitem_id 0
		.amdhsa_next_free_vgpr 52
		.amdhsa_next_free_sgpr 28
		.amdhsa_accum_offset 52
		.amdhsa_reserve_vcc 1
		.amdhsa_reserve_flat_scratch 0
		.amdhsa_float_round_mode_32 0
		.amdhsa_float_round_mode_16_64 0
		.amdhsa_float_denorm_mode_32 3
		.amdhsa_float_denorm_mode_16_64 3
		.amdhsa_dx10_clamp 1
		.amdhsa_ieee_mode 1
		.amdhsa_fp16_overflow 0
		.amdhsa_tg_split 0
		.amdhsa_exception_fp_ieee_invalid_op 0
		.amdhsa_exception_fp_denorm_src 0
		.amdhsa_exception_fp_ieee_div_zero 0
		.amdhsa_exception_fp_ieee_overflow 0
		.amdhsa_exception_fp_ieee_underflow 0
		.amdhsa_exception_fp_ieee_inexact 0
		.amdhsa_exception_int_div_zero 0
	.end_amdhsa_kernel
	.section	.text._ZN5aiter43moe_smooth_per_token_scaled_quant_kernel_v1ItDB8_Li512ELi16ELb0ELb0ELi1024EEEvPT0_PfPT_S4_PiS7_iiiii,"axG",@progbits,_ZN5aiter43moe_smooth_per_token_scaled_quant_kernel_v1ItDB8_Li512ELi16ELb0ELb0ELi1024EEEvPT0_PfPT_S4_PiS7_iiiii,comdat
.Lfunc_end177:
	.size	_ZN5aiter43moe_smooth_per_token_scaled_quant_kernel_v1ItDB8_Li512ELi16ELb0ELb0ELi1024EEEvPT0_PfPT_S4_PiS7_iiiii, .Lfunc_end177-_ZN5aiter43moe_smooth_per_token_scaled_quant_kernel_v1ItDB8_Li512ELi16ELb0ELb0ELi1024EEEvPT0_PfPT_S4_PiS7_iiiii
                                        ; -- End function
	.section	.AMDGPU.csdata,"",@progbits
; Kernel info:
; codeLenInByte = 1400
; NumSgprs: 32
; NumVgprs: 52
; NumAgprs: 0
; TotalNumVgprs: 52
; ScratchSize: 0
; MemoryBound: 0
; FloatMode: 240
; IeeeMode: 1
; LDSByteSize: 32 bytes/workgroup (compile time only)
; SGPRBlocks: 3
; VGPRBlocks: 6
; NumSGPRsForWavesPerEU: 32
; NumVGPRsForWavesPerEU: 52
; AccumOffset: 52
; Occupancy: 8
; WaveLimiterHint : 0
; COMPUTE_PGM_RSRC2:SCRATCH_EN: 0
; COMPUTE_PGM_RSRC2:USER_SGPR: 6
; COMPUTE_PGM_RSRC2:TRAP_HANDLER: 0
; COMPUTE_PGM_RSRC2:TGID_X_EN: 1
; COMPUTE_PGM_RSRC2:TGID_Y_EN: 0
; COMPUTE_PGM_RSRC2:TGID_Z_EN: 0
; COMPUTE_PGM_RSRC2:TIDIG_COMP_CNT: 0
; COMPUTE_PGM_RSRC3_GFX90A:ACCUM_OFFSET: 12
; COMPUTE_PGM_RSRC3_GFX90A:TG_SPLIT: 0
	.section	.text._ZN5aiter43moe_smooth_per_token_scaled_quant_kernel_v1IDF16_aLi128ELi8ELb1ELb1ELi1024EEEvPT0_PfPT_S3_PiS6_iiiii,"axG",@progbits,_ZN5aiter43moe_smooth_per_token_scaled_quant_kernel_v1IDF16_aLi128ELi8ELb1ELb1ELi1024EEEvPT0_PfPT_S3_PiS6_iiiii,comdat
	.protected	_ZN5aiter43moe_smooth_per_token_scaled_quant_kernel_v1IDF16_aLi128ELi8ELb1ELb1ELi1024EEEvPT0_PfPT_S3_PiS6_iiiii ; -- Begin function _ZN5aiter43moe_smooth_per_token_scaled_quant_kernel_v1IDF16_aLi128ELi8ELb1ELb1ELi1024EEEvPT0_PfPT_S3_PiS6_iiiii
	.globl	_ZN5aiter43moe_smooth_per_token_scaled_quant_kernel_v1IDF16_aLi128ELi8ELb1ELb1ELi1024EEEvPT0_PfPT_S3_PiS6_iiiii
	.p2align	8
	.type	_ZN5aiter43moe_smooth_per_token_scaled_quant_kernel_v1IDF16_aLi128ELi8ELb1ELb1ELi1024EEEvPT0_PfPT_S3_PiS6_iiiii,@function
_ZN5aiter43moe_smooth_per_token_scaled_quant_kernel_v1IDF16_aLi128ELi8ELb1ELb1ELi1024EEEvPT0_PfPT_S3_PiS6_iiiii: ; @_ZN5aiter43moe_smooth_per_token_scaled_quant_kernel_v1IDF16_aLi128ELi8ELb1ELb1ELi1024EEEvPT0_PfPT_S3_PiS6_iiiii
; %bb.0:
	s_load_dword s7, s[4:5], 0x40
	s_load_dwordx8 s[8:15], s[4:5], 0x20
	s_load_dwordx2 s[16:17], s[4:5], 0x10
	v_and_b32_e32 v1, 0x3c0, v0
	v_lshlrev_b32_e32 v1, 2, v1
	v_lshlrev_b32_e32 v2, 2, v0
	s_waitcnt lgkmcnt(0)
	s_mov_b32 s0, s10
	v_readfirstlane_b32 s10, v1
	v_add_u32_e32 v3, 0x200, v1
	s_lshl_b32 s2, s7, 2
	s_and_b32 s1, s11, 0xffff
	s_mov_b32 s3, 0x20000
	;;#ASMSTART
	s_mov_b32 m0 s10
	buffer_load_dword v2, s[0:3], 0 offen offset:0 lds
	
	;;#ASMEND
	v_readfirstlane_b32 s10, v3
	v_add_u32_e32 v3, 0x200, v2
	;;#ASMSTART
	s_mov_b32 m0 s10
	buffer_load_dword v3, s[0:3], 0 offen offset:0 lds
	
	;;#ASMEND
	v_add_u32_e32 v3, 0x400, v1
	v_readfirstlane_b32 s10, v3
	v_add_u32_e32 v3, 0x400, v2
	;;#ASMSTART
	s_mov_b32 m0 s10
	buffer_load_dword v3, s[0:3], 0 offen offset:0 lds
	
	;;#ASMEND
	v_add_u32_e32 v3, 0x600, v1
	;; [unrolled: 8-line block ×6, first 2 shown]
	v_readfirstlane_b32 s10, v1
	v_add_u32_e32 v1, 0xe00, v2
	;;#ASMSTART
	s_mov_b32 m0 s10
	buffer_load_dword v1, s[0:3], 0 offen offset:0 lds
	
	;;#ASMEND
	s_mul_i32 s0, s6, s13
	s_ashr_i32 s1, s0, 31
	s_lshl_b64 s[0:1], s[0:1], 2
	s_add_u32 s0, s8, s0
	v_and_b32_e32 v1, 63, v0
	s_addc_u32 s1, s9, s1
	s_lshl_b32 s2, s13, 2
	s_and_b32 s1, s1, 0xffff
	v_lshlrev_b32_e32 v2, 2, v1
	buffer_load_dword v16, v2, s[0:3], 0 offen
	s_mul_hi_i32 s1, s15, s6
	s_mul_i32 s0, s15, s6
	s_lshl_b64 s[0:1], s[0:1], 1
	s_add_u32 s0, s16, s0
	s_addc_u32 s1, s17, s1
	s_lshl_b32 s2, s14, 1
	s_and_b32 s1, s1, 0xffff
	v_lshlrev_b32_e32 v2, 4, v0
	buffer_load_dwordx4 v[2:5], v2, s[0:3], 0 offen
	v_cmp_gt_i32_e32 vcc, s13, v1
	s_waitcnt vmcnt(1)
	s_barrier
	v_cmp_gt_i32_e64 s[2:3], s7, v16
	v_cmp_lt_i32_e64 s[0:1], -1, v16
	s_and_b64 s[2:3], vcc, s[2:3]
	s_and_b64 s[2:3], s[2:3], s[0:1]
	s_and_saveexec_b64 s[0:1], s[2:3]
	s_cbranch_execz .LBB178_2
; %bb.1:
	v_lshlrev_b32_e32 v6, 2, v16
	ds_read_b32 v16, v6
.LBB178_2:
	s_or_b64 exec, exec, s[0:1]
	s_cmp_lt_i32 s13, 1
	s_cbranch_scc1 .LBB178_13
; %bb.3:
	s_add_i32 s2, s14, 7
	s_load_dwordx4 s[8:11], s[4:5], 0x0
	s_load_dwordx2 s[24:25], s[4:5], 0x18
	s_ashr_i32 s3, s2, 31
	s_add_i32 s4, s14, 3
	s_waitcnt vmcnt(0)
	v_cvt_f32_f16_sdwa v7, v2 dst_sel:DWORD dst_unused:UNUSED_PAD src0_sel:WORD_1
	v_cvt_f32_f16_e32 v6, v2
	v_cvt_f32_f16_sdwa v9, v3 dst_sel:DWORD dst_unused:UNUSED_PAD src0_sel:WORD_1
	v_cvt_f32_f16_e32 v8, v3
	v_cvt_f32_f16_sdwa v3, v4 dst_sel:DWORD dst_unused:UNUSED_PAD src0_sel:WORD_1
	v_cvt_f32_f16_e32 v2, v4
	v_cvt_f32_f16_sdwa v11, v5 dst_sel:DWORD dst_unused:UNUSED_PAD src0_sel:WORD_1
	v_cvt_f32_f16_e32 v10, v5
	s_lshr_b32 s3, s3, 29
	s_ashr_i32 s5, s4, 31
	v_cmp_eq_u32_e32 vcc, 63, v1
	v_lshrrev_b32_e32 v1, 4, v0
	v_mov_b32_e32 v4, 0x1000
	s_add_i32 s2, s2, s3
	s_lshr_b32 s5, s5, 30
	v_and_or_b32 v19, v1, 60, v4
	v_and_b32_e32 v1, 1, v0
	s_ashr_i32 s2, s2, 3
	s_add_i32 s4, s4, s5
	v_lshlrev_b32_e32 v17, 3, v0
	s_lshl_b32 s18, s14, 2
	v_lshlrev_b32_e32 v18, 5, v0
	v_lshl_or_b32 v20, v1, 2, v4
	s_mov_b32 s15, 0
	v_cmp_eq_u32_e64 s[0:1], 0, v0
	v_cmp_gt_u32_e64 s[2:3], s2, v0
	s_and_b32 s22, s4, -4
	s_mov_b32 s19, 0x20000
	s_mov_b32 s26, 0x2edbe6ff
	v_mov_b32_e32 v21, 0
	s_branch .LBB178_6
.LBB178_4:                              ;   in Loop: Header=BB178_6 Depth=1
	s_or_b64 exec, exec, s[4:5]
.LBB178_5:                              ;   in Loop: Header=BB178_6 Depth=1
	s_add_i32 s15, s15, 1
	s_add_i32 s6, s6, s12
	s_cmp_eq_u32 s13, s15
	s_cbranch_scc1 .LBB178_13
.LBB178_6:                              ; =>This Inner Loop Header: Depth=1
	s_waitcnt lgkmcnt(0)
	v_readlane_b32 s4, v16, s15
	s_cmp_lt_i32 s4, 0
	s_cbranch_scc1 .LBB178_5
; %bb.7:                                ;   in Loop: Header=BB178_6 Depth=1
	s_mul_i32 s4, s4, s14
	s_ashr_i32 s5, s4, 31
	s_lshl_b64 s[4:5], s[4:5], 2
	s_add_u32 s16, s24, s4
	s_addc_u32 s4, s25, s5
	s_and_b32 s17, s4, 0xffff
	buffer_load_dwordx4 v[12:15], v18, s[16:19], 0 offen
	buffer_load_dwordx4 v[22:25], v18, s[16:19], 16 offen
	s_waitcnt vmcnt(1)
	v_pk_mul_f32 v[12:13], v[12:13], v[6:7]
	v_pk_mul_f32 v[14:15], v[14:15], v[8:9]
	s_waitcnt vmcnt(0)
	v_pk_mul_f32 v[0:1], v[22:23], v[2:3]
	v_max3_f32 v22, |v12|, s26, |v13|
	v_max3_f32 v22, v22, |v14|, |v15|
	v_pk_mul_f32 v[4:5], v[24:25], v[10:11]
	v_max3_f32 v22, v22, |v0|, |v1|
	v_max3_f32 v22, v22, |v4|, |v5|
	s_nop 1
	v_mov_b32_dpp v23, v22 quad_perm:[1,0,3,2] row_mask:0xf bank_mask:0xf
	v_cmp_gt_f32_e64 s[4:5], v22, v23
	v_cndmask_b32_e64 v22, v23, v22, s[4:5]
	s_nop 1
	v_mov_b32_dpp v23, v22 quad_perm:[2,3,0,1] row_mask:0xf bank_mask:0xf
	v_cmp_gt_f32_e64 s[4:5], v22, v23
	v_cndmask_b32_e64 v22, v23, v22, s[4:5]
	s_nop 1
	v_mov_b32_dpp v23, v22 row_half_mirror row_mask:0xf bank_mask:0xf
	v_cmp_gt_f32_e64 s[4:5], v22, v23
	v_cndmask_b32_e64 v22, v23, v22, s[4:5]
	s_nop 1
	v_mov_b32_dpp v23, v22 row_mirror row_mask:0xf bank_mask:0xf
	v_cmp_gt_f32_e64 s[4:5], v22, v23
	v_cndmask_b32_e64 v22, v23, v22, s[4:5]
	s_nop 1
	v_mov_b32_dpp v23, v22 row_bcast:15 row_mask:0xf bank_mask:0xf
	v_cmp_gt_f32_e64 s[4:5], v22, v23
	v_cndmask_b32_e64 v22, v23, v22, s[4:5]
	s_nop 1
	v_mov_b32_dpp v23, v22 row_bcast:31 row_mask:0xf bank_mask:0xf
	s_and_saveexec_b64 s[16:17], vcc
	s_cbranch_execz .LBB178_9
; %bb.8:                                ;   in Loop: Header=BB178_6 Depth=1
	v_cmp_gt_f32_e64 s[4:5], v22, v23
	v_cndmask_b32_e64 v22, v23, v22, s[4:5]
	ds_write_b32 v19, v22
.LBB178_9:                              ;   in Loop: Header=BB178_6 Depth=1
	s_or_b64 exec, exec, s[16:17]
	s_waitcnt lgkmcnt(0)
	s_barrier
	ds_read_b32 v22, v20
	s_waitcnt lgkmcnt(0)
	s_nop 0
	v_mov_b32_dpp v23, v22 quad_perm:[1,0,3,2] row_mask:0xf bank_mask:0xf
	v_cmp_gt_f32_e64 s[4:5], v22, v23
	v_cndmask_b32_e64 v22, v23, v22, s[4:5]
	v_mul_f32_e32 v22, 0x3c010204, v22
	s_and_saveexec_b64 s[4:5], s[0:1]
	s_cbranch_execz .LBB178_11
; %bb.10:                               ;   in Loop: Header=BB178_6 Depth=1
	s_ashr_i32 s7, s6, 31
	s_lshl_b64 s[16:17], s[6:7], 2
	s_add_u32 s16, s10, s16
	s_addc_u32 s17, s11, s17
	global_store_dword v21, v22, s[16:17]
.LBB178_11:                             ;   in Loop: Header=BB178_6 Depth=1
	s_or_b64 exec, exec, s[4:5]
	s_and_saveexec_b64 s[4:5], s[2:3]
	s_cbranch_execz .LBB178_4
; %bb.12:                               ;   in Loop: Header=BB178_6 Depth=1
	v_rcp_f32_e32 v22, v22
	s_mul_i32 s16, s6, s14
	s_mul_hi_i32 s7, s6, s14
	s_add_u32 s20, s8, s16
	v_mov_b32_e32 v23, v22
	;;#ASMSTART
	v_pk_mul_f32 v[12:13], v[12:13], v[22:23]
	;;#ASMEND
	v_cvt_i32_f32_e32 v24, v12
	v_cvt_i32_f32_sdwa v25, v13 dst_sel:BYTE_1 dst_unused:UNUSED_PAD src0_sel:DWORD
	;;#ASMSTART
	v_pk_mul_f32 v[12:13], v[14:15], v[22:23]
	;;#ASMEND
	;;#ASMSTART
	v_pk_mul_f32 v[0:1], v[0:1], v[22:23]
	;;#ASMEND
	v_cvt_i32_f32_e32 v12, v12
	v_cvt_i32_f32_sdwa v13, v13 dst_sel:BYTE_1 dst_unused:UNUSED_PAD src0_sel:DWORD
	v_cvt_i32_f32_e32 v14, v0
	v_cvt_i32_f32_sdwa v15, v1 dst_sel:BYTE_1 dst_unused:UNUSED_PAD src0_sel:DWORD
	;;#ASMSTART
	v_pk_mul_f32 v[0:1], v[4:5], v[22:23]
	;;#ASMEND
	v_cvt_i32_f32_e32 v4, v0
	v_cvt_i32_f32_sdwa v1, v1 dst_sel:BYTE_1 dst_unused:UNUSED_PAD src0_sel:DWORD
	v_or_b32_sdwa v0, v24, v25 dst_sel:DWORD dst_unused:UNUSED_PAD src0_sel:BYTE_0 src1_sel:DWORD
	v_or_b32_sdwa v5, v12, v13 dst_sel:WORD_1 dst_unused:UNUSED_PAD src0_sel:BYTE_0 src1_sel:DWORD
	s_addc_u32 s7, s9, s7
	v_or_b32_sdwa v0, v0, v5 dst_sel:DWORD dst_unused:UNUSED_PAD src0_sel:WORD_0 src1_sel:DWORD
	v_or_b32_sdwa v5, v14, v15 dst_sel:DWORD dst_unused:UNUSED_PAD src0_sel:BYTE_0 src1_sel:DWORD
	v_or_b32_sdwa v1, v4, v1 dst_sel:WORD_1 dst_unused:UNUSED_PAD src0_sel:BYTE_0 src1_sel:DWORD
	s_and_b32 s21, s7, 0xffff
	s_mov_b32 s23, s19
	v_or_b32_sdwa v1, v5, v1 dst_sel:DWORD dst_unused:UNUSED_PAD src0_sel:WORD_0 src1_sel:DWORD
	buffer_store_dwordx2 v[0:1], v17, s[20:23], 0 offen
	;;#ASMSTART
	s_nop 0
	;;#ASMEND
	s_branch .LBB178_4
.LBB178_13:
	s_endpgm
	.section	.rodata,"a",@progbits
	.p2align	6, 0x0
	.amdhsa_kernel _ZN5aiter43moe_smooth_per_token_scaled_quant_kernel_v1IDF16_aLi128ELi8ELb1ELb1ELi1024EEEvPT0_PfPT_S3_PiS6_iiiii
		.amdhsa_group_segment_fixed_size 4104
		.amdhsa_private_segment_fixed_size 0
		.amdhsa_kernarg_size 68
		.amdhsa_user_sgpr_count 6
		.amdhsa_user_sgpr_private_segment_buffer 1
		.amdhsa_user_sgpr_dispatch_ptr 0
		.amdhsa_user_sgpr_queue_ptr 0
		.amdhsa_user_sgpr_kernarg_segment_ptr 1
		.amdhsa_user_sgpr_dispatch_id 0
		.amdhsa_user_sgpr_flat_scratch_init 0
		.amdhsa_user_sgpr_kernarg_preload_length 0
		.amdhsa_user_sgpr_kernarg_preload_offset 0
		.amdhsa_user_sgpr_private_segment_size 0
		.amdhsa_uses_dynamic_stack 0
		.amdhsa_system_sgpr_private_segment_wavefront_offset 0
		.amdhsa_system_sgpr_workgroup_id_x 1
		.amdhsa_system_sgpr_workgroup_id_y 0
		.amdhsa_system_sgpr_workgroup_id_z 0
		.amdhsa_system_sgpr_workgroup_info 0
		.amdhsa_system_vgpr_workitem_id 0
		.amdhsa_next_free_vgpr 26
		.amdhsa_next_free_sgpr 27
		.amdhsa_accum_offset 28
		.amdhsa_reserve_vcc 1
		.amdhsa_reserve_flat_scratch 0
		.amdhsa_float_round_mode_32 0
		.amdhsa_float_round_mode_16_64 0
		.amdhsa_float_denorm_mode_32 3
		.amdhsa_float_denorm_mode_16_64 3
		.amdhsa_dx10_clamp 1
		.amdhsa_ieee_mode 1
		.amdhsa_fp16_overflow 0
		.amdhsa_tg_split 0
		.amdhsa_exception_fp_ieee_invalid_op 0
		.amdhsa_exception_fp_denorm_src 0
		.amdhsa_exception_fp_ieee_div_zero 0
		.amdhsa_exception_fp_ieee_overflow 0
		.amdhsa_exception_fp_ieee_underflow 0
		.amdhsa_exception_fp_ieee_inexact 0
		.amdhsa_exception_int_div_zero 0
	.end_amdhsa_kernel
	.section	.text._ZN5aiter43moe_smooth_per_token_scaled_quant_kernel_v1IDF16_aLi128ELi8ELb1ELb1ELi1024EEEvPT0_PfPT_S3_PiS6_iiiii,"axG",@progbits,_ZN5aiter43moe_smooth_per_token_scaled_quant_kernel_v1IDF16_aLi128ELi8ELb1ELb1ELi1024EEEvPT0_PfPT_S3_PiS6_iiiii,comdat
.Lfunc_end178:
	.size	_ZN5aiter43moe_smooth_per_token_scaled_quant_kernel_v1IDF16_aLi128ELi8ELb1ELb1ELi1024EEEvPT0_PfPT_S3_PiS6_iiiii, .Lfunc_end178-_ZN5aiter43moe_smooth_per_token_scaled_quant_kernel_v1IDF16_aLi128ELi8ELb1ELb1ELi1024EEEvPT0_PfPT_S3_PiS6_iiiii
                                        ; -- End function
	.section	.AMDGPU.csdata,"",@progbits
; Kernel info:
; codeLenInByte = 1332
; NumSgprs: 31
; NumVgprs: 26
; NumAgprs: 0
; TotalNumVgprs: 26
; ScratchSize: 0
; MemoryBound: 0
; FloatMode: 240
; IeeeMode: 1
; LDSByteSize: 4104 bytes/workgroup (compile time only)
; SGPRBlocks: 3
; VGPRBlocks: 3
; NumSGPRsForWavesPerEU: 31
; NumVGPRsForWavesPerEU: 26
; AccumOffset: 28
; Occupancy: 8
; WaveLimiterHint : 0
; COMPUTE_PGM_RSRC2:SCRATCH_EN: 0
; COMPUTE_PGM_RSRC2:USER_SGPR: 6
; COMPUTE_PGM_RSRC2:TRAP_HANDLER: 0
; COMPUTE_PGM_RSRC2:TGID_X_EN: 1
; COMPUTE_PGM_RSRC2:TGID_Y_EN: 0
; COMPUTE_PGM_RSRC2:TGID_Z_EN: 0
; COMPUTE_PGM_RSRC2:TIDIG_COMP_CNT: 0
; COMPUTE_PGM_RSRC3_GFX90A:ACCUM_OFFSET: 6
; COMPUTE_PGM_RSRC3_GFX90A:TG_SPLIT: 0
	.section	.text._ZN5aiter43moe_smooth_per_token_scaled_quant_kernel_v1ItaLi128ELi8ELb1ELb1ELi1024EEEvPT0_PfPT_S3_PiS6_iiiii,"axG",@progbits,_ZN5aiter43moe_smooth_per_token_scaled_quant_kernel_v1ItaLi128ELi8ELb1ELb1ELi1024EEEvPT0_PfPT_S3_PiS6_iiiii,comdat
	.protected	_ZN5aiter43moe_smooth_per_token_scaled_quant_kernel_v1ItaLi128ELi8ELb1ELb1ELi1024EEEvPT0_PfPT_S3_PiS6_iiiii ; -- Begin function _ZN5aiter43moe_smooth_per_token_scaled_quant_kernel_v1ItaLi128ELi8ELb1ELb1ELi1024EEEvPT0_PfPT_S3_PiS6_iiiii
	.globl	_ZN5aiter43moe_smooth_per_token_scaled_quant_kernel_v1ItaLi128ELi8ELb1ELb1ELi1024EEEvPT0_PfPT_S3_PiS6_iiiii
	.p2align	8
	.type	_ZN5aiter43moe_smooth_per_token_scaled_quant_kernel_v1ItaLi128ELi8ELb1ELb1ELi1024EEEvPT0_PfPT_S3_PiS6_iiiii,@function
_ZN5aiter43moe_smooth_per_token_scaled_quant_kernel_v1ItaLi128ELi8ELb1ELb1ELi1024EEEvPT0_PfPT_S3_PiS6_iiiii: ; @_ZN5aiter43moe_smooth_per_token_scaled_quant_kernel_v1ItaLi128ELi8ELb1ELb1ELi1024EEEvPT0_PfPT_S3_PiS6_iiiii
; %bb.0:
	s_load_dword s7, s[4:5], 0x40
	s_load_dwordx8 s[8:15], s[4:5], 0x20
	s_load_dwordx2 s[16:17], s[4:5], 0x10
	v_and_b32_e32 v1, 0x3c0, v0
	v_lshlrev_b32_e32 v1, 2, v1
	v_lshlrev_b32_e32 v2, 2, v0
	s_waitcnt lgkmcnt(0)
	s_mov_b32 s0, s10
	v_readfirstlane_b32 s10, v1
	v_add_u32_e32 v3, 0x200, v1
	s_lshl_b32 s2, s7, 2
	s_and_b32 s1, s11, 0xffff
	s_mov_b32 s3, 0x20000
	;;#ASMSTART
	s_mov_b32 m0 s10
	buffer_load_dword v2, s[0:3], 0 offen offset:0 lds
	
	;;#ASMEND
	v_readfirstlane_b32 s10, v3
	v_add_u32_e32 v3, 0x200, v2
	;;#ASMSTART
	s_mov_b32 m0 s10
	buffer_load_dword v3, s[0:3], 0 offen offset:0 lds
	
	;;#ASMEND
	v_add_u32_e32 v3, 0x400, v1
	v_readfirstlane_b32 s10, v3
	v_add_u32_e32 v3, 0x400, v2
	;;#ASMSTART
	s_mov_b32 m0 s10
	buffer_load_dword v3, s[0:3], 0 offen offset:0 lds
	
	;;#ASMEND
	v_add_u32_e32 v3, 0x600, v1
	;; [unrolled: 8-line block ×6, first 2 shown]
	v_readfirstlane_b32 s10, v1
	v_add_u32_e32 v1, 0xe00, v2
	;;#ASMSTART
	s_mov_b32 m0 s10
	buffer_load_dword v1, s[0:3], 0 offen offset:0 lds
	
	;;#ASMEND
	s_mul_i32 s0, s6, s13
	s_ashr_i32 s1, s0, 31
	s_lshl_b64 s[0:1], s[0:1], 2
	s_add_u32 s0, s8, s0
	v_and_b32_e32 v1, 63, v0
	s_addc_u32 s1, s9, s1
	s_lshl_b32 s2, s13, 2
	s_and_b32 s1, s1, 0xffff
	v_lshlrev_b32_e32 v2, 2, v1
	buffer_load_dword v16, v2, s[0:3], 0 offen
	s_mul_hi_i32 s1, s15, s6
	s_mul_i32 s0, s15, s6
	s_lshl_b64 s[0:1], s[0:1], 1
	s_add_u32 s0, s16, s0
	s_addc_u32 s1, s17, s1
	s_lshl_b32 s2, s14, 1
	s_and_b32 s1, s1, 0xffff
	v_lshlrev_b32_e32 v2, 4, v0
	buffer_load_dwordx4 v[2:5], v2, s[0:3], 0 offen
	v_cmp_gt_i32_e32 vcc, s13, v1
	s_waitcnt vmcnt(1)
	s_barrier
	v_cmp_gt_i32_e64 s[2:3], s7, v16
	v_cmp_lt_i32_e64 s[0:1], -1, v16
	s_and_b64 s[2:3], vcc, s[2:3]
	s_and_b64 s[2:3], s[2:3], s[0:1]
	s_and_saveexec_b64 s[0:1], s[2:3]
	s_cbranch_execz .LBB179_2
; %bb.1:
	v_lshlrev_b32_e32 v6, 2, v16
	ds_read_b32 v16, v6
.LBB179_2:
	s_or_b64 exec, exec, s[0:1]
	s_cmp_lt_i32 s13, 1
	s_cbranch_scc1 .LBB179_13
; %bb.3:
	s_add_i32 s2, s14, 7
	s_load_dwordx4 s[8:11], s[4:5], 0x0
	s_load_dwordx2 s[24:25], s[4:5], 0x18
	s_ashr_i32 s3, s2, 31
	s_add_i32 s4, s14, 3
	s_waitcnt vmcnt(0)
	v_cvt_f32_u32_sdwa v7, v2 dst_sel:DWORD dst_unused:UNUSED_PAD src0_sel:WORD_1
	v_cvt_f32_u32_sdwa v6, v2 dst_sel:DWORD dst_unused:UNUSED_PAD src0_sel:WORD_0
	v_cvt_f32_u32_sdwa v9, v3 dst_sel:DWORD dst_unused:UNUSED_PAD src0_sel:WORD_1
	v_cvt_f32_u32_sdwa v8, v3 dst_sel:DWORD dst_unused:UNUSED_PAD src0_sel:WORD_0
	;; [unrolled: 2-line block ×4, first 2 shown]
	s_lshr_b32 s3, s3, 29
	s_ashr_i32 s5, s4, 31
	v_cmp_eq_u32_e32 vcc, 63, v1
	v_lshrrev_b32_e32 v1, 4, v0
	v_mov_b32_e32 v4, 0x1000
	s_add_i32 s2, s2, s3
	s_lshr_b32 s5, s5, 30
	v_and_or_b32 v19, v1, 60, v4
	v_and_b32_e32 v1, 1, v0
	s_ashr_i32 s2, s2, 3
	s_add_i32 s4, s4, s5
	v_lshlrev_b32_e32 v17, 3, v0
	s_lshl_b32 s18, s14, 2
	v_lshlrev_b32_e32 v18, 5, v0
	v_lshl_or_b32 v20, v1, 2, v4
	s_mov_b32 s15, 0
	v_cmp_eq_u32_e64 s[0:1], 0, v0
	v_cmp_gt_u32_e64 s[2:3], s2, v0
	s_and_b32 s22, s4, -4
	s_mov_b32 s19, 0x20000
	s_mov_b32 s26, 0x2edbe6ff
	v_mov_b32_e32 v21, 0
	s_branch .LBB179_6
.LBB179_4:                              ;   in Loop: Header=BB179_6 Depth=1
	s_or_b64 exec, exec, s[4:5]
.LBB179_5:                              ;   in Loop: Header=BB179_6 Depth=1
	s_add_i32 s15, s15, 1
	s_add_i32 s6, s6, s12
	s_cmp_eq_u32 s13, s15
	s_cbranch_scc1 .LBB179_13
.LBB179_6:                              ; =>This Inner Loop Header: Depth=1
	s_waitcnt lgkmcnt(0)
	v_readlane_b32 s4, v16, s15
	s_cmp_lt_i32 s4, 0
	s_cbranch_scc1 .LBB179_5
; %bb.7:                                ;   in Loop: Header=BB179_6 Depth=1
	s_mul_i32 s4, s4, s14
	s_ashr_i32 s5, s4, 31
	s_lshl_b64 s[4:5], s[4:5], 2
	s_add_u32 s16, s24, s4
	s_addc_u32 s4, s25, s5
	s_and_b32 s17, s4, 0xffff
	buffer_load_dwordx4 v[12:15], v18, s[16:19], 0 offen
	buffer_load_dwordx4 v[22:25], v18, s[16:19], 16 offen
	s_waitcnt vmcnt(1)
	v_pk_mul_f32 v[12:13], v[12:13], v[6:7]
	v_pk_mul_f32 v[14:15], v[14:15], v[8:9]
	s_waitcnt vmcnt(0)
	v_pk_mul_f32 v[0:1], v[22:23], v[2:3]
	v_max3_f32 v22, |v12|, s26, |v13|
	v_max3_f32 v22, v22, |v14|, |v15|
	v_pk_mul_f32 v[4:5], v[24:25], v[10:11]
	v_max3_f32 v22, v22, |v0|, |v1|
	v_max3_f32 v22, v22, |v4|, |v5|
	s_nop 1
	v_mov_b32_dpp v23, v22 quad_perm:[1,0,3,2] row_mask:0xf bank_mask:0xf
	v_cmp_gt_f32_e64 s[4:5], v22, v23
	v_cndmask_b32_e64 v22, v23, v22, s[4:5]
	s_nop 1
	v_mov_b32_dpp v23, v22 quad_perm:[2,3,0,1] row_mask:0xf bank_mask:0xf
	v_cmp_gt_f32_e64 s[4:5], v22, v23
	v_cndmask_b32_e64 v22, v23, v22, s[4:5]
	s_nop 1
	v_mov_b32_dpp v23, v22 row_half_mirror row_mask:0xf bank_mask:0xf
	v_cmp_gt_f32_e64 s[4:5], v22, v23
	v_cndmask_b32_e64 v22, v23, v22, s[4:5]
	s_nop 1
	v_mov_b32_dpp v23, v22 row_mirror row_mask:0xf bank_mask:0xf
	v_cmp_gt_f32_e64 s[4:5], v22, v23
	v_cndmask_b32_e64 v22, v23, v22, s[4:5]
	s_nop 1
	v_mov_b32_dpp v23, v22 row_bcast:15 row_mask:0xf bank_mask:0xf
	v_cmp_gt_f32_e64 s[4:5], v22, v23
	v_cndmask_b32_e64 v22, v23, v22, s[4:5]
	s_nop 1
	v_mov_b32_dpp v23, v22 row_bcast:31 row_mask:0xf bank_mask:0xf
	s_and_saveexec_b64 s[16:17], vcc
	s_cbranch_execz .LBB179_9
; %bb.8:                                ;   in Loop: Header=BB179_6 Depth=1
	v_cmp_gt_f32_e64 s[4:5], v22, v23
	v_cndmask_b32_e64 v22, v23, v22, s[4:5]
	ds_write_b32 v19, v22
.LBB179_9:                              ;   in Loop: Header=BB179_6 Depth=1
	s_or_b64 exec, exec, s[16:17]
	s_waitcnt lgkmcnt(0)
	s_barrier
	ds_read_b32 v22, v20
	s_waitcnt lgkmcnt(0)
	s_nop 0
	v_mov_b32_dpp v23, v22 quad_perm:[1,0,3,2] row_mask:0xf bank_mask:0xf
	v_cmp_gt_f32_e64 s[4:5], v22, v23
	v_cndmask_b32_e64 v22, v23, v22, s[4:5]
	v_mul_f32_e32 v22, 0x3c010204, v22
	s_and_saveexec_b64 s[4:5], s[0:1]
	s_cbranch_execz .LBB179_11
; %bb.10:                               ;   in Loop: Header=BB179_6 Depth=1
	s_ashr_i32 s7, s6, 31
	s_lshl_b64 s[16:17], s[6:7], 2
	s_add_u32 s16, s10, s16
	s_addc_u32 s17, s11, s17
	global_store_dword v21, v22, s[16:17]
.LBB179_11:                             ;   in Loop: Header=BB179_6 Depth=1
	s_or_b64 exec, exec, s[4:5]
	s_and_saveexec_b64 s[4:5], s[2:3]
	s_cbranch_execz .LBB179_4
; %bb.12:                               ;   in Loop: Header=BB179_6 Depth=1
	v_rcp_f32_e32 v22, v22
	s_mul_i32 s16, s6, s14
	s_mul_hi_i32 s7, s6, s14
	s_add_u32 s20, s8, s16
	v_mov_b32_e32 v23, v22
	;;#ASMSTART
	v_pk_mul_f32 v[12:13], v[12:13], v[22:23]
	;;#ASMEND
	v_cvt_i32_f32_e32 v24, v12
	v_cvt_i32_f32_sdwa v25, v13 dst_sel:BYTE_1 dst_unused:UNUSED_PAD src0_sel:DWORD
	;;#ASMSTART
	v_pk_mul_f32 v[12:13], v[14:15], v[22:23]
	;;#ASMEND
	;;#ASMSTART
	v_pk_mul_f32 v[0:1], v[0:1], v[22:23]
	;;#ASMEND
	v_cvt_i32_f32_e32 v12, v12
	v_cvt_i32_f32_sdwa v13, v13 dst_sel:BYTE_1 dst_unused:UNUSED_PAD src0_sel:DWORD
	v_cvt_i32_f32_e32 v14, v0
	v_cvt_i32_f32_sdwa v15, v1 dst_sel:BYTE_1 dst_unused:UNUSED_PAD src0_sel:DWORD
	;;#ASMSTART
	v_pk_mul_f32 v[0:1], v[4:5], v[22:23]
	;;#ASMEND
	v_cvt_i32_f32_e32 v4, v0
	v_cvt_i32_f32_sdwa v1, v1 dst_sel:BYTE_1 dst_unused:UNUSED_PAD src0_sel:DWORD
	v_or_b32_sdwa v0, v24, v25 dst_sel:DWORD dst_unused:UNUSED_PAD src0_sel:BYTE_0 src1_sel:DWORD
	v_or_b32_sdwa v5, v12, v13 dst_sel:WORD_1 dst_unused:UNUSED_PAD src0_sel:BYTE_0 src1_sel:DWORD
	s_addc_u32 s7, s9, s7
	v_or_b32_sdwa v0, v0, v5 dst_sel:DWORD dst_unused:UNUSED_PAD src0_sel:WORD_0 src1_sel:DWORD
	v_or_b32_sdwa v5, v14, v15 dst_sel:DWORD dst_unused:UNUSED_PAD src0_sel:BYTE_0 src1_sel:DWORD
	v_or_b32_sdwa v1, v4, v1 dst_sel:WORD_1 dst_unused:UNUSED_PAD src0_sel:BYTE_0 src1_sel:DWORD
	s_and_b32 s21, s7, 0xffff
	s_mov_b32 s23, s19
	v_or_b32_sdwa v1, v5, v1 dst_sel:DWORD dst_unused:UNUSED_PAD src0_sel:WORD_0 src1_sel:DWORD
	buffer_store_dwordx2 v[0:1], v17, s[20:23], 0 offen
	;;#ASMSTART
	s_nop 0
	;;#ASMEND
	s_branch .LBB179_4
.LBB179_13:
	s_endpgm
	.section	.rodata,"a",@progbits
	.p2align	6, 0x0
	.amdhsa_kernel _ZN5aiter43moe_smooth_per_token_scaled_quant_kernel_v1ItaLi128ELi8ELb1ELb1ELi1024EEEvPT0_PfPT_S3_PiS6_iiiii
		.amdhsa_group_segment_fixed_size 4104
		.amdhsa_private_segment_fixed_size 0
		.amdhsa_kernarg_size 68
		.amdhsa_user_sgpr_count 6
		.amdhsa_user_sgpr_private_segment_buffer 1
		.amdhsa_user_sgpr_dispatch_ptr 0
		.amdhsa_user_sgpr_queue_ptr 0
		.amdhsa_user_sgpr_kernarg_segment_ptr 1
		.amdhsa_user_sgpr_dispatch_id 0
		.amdhsa_user_sgpr_flat_scratch_init 0
		.amdhsa_user_sgpr_kernarg_preload_length 0
		.amdhsa_user_sgpr_kernarg_preload_offset 0
		.amdhsa_user_sgpr_private_segment_size 0
		.amdhsa_uses_dynamic_stack 0
		.amdhsa_system_sgpr_private_segment_wavefront_offset 0
		.amdhsa_system_sgpr_workgroup_id_x 1
		.amdhsa_system_sgpr_workgroup_id_y 0
		.amdhsa_system_sgpr_workgroup_id_z 0
		.amdhsa_system_sgpr_workgroup_info 0
		.amdhsa_system_vgpr_workitem_id 0
		.amdhsa_next_free_vgpr 26
		.amdhsa_next_free_sgpr 27
		.amdhsa_accum_offset 28
		.amdhsa_reserve_vcc 1
		.amdhsa_reserve_flat_scratch 0
		.amdhsa_float_round_mode_32 0
		.amdhsa_float_round_mode_16_64 0
		.amdhsa_float_denorm_mode_32 3
		.amdhsa_float_denorm_mode_16_64 3
		.amdhsa_dx10_clamp 1
		.amdhsa_ieee_mode 1
		.amdhsa_fp16_overflow 0
		.amdhsa_tg_split 0
		.amdhsa_exception_fp_ieee_invalid_op 0
		.amdhsa_exception_fp_denorm_src 0
		.amdhsa_exception_fp_ieee_div_zero 0
		.amdhsa_exception_fp_ieee_overflow 0
		.amdhsa_exception_fp_ieee_underflow 0
		.amdhsa_exception_fp_ieee_inexact 0
		.amdhsa_exception_int_div_zero 0
	.end_amdhsa_kernel
	.section	.text._ZN5aiter43moe_smooth_per_token_scaled_quant_kernel_v1ItaLi128ELi8ELb1ELb1ELi1024EEEvPT0_PfPT_S3_PiS6_iiiii,"axG",@progbits,_ZN5aiter43moe_smooth_per_token_scaled_quant_kernel_v1ItaLi128ELi8ELb1ELb1ELi1024EEEvPT0_PfPT_S3_PiS6_iiiii,comdat
.Lfunc_end179:
	.size	_ZN5aiter43moe_smooth_per_token_scaled_quant_kernel_v1ItaLi128ELi8ELb1ELb1ELi1024EEEvPT0_PfPT_S3_PiS6_iiiii, .Lfunc_end179-_ZN5aiter43moe_smooth_per_token_scaled_quant_kernel_v1ItaLi128ELi8ELb1ELb1ELi1024EEEvPT0_PfPT_S3_PiS6_iiiii
                                        ; -- End function
	.section	.AMDGPU.csdata,"",@progbits
; Kernel info:
; codeLenInByte = 1348
; NumSgprs: 31
; NumVgprs: 26
; NumAgprs: 0
; TotalNumVgprs: 26
; ScratchSize: 0
; MemoryBound: 0
; FloatMode: 240
; IeeeMode: 1
; LDSByteSize: 4104 bytes/workgroup (compile time only)
; SGPRBlocks: 3
; VGPRBlocks: 3
; NumSGPRsForWavesPerEU: 31
; NumVGPRsForWavesPerEU: 26
; AccumOffset: 28
; Occupancy: 8
; WaveLimiterHint : 0
; COMPUTE_PGM_RSRC2:SCRATCH_EN: 0
; COMPUTE_PGM_RSRC2:USER_SGPR: 6
; COMPUTE_PGM_RSRC2:TRAP_HANDLER: 0
; COMPUTE_PGM_RSRC2:TGID_X_EN: 1
; COMPUTE_PGM_RSRC2:TGID_Y_EN: 0
; COMPUTE_PGM_RSRC2:TGID_Z_EN: 0
; COMPUTE_PGM_RSRC2:TIDIG_COMP_CNT: 0
; COMPUTE_PGM_RSRC3_GFX90A:ACCUM_OFFSET: 6
; COMPUTE_PGM_RSRC3_GFX90A:TG_SPLIT: 0
	.section	.text._ZN5aiter43moe_smooth_per_token_scaled_quant_kernel_v1IDF16_aLi128ELi8ELb1ELb0ELi1024EEEvPT0_PfPT_S3_PiS6_iiiii,"axG",@progbits,_ZN5aiter43moe_smooth_per_token_scaled_quant_kernel_v1IDF16_aLi128ELi8ELb1ELb0ELi1024EEEvPT0_PfPT_S3_PiS6_iiiii,comdat
	.protected	_ZN5aiter43moe_smooth_per_token_scaled_quant_kernel_v1IDF16_aLi128ELi8ELb1ELb0ELi1024EEEvPT0_PfPT_S3_PiS6_iiiii ; -- Begin function _ZN5aiter43moe_smooth_per_token_scaled_quant_kernel_v1IDF16_aLi128ELi8ELb1ELb0ELi1024EEEvPT0_PfPT_S3_PiS6_iiiii
	.globl	_ZN5aiter43moe_smooth_per_token_scaled_quant_kernel_v1IDF16_aLi128ELi8ELb1ELb0ELi1024EEEvPT0_PfPT_S3_PiS6_iiiii
	.p2align	8
	.type	_ZN5aiter43moe_smooth_per_token_scaled_quant_kernel_v1IDF16_aLi128ELi8ELb1ELb0ELi1024EEEvPT0_PfPT_S3_PiS6_iiiii,@function
_ZN5aiter43moe_smooth_per_token_scaled_quant_kernel_v1IDF16_aLi128ELi8ELb1ELb0ELi1024EEEvPT0_PfPT_S3_PiS6_iiiii: ; @_ZN5aiter43moe_smooth_per_token_scaled_quant_kernel_v1IDF16_aLi128ELi8ELb1ELb0ELi1024EEEvPT0_PfPT_S3_PiS6_iiiii
; %bb.0:
	s_load_dwordx4 s[8:11], s[4:5], 0x30
	s_load_dwordx2 s[0:1], s[4:5], 0x10
	s_load_dwordx2 s[2:3], s[4:5], 0x20
	v_and_b32_e32 v1, 63, v0
	s_mov_b32 s15, 0x20000
	s_waitcnt lgkmcnt(0)
	s_mul_i32 s12, s6, s9
	s_ashr_i32 s13, s12, 31
	s_lshl_b64 s[12:13], s[12:13], 2
	s_add_u32 s12, s2, s12
	s_addc_u32 s2, s3, s13
	s_and_b32 s13, s2, 0xffff
	s_mul_hi_i32 s3, s11, s6
	s_mul_i32 s2, s11, s6
	s_lshl_b32 s14, s9, 2
	v_lshlrev_b32_e32 v2, 2, v1
	s_lshl_b64 s[2:3], s[2:3], 1
	buffer_load_dword v16, v2, s[12:15], 0 offen
	s_add_u32 s12, s0, s2
	s_addc_u32 s0, s1, s3
	s_lshl_b32 s14, s10, 1
	s_and_b32 s13, s0, 0xffff
	v_lshlrev_b32_e32 v2, 4, v0
	buffer_load_dwordx4 v[2:5], v2, s[12:15], 0 offen
	s_mov_b32 s11, 0
	s_cmp_lt_i32 s9, 1
	s_waitcnt vmcnt(1)
	s_barrier
	s_cbranch_scc1 .LBB180_11
; %bb.1:
	s_add_i32 s2, s10, 7
	s_load_dwordx4 s[16:19], s[4:5], 0x0
	s_load_dwordx2 s[24:25], s[4:5], 0x18
	s_ashr_i32 s3, s2, 31
	s_add_i32 s4, s10, 3
	s_waitcnt vmcnt(0)
	v_cvt_f32_f16_sdwa v7, v2 dst_sel:DWORD dst_unused:UNUSED_PAD src0_sel:WORD_1
	v_cvt_f32_f16_e32 v6, v2
	v_cvt_f32_f16_sdwa v9, v3 dst_sel:DWORD dst_unused:UNUSED_PAD src0_sel:WORD_1
	v_cvt_f32_f16_e32 v8, v3
	;; [unrolled: 2-line block ×4, first 2 shown]
	s_lshr_b32 s3, s3, 29
	s_ashr_i32 s5, s4, 31
	v_cmp_eq_u32_e32 vcc, 63, v1
	v_lshrrev_b32_e32 v1, 4, v0
	s_add_i32 s2, s2, s3
	s_lshr_b32 s5, s5, 30
	v_and_b32_e32 v19, 60, v1
	v_and_b32_e32 v1, 1, v0
	s_ashr_i32 s2, s2, 3
	s_add_i32 s4, s4, s5
	v_lshlrev_b32_e32 v17, 3, v0
	s_lshl_b32 s14, s10, 2
	v_lshlrev_b32_e32 v18, 5, v0
	v_lshlrev_b32_e32 v20, 2, v1
	v_cmp_eq_u32_e64 s[0:1], 0, v0
	v_cmp_gt_u32_e64 s[2:3], s2, v0
	s_and_b32 s22, s4, -4
	s_mov_b32 s26, 0x2edbe6ff
	v_mov_b32_e32 v21, 0
	s_branch .LBB180_4
.LBB180_2:                              ;   in Loop: Header=BB180_4 Depth=1
	s_or_b64 exec, exec, s[4:5]
.LBB180_3:                              ;   in Loop: Header=BB180_4 Depth=1
	s_add_i32 s11, s11, 1
	s_add_i32 s6, s6, s8
	s_cmp_eq_u32 s9, s11
	s_cbranch_scc1 .LBB180_11
.LBB180_4:                              ; =>This Inner Loop Header: Depth=1
	v_readlane_b32 s4, v16, s11
	s_cmp_lt_i32 s4, 0
	s_cbranch_scc1 .LBB180_3
; %bb.5:                                ;   in Loop: Header=BB180_4 Depth=1
	s_mul_i32 s4, s4, s10
	s_ashr_i32 s5, s4, 31
	s_lshl_b64 s[4:5], s[4:5], 2
	s_waitcnt lgkmcnt(0)
	s_add_u32 s12, s24, s4
	s_addc_u32 s4, s25, s5
	s_and_b32 s13, s4, 0xffff
	buffer_load_dwordx4 v[12:15], v18, s[12:15], 0 offen
	buffer_load_dwordx4 v[22:25], v18, s[12:15], 16 offen
	s_waitcnt vmcnt(1)
	v_pk_mul_f32 v[12:13], v[12:13], v[6:7]
	v_pk_mul_f32 v[14:15], v[14:15], v[8:9]
	s_waitcnt vmcnt(0)
	v_pk_mul_f32 v[0:1], v[22:23], v[2:3]
	v_max3_f32 v22, |v12|, s26, |v13|
	v_max3_f32 v22, v22, |v14|, |v15|
	v_pk_mul_f32 v[4:5], v[24:25], v[10:11]
	v_max3_f32 v22, v22, |v0|, |v1|
	v_max3_f32 v22, v22, |v4|, |v5|
	s_nop 1
	v_mov_b32_dpp v23, v22 quad_perm:[1,0,3,2] row_mask:0xf bank_mask:0xf
	v_cmp_gt_f32_e64 s[4:5], v22, v23
	v_cndmask_b32_e64 v22, v23, v22, s[4:5]
	s_nop 1
	v_mov_b32_dpp v23, v22 quad_perm:[2,3,0,1] row_mask:0xf bank_mask:0xf
	v_cmp_gt_f32_e64 s[4:5], v22, v23
	v_cndmask_b32_e64 v22, v23, v22, s[4:5]
	s_nop 1
	v_mov_b32_dpp v23, v22 row_half_mirror row_mask:0xf bank_mask:0xf
	v_cmp_gt_f32_e64 s[4:5], v22, v23
	v_cndmask_b32_e64 v22, v23, v22, s[4:5]
	s_nop 1
	v_mov_b32_dpp v23, v22 row_mirror row_mask:0xf bank_mask:0xf
	v_cmp_gt_f32_e64 s[4:5], v22, v23
	v_cndmask_b32_e64 v22, v23, v22, s[4:5]
	s_nop 1
	v_mov_b32_dpp v23, v22 row_bcast:15 row_mask:0xf bank_mask:0xf
	v_cmp_gt_f32_e64 s[4:5], v22, v23
	v_cndmask_b32_e64 v22, v23, v22, s[4:5]
	s_nop 1
	v_mov_b32_dpp v23, v22 row_bcast:31 row_mask:0xf bank_mask:0xf
	s_and_saveexec_b64 s[12:13], vcc
	s_cbranch_execz .LBB180_7
; %bb.6:                                ;   in Loop: Header=BB180_4 Depth=1
	v_cmp_gt_f32_e64 s[4:5], v22, v23
	v_cndmask_b32_e64 v22, v23, v22, s[4:5]
	ds_write_b32 v19, v22
.LBB180_7:                              ;   in Loop: Header=BB180_4 Depth=1
	s_or_b64 exec, exec, s[12:13]
	s_waitcnt lgkmcnt(0)
	s_barrier
	ds_read_b32 v22, v20
	s_waitcnt lgkmcnt(0)
	s_nop 0
	v_mov_b32_dpp v23, v22 quad_perm:[1,0,3,2] row_mask:0xf bank_mask:0xf
	v_cmp_gt_f32_e64 s[4:5], v22, v23
	v_cndmask_b32_e64 v22, v23, v22, s[4:5]
	v_mul_f32_e32 v22, 0x3c010204, v22
	s_and_saveexec_b64 s[4:5], s[0:1]
	s_cbranch_execz .LBB180_9
; %bb.8:                                ;   in Loop: Header=BB180_4 Depth=1
	s_ashr_i32 s7, s6, 31
	s_lshl_b64 s[12:13], s[6:7], 2
	s_add_u32 s12, s18, s12
	s_addc_u32 s13, s19, s13
	global_store_dword v21, v22, s[12:13]
.LBB180_9:                              ;   in Loop: Header=BB180_4 Depth=1
	s_or_b64 exec, exec, s[4:5]
	s_and_saveexec_b64 s[4:5], s[2:3]
	s_cbranch_execz .LBB180_2
; %bb.10:                               ;   in Loop: Header=BB180_4 Depth=1
	v_rcp_f32_e32 v22, v22
	s_mul_i32 s12, s6, s10
	s_mul_hi_i32 s7, s6, s10
	s_add_u32 s20, s16, s12
	v_mov_b32_e32 v23, v22
	;;#ASMSTART
	v_pk_mul_f32 v[12:13], v[12:13], v[22:23]
	;;#ASMEND
	v_cvt_i32_f32_e32 v24, v12
	v_cvt_i32_f32_sdwa v25, v13 dst_sel:BYTE_1 dst_unused:UNUSED_PAD src0_sel:DWORD
	;;#ASMSTART
	v_pk_mul_f32 v[12:13], v[14:15], v[22:23]
	;;#ASMEND
	;;#ASMSTART
	v_pk_mul_f32 v[0:1], v[0:1], v[22:23]
	;;#ASMEND
	v_cvt_i32_f32_e32 v12, v12
	v_cvt_i32_f32_sdwa v13, v13 dst_sel:BYTE_1 dst_unused:UNUSED_PAD src0_sel:DWORD
	v_cvt_i32_f32_e32 v14, v0
	v_cvt_i32_f32_sdwa v15, v1 dst_sel:BYTE_1 dst_unused:UNUSED_PAD src0_sel:DWORD
	;;#ASMSTART
	v_pk_mul_f32 v[0:1], v[4:5], v[22:23]
	;;#ASMEND
	v_cvt_i32_f32_e32 v4, v0
	v_cvt_i32_f32_sdwa v1, v1 dst_sel:BYTE_1 dst_unused:UNUSED_PAD src0_sel:DWORD
	v_or_b32_sdwa v0, v24, v25 dst_sel:DWORD dst_unused:UNUSED_PAD src0_sel:BYTE_0 src1_sel:DWORD
	v_or_b32_sdwa v5, v12, v13 dst_sel:WORD_1 dst_unused:UNUSED_PAD src0_sel:BYTE_0 src1_sel:DWORD
	s_addc_u32 s7, s17, s7
	v_or_b32_sdwa v0, v0, v5 dst_sel:DWORD dst_unused:UNUSED_PAD src0_sel:WORD_0 src1_sel:DWORD
	v_or_b32_sdwa v5, v14, v15 dst_sel:DWORD dst_unused:UNUSED_PAD src0_sel:BYTE_0 src1_sel:DWORD
	v_or_b32_sdwa v1, v4, v1 dst_sel:WORD_1 dst_unused:UNUSED_PAD src0_sel:BYTE_0 src1_sel:DWORD
	s_and_b32 s21, s7, 0xffff
	s_mov_b32 s23, s15
	v_or_b32_sdwa v1, v5, v1 dst_sel:DWORD dst_unused:UNUSED_PAD src0_sel:WORD_0 src1_sel:DWORD
	buffer_store_dwordx2 v[0:1], v17, s[20:23], 0 offen
	;;#ASMSTART
	s_nop 0
	;;#ASMEND
	s_branch .LBB180_2
.LBB180_11:
	s_endpgm
	.section	.rodata,"a",@progbits
	.p2align	6, 0x0
	.amdhsa_kernel _ZN5aiter43moe_smooth_per_token_scaled_quant_kernel_v1IDF16_aLi128ELi8ELb1ELb0ELi1024EEEvPT0_PfPT_S3_PiS6_iiiii
		.amdhsa_group_segment_fixed_size 8
		.amdhsa_private_segment_fixed_size 0
		.amdhsa_kernarg_size 68
		.amdhsa_user_sgpr_count 6
		.amdhsa_user_sgpr_private_segment_buffer 1
		.amdhsa_user_sgpr_dispatch_ptr 0
		.amdhsa_user_sgpr_queue_ptr 0
		.amdhsa_user_sgpr_kernarg_segment_ptr 1
		.amdhsa_user_sgpr_dispatch_id 0
		.amdhsa_user_sgpr_flat_scratch_init 0
		.amdhsa_user_sgpr_kernarg_preload_length 0
		.amdhsa_user_sgpr_kernarg_preload_offset 0
		.amdhsa_user_sgpr_private_segment_size 0
		.amdhsa_uses_dynamic_stack 0
		.amdhsa_system_sgpr_private_segment_wavefront_offset 0
		.amdhsa_system_sgpr_workgroup_id_x 1
		.amdhsa_system_sgpr_workgroup_id_y 0
		.amdhsa_system_sgpr_workgroup_id_z 0
		.amdhsa_system_sgpr_workgroup_info 0
		.amdhsa_system_vgpr_workitem_id 0
		.amdhsa_next_free_vgpr 26
		.amdhsa_next_free_sgpr 27
		.amdhsa_accum_offset 28
		.amdhsa_reserve_vcc 1
		.amdhsa_reserve_flat_scratch 0
		.amdhsa_float_round_mode_32 0
		.amdhsa_float_round_mode_16_64 0
		.amdhsa_float_denorm_mode_32 3
		.amdhsa_float_denorm_mode_16_64 3
		.amdhsa_dx10_clamp 1
		.amdhsa_ieee_mode 1
		.amdhsa_fp16_overflow 0
		.amdhsa_tg_split 0
		.amdhsa_exception_fp_ieee_invalid_op 0
		.amdhsa_exception_fp_denorm_src 0
		.amdhsa_exception_fp_ieee_div_zero 0
		.amdhsa_exception_fp_ieee_overflow 0
		.amdhsa_exception_fp_ieee_underflow 0
		.amdhsa_exception_fp_ieee_inexact 0
		.amdhsa_exception_int_div_zero 0
	.end_amdhsa_kernel
	.section	.text._ZN5aiter43moe_smooth_per_token_scaled_quant_kernel_v1IDF16_aLi128ELi8ELb1ELb0ELi1024EEEvPT0_PfPT_S3_PiS6_iiiii,"axG",@progbits,_ZN5aiter43moe_smooth_per_token_scaled_quant_kernel_v1IDF16_aLi128ELi8ELb1ELb0ELi1024EEEvPT0_PfPT_S3_PiS6_iiiii,comdat
.Lfunc_end180:
	.size	_ZN5aiter43moe_smooth_per_token_scaled_quant_kernel_v1IDF16_aLi128ELi8ELb1ELb0ELi1024EEEvPT0_PfPT_S3_PiS6_iiiii, .Lfunc_end180-_ZN5aiter43moe_smooth_per_token_scaled_quant_kernel_v1IDF16_aLi128ELi8ELb1ELb0ELi1024EEEvPT0_PfPT_S3_PiS6_iiiii
                                        ; -- End function
	.section	.AMDGPU.csdata,"",@progbits
; Kernel info:
; codeLenInByte = 952
; NumSgprs: 31
; NumVgprs: 26
; NumAgprs: 0
; TotalNumVgprs: 26
; ScratchSize: 0
; MemoryBound: 0
; FloatMode: 240
; IeeeMode: 1
; LDSByteSize: 8 bytes/workgroup (compile time only)
; SGPRBlocks: 3
; VGPRBlocks: 3
; NumSGPRsForWavesPerEU: 31
; NumVGPRsForWavesPerEU: 26
; AccumOffset: 28
; Occupancy: 8
; WaveLimiterHint : 0
; COMPUTE_PGM_RSRC2:SCRATCH_EN: 0
; COMPUTE_PGM_RSRC2:USER_SGPR: 6
; COMPUTE_PGM_RSRC2:TRAP_HANDLER: 0
; COMPUTE_PGM_RSRC2:TGID_X_EN: 1
; COMPUTE_PGM_RSRC2:TGID_Y_EN: 0
; COMPUTE_PGM_RSRC2:TGID_Z_EN: 0
; COMPUTE_PGM_RSRC2:TIDIG_COMP_CNT: 0
; COMPUTE_PGM_RSRC3_GFX90A:ACCUM_OFFSET: 6
; COMPUTE_PGM_RSRC3_GFX90A:TG_SPLIT: 0
	.section	.text._ZN5aiter43moe_smooth_per_token_scaled_quant_kernel_v1ItaLi128ELi8ELb1ELb0ELi1024EEEvPT0_PfPT_S3_PiS6_iiiii,"axG",@progbits,_ZN5aiter43moe_smooth_per_token_scaled_quant_kernel_v1ItaLi128ELi8ELb1ELb0ELi1024EEEvPT0_PfPT_S3_PiS6_iiiii,comdat
	.protected	_ZN5aiter43moe_smooth_per_token_scaled_quant_kernel_v1ItaLi128ELi8ELb1ELb0ELi1024EEEvPT0_PfPT_S3_PiS6_iiiii ; -- Begin function _ZN5aiter43moe_smooth_per_token_scaled_quant_kernel_v1ItaLi128ELi8ELb1ELb0ELi1024EEEvPT0_PfPT_S3_PiS6_iiiii
	.globl	_ZN5aiter43moe_smooth_per_token_scaled_quant_kernel_v1ItaLi128ELi8ELb1ELb0ELi1024EEEvPT0_PfPT_S3_PiS6_iiiii
	.p2align	8
	.type	_ZN5aiter43moe_smooth_per_token_scaled_quant_kernel_v1ItaLi128ELi8ELb1ELb0ELi1024EEEvPT0_PfPT_S3_PiS6_iiiii,@function
_ZN5aiter43moe_smooth_per_token_scaled_quant_kernel_v1ItaLi128ELi8ELb1ELb0ELi1024EEEvPT0_PfPT_S3_PiS6_iiiii: ; @_ZN5aiter43moe_smooth_per_token_scaled_quant_kernel_v1ItaLi128ELi8ELb1ELb0ELi1024EEEvPT0_PfPT_S3_PiS6_iiiii
; %bb.0:
	s_load_dwordx4 s[8:11], s[4:5], 0x30
	s_load_dwordx2 s[0:1], s[4:5], 0x10
	s_load_dwordx2 s[2:3], s[4:5], 0x20
	v_and_b32_e32 v1, 63, v0
	s_mov_b32 s15, 0x20000
	s_waitcnt lgkmcnt(0)
	s_mul_i32 s12, s6, s9
	s_ashr_i32 s13, s12, 31
	s_lshl_b64 s[12:13], s[12:13], 2
	s_add_u32 s12, s2, s12
	s_addc_u32 s2, s3, s13
	s_and_b32 s13, s2, 0xffff
	s_mul_hi_i32 s3, s11, s6
	s_mul_i32 s2, s11, s6
	s_lshl_b32 s14, s9, 2
	v_lshlrev_b32_e32 v2, 2, v1
	s_lshl_b64 s[2:3], s[2:3], 1
	buffer_load_dword v16, v2, s[12:15], 0 offen
	s_add_u32 s12, s0, s2
	s_addc_u32 s0, s1, s3
	s_lshl_b32 s14, s10, 1
	s_and_b32 s13, s0, 0xffff
	v_lshlrev_b32_e32 v2, 4, v0
	buffer_load_dwordx4 v[2:5], v2, s[12:15], 0 offen
	s_mov_b32 s11, 0
	s_cmp_lt_i32 s9, 1
	s_waitcnt vmcnt(1)
	s_barrier
	s_cbranch_scc1 .LBB181_11
; %bb.1:
	s_add_i32 s2, s10, 7
	s_load_dwordx4 s[16:19], s[4:5], 0x0
	s_load_dwordx2 s[24:25], s[4:5], 0x18
	s_ashr_i32 s3, s2, 31
	s_add_i32 s4, s10, 3
	s_waitcnt vmcnt(0)
	v_cvt_f32_u32_sdwa v7, v2 dst_sel:DWORD dst_unused:UNUSED_PAD src0_sel:WORD_1
	v_cvt_f32_u32_sdwa v6, v2 dst_sel:DWORD dst_unused:UNUSED_PAD src0_sel:WORD_0
	v_cvt_f32_u32_sdwa v9, v3 dst_sel:DWORD dst_unused:UNUSED_PAD src0_sel:WORD_1
	v_cvt_f32_u32_sdwa v8, v3 dst_sel:DWORD dst_unused:UNUSED_PAD src0_sel:WORD_0
	;; [unrolled: 2-line block ×4, first 2 shown]
	s_lshr_b32 s3, s3, 29
	s_ashr_i32 s5, s4, 31
	v_cmp_eq_u32_e32 vcc, 63, v1
	v_lshrrev_b32_e32 v1, 4, v0
	s_add_i32 s2, s2, s3
	s_lshr_b32 s5, s5, 30
	v_and_b32_e32 v19, 60, v1
	v_and_b32_e32 v1, 1, v0
	s_ashr_i32 s2, s2, 3
	s_add_i32 s4, s4, s5
	v_lshlrev_b32_e32 v17, 3, v0
	s_lshl_b32 s14, s10, 2
	v_lshlrev_b32_e32 v18, 5, v0
	v_lshlrev_b32_e32 v20, 2, v1
	v_cmp_eq_u32_e64 s[0:1], 0, v0
	v_cmp_gt_u32_e64 s[2:3], s2, v0
	s_and_b32 s22, s4, -4
	s_mov_b32 s26, 0x2edbe6ff
	v_mov_b32_e32 v21, 0
	s_branch .LBB181_4
.LBB181_2:                              ;   in Loop: Header=BB181_4 Depth=1
	s_or_b64 exec, exec, s[4:5]
.LBB181_3:                              ;   in Loop: Header=BB181_4 Depth=1
	s_add_i32 s11, s11, 1
	s_add_i32 s6, s6, s8
	s_cmp_eq_u32 s9, s11
	s_cbranch_scc1 .LBB181_11
.LBB181_4:                              ; =>This Inner Loop Header: Depth=1
	v_readlane_b32 s4, v16, s11
	s_cmp_lt_i32 s4, 0
	s_cbranch_scc1 .LBB181_3
; %bb.5:                                ;   in Loop: Header=BB181_4 Depth=1
	s_mul_i32 s4, s4, s10
	s_ashr_i32 s5, s4, 31
	s_lshl_b64 s[4:5], s[4:5], 2
	s_waitcnt lgkmcnt(0)
	s_add_u32 s12, s24, s4
	s_addc_u32 s4, s25, s5
	s_and_b32 s13, s4, 0xffff
	buffer_load_dwordx4 v[12:15], v18, s[12:15], 0 offen
	buffer_load_dwordx4 v[22:25], v18, s[12:15], 16 offen
	s_waitcnt vmcnt(1)
	v_pk_mul_f32 v[12:13], v[12:13], v[6:7]
	v_pk_mul_f32 v[14:15], v[14:15], v[8:9]
	s_waitcnt vmcnt(0)
	v_pk_mul_f32 v[0:1], v[22:23], v[2:3]
	v_max3_f32 v22, |v12|, s26, |v13|
	v_max3_f32 v22, v22, |v14|, |v15|
	v_pk_mul_f32 v[4:5], v[24:25], v[10:11]
	v_max3_f32 v22, v22, |v0|, |v1|
	v_max3_f32 v22, v22, |v4|, |v5|
	s_nop 1
	v_mov_b32_dpp v23, v22 quad_perm:[1,0,3,2] row_mask:0xf bank_mask:0xf
	v_cmp_gt_f32_e64 s[4:5], v22, v23
	v_cndmask_b32_e64 v22, v23, v22, s[4:5]
	s_nop 1
	v_mov_b32_dpp v23, v22 quad_perm:[2,3,0,1] row_mask:0xf bank_mask:0xf
	v_cmp_gt_f32_e64 s[4:5], v22, v23
	v_cndmask_b32_e64 v22, v23, v22, s[4:5]
	s_nop 1
	v_mov_b32_dpp v23, v22 row_half_mirror row_mask:0xf bank_mask:0xf
	v_cmp_gt_f32_e64 s[4:5], v22, v23
	v_cndmask_b32_e64 v22, v23, v22, s[4:5]
	s_nop 1
	v_mov_b32_dpp v23, v22 row_mirror row_mask:0xf bank_mask:0xf
	v_cmp_gt_f32_e64 s[4:5], v22, v23
	v_cndmask_b32_e64 v22, v23, v22, s[4:5]
	s_nop 1
	v_mov_b32_dpp v23, v22 row_bcast:15 row_mask:0xf bank_mask:0xf
	v_cmp_gt_f32_e64 s[4:5], v22, v23
	v_cndmask_b32_e64 v22, v23, v22, s[4:5]
	s_nop 1
	v_mov_b32_dpp v23, v22 row_bcast:31 row_mask:0xf bank_mask:0xf
	s_and_saveexec_b64 s[12:13], vcc
	s_cbranch_execz .LBB181_7
; %bb.6:                                ;   in Loop: Header=BB181_4 Depth=1
	v_cmp_gt_f32_e64 s[4:5], v22, v23
	v_cndmask_b32_e64 v22, v23, v22, s[4:5]
	ds_write_b32 v19, v22
.LBB181_7:                              ;   in Loop: Header=BB181_4 Depth=1
	s_or_b64 exec, exec, s[12:13]
	s_waitcnt lgkmcnt(0)
	s_barrier
	ds_read_b32 v22, v20
	s_waitcnt lgkmcnt(0)
	s_nop 0
	v_mov_b32_dpp v23, v22 quad_perm:[1,0,3,2] row_mask:0xf bank_mask:0xf
	v_cmp_gt_f32_e64 s[4:5], v22, v23
	v_cndmask_b32_e64 v22, v23, v22, s[4:5]
	v_mul_f32_e32 v22, 0x3c010204, v22
	s_and_saveexec_b64 s[4:5], s[0:1]
	s_cbranch_execz .LBB181_9
; %bb.8:                                ;   in Loop: Header=BB181_4 Depth=1
	s_ashr_i32 s7, s6, 31
	s_lshl_b64 s[12:13], s[6:7], 2
	s_add_u32 s12, s18, s12
	s_addc_u32 s13, s19, s13
	global_store_dword v21, v22, s[12:13]
.LBB181_9:                              ;   in Loop: Header=BB181_4 Depth=1
	s_or_b64 exec, exec, s[4:5]
	s_and_saveexec_b64 s[4:5], s[2:3]
	s_cbranch_execz .LBB181_2
; %bb.10:                               ;   in Loop: Header=BB181_4 Depth=1
	v_rcp_f32_e32 v22, v22
	s_mul_i32 s12, s6, s10
	s_mul_hi_i32 s7, s6, s10
	s_add_u32 s20, s16, s12
	v_mov_b32_e32 v23, v22
	;;#ASMSTART
	v_pk_mul_f32 v[12:13], v[12:13], v[22:23]
	;;#ASMEND
	v_cvt_i32_f32_e32 v24, v12
	v_cvt_i32_f32_sdwa v25, v13 dst_sel:BYTE_1 dst_unused:UNUSED_PAD src0_sel:DWORD
	;;#ASMSTART
	v_pk_mul_f32 v[12:13], v[14:15], v[22:23]
	;;#ASMEND
	;;#ASMSTART
	v_pk_mul_f32 v[0:1], v[0:1], v[22:23]
	;;#ASMEND
	v_cvt_i32_f32_e32 v12, v12
	v_cvt_i32_f32_sdwa v13, v13 dst_sel:BYTE_1 dst_unused:UNUSED_PAD src0_sel:DWORD
	v_cvt_i32_f32_e32 v14, v0
	v_cvt_i32_f32_sdwa v15, v1 dst_sel:BYTE_1 dst_unused:UNUSED_PAD src0_sel:DWORD
	;;#ASMSTART
	v_pk_mul_f32 v[0:1], v[4:5], v[22:23]
	;;#ASMEND
	v_cvt_i32_f32_e32 v4, v0
	v_cvt_i32_f32_sdwa v1, v1 dst_sel:BYTE_1 dst_unused:UNUSED_PAD src0_sel:DWORD
	v_or_b32_sdwa v0, v24, v25 dst_sel:DWORD dst_unused:UNUSED_PAD src0_sel:BYTE_0 src1_sel:DWORD
	v_or_b32_sdwa v5, v12, v13 dst_sel:WORD_1 dst_unused:UNUSED_PAD src0_sel:BYTE_0 src1_sel:DWORD
	s_addc_u32 s7, s17, s7
	v_or_b32_sdwa v0, v0, v5 dst_sel:DWORD dst_unused:UNUSED_PAD src0_sel:WORD_0 src1_sel:DWORD
	v_or_b32_sdwa v5, v14, v15 dst_sel:DWORD dst_unused:UNUSED_PAD src0_sel:BYTE_0 src1_sel:DWORD
	v_or_b32_sdwa v1, v4, v1 dst_sel:WORD_1 dst_unused:UNUSED_PAD src0_sel:BYTE_0 src1_sel:DWORD
	s_and_b32 s21, s7, 0xffff
	s_mov_b32 s23, s15
	v_or_b32_sdwa v1, v5, v1 dst_sel:DWORD dst_unused:UNUSED_PAD src0_sel:WORD_0 src1_sel:DWORD
	buffer_store_dwordx2 v[0:1], v17, s[20:23], 0 offen
	;;#ASMSTART
	s_nop 0
	;;#ASMEND
	s_branch .LBB181_2
.LBB181_11:
	s_endpgm
	.section	.rodata,"a",@progbits
	.p2align	6, 0x0
	.amdhsa_kernel _ZN5aiter43moe_smooth_per_token_scaled_quant_kernel_v1ItaLi128ELi8ELb1ELb0ELi1024EEEvPT0_PfPT_S3_PiS6_iiiii
		.amdhsa_group_segment_fixed_size 8
		.amdhsa_private_segment_fixed_size 0
		.amdhsa_kernarg_size 68
		.amdhsa_user_sgpr_count 6
		.amdhsa_user_sgpr_private_segment_buffer 1
		.amdhsa_user_sgpr_dispatch_ptr 0
		.amdhsa_user_sgpr_queue_ptr 0
		.amdhsa_user_sgpr_kernarg_segment_ptr 1
		.amdhsa_user_sgpr_dispatch_id 0
		.amdhsa_user_sgpr_flat_scratch_init 0
		.amdhsa_user_sgpr_kernarg_preload_length 0
		.amdhsa_user_sgpr_kernarg_preload_offset 0
		.amdhsa_user_sgpr_private_segment_size 0
		.amdhsa_uses_dynamic_stack 0
		.amdhsa_system_sgpr_private_segment_wavefront_offset 0
		.amdhsa_system_sgpr_workgroup_id_x 1
		.amdhsa_system_sgpr_workgroup_id_y 0
		.amdhsa_system_sgpr_workgroup_id_z 0
		.amdhsa_system_sgpr_workgroup_info 0
		.amdhsa_system_vgpr_workitem_id 0
		.amdhsa_next_free_vgpr 26
		.amdhsa_next_free_sgpr 27
		.amdhsa_accum_offset 28
		.amdhsa_reserve_vcc 1
		.amdhsa_reserve_flat_scratch 0
		.amdhsa_float_round_mode_32 0
		.amdhsa_float_round_mode_16_64 0
		.amdhsa_float_denorm_mode_32 3
		.amdhsa_float_denorm_mode_16_64 3
		.amdhsa_dx10_clamp 1
		.amdhsa_ieee_mode 1
		.amdhsa_fp16_overflow 0
		.amdhsa_tg_split 0
		.amdhsa_exception_fp_ieee_invalid_op 0
		.amdhsa_exception_fp_denorm_src 0
		.amdhsa_exception_fp_ieee_div_zero 0
		.amdhsa_exception_fp_ieee_overflow 0
		.amdhsa_exception_fp_ieee_underflow 0
		.amdhsa_exception_fp_ieee_inexact 0
		.amdhsa_exception_int_div_zero 0
	.end_amdhsa_kernel
	.section	.text._ZN5aiter43moe_smooth_per_token_scaled_quant_kernel_v1ItaLi128ELi8ELb1ELb0ELi1024EEEvPT0_PfPT_S3_PiS6_iiiii,"axG",@progbits,_ZN5aiter43moe_smooth_per_token_scaled_quant_kernel_v1ItaLi128ELi8ELb1ELb0ELi1024EEEvPT0_PfPT_S3_PiS6_iiiii,comdat
.Lfunc_end181:
	.size	_ZN5aiter43moe_smooth_per_token_scaled_quant_kernel_v1ItaLi128ELi8ELb1ELb0ELi1024EEEvPT0_PfPT_S3_PiS6_iiiii, .Lfunc_end181-_ZN5aiter43moe_smooth_per_token_scaled_quant_kernel_v1ItaLi128ELi8ELb1ELb0ELi1024EEEvPT0_PfPT_S3_PiS6_iiiii
                                        ; -- End function
	.section	.AMDGPU.csdata,"",@progbits
; Kernel info:
; codeLenInByte = 968
; NumSgprs: 31
; NumVgprs: 26
; NumAgprs: 0
; TotalNumVgprs: 26
; ScratchSize: 0
; MemoryBound: 0
; FloatMode: 240
; IeeeMode: 1
; LDSByteSize: 8 bytes/workgroup (compile time only)
; SGPRBlocks: 3
; VGPRBlocks: 3
; NumSGPRsForWavesPerEU: 31
; NumVGPRsForWavesPerEU: 26
; AccumOffset: 28
; Occupancy: 8
; WaveLimiterHint : 0
; COMPUTE_PGM_RSRC2:SCRATCH_EN: 0
; COMPUTE_PGM_RSRC2:USER_SGPR: 6
; COMPUTE_PGM_RSRC2:TRAP_HANDLER: 0
; COMPUTE_PGM_RSRC2:TGID_X_EN: 1
; COMPUTE_PGM_RSRC2:TGID_Y_EN: 0
; COMPUTE_PGM_RSRC2:TGID_Z_EN: 0
; COMPUTE_PGM_RSRC2:TIDIG_COMP_CNT: 0
; COMPUTE_PGM_RSRC3_GFX90A:ACCUM_OFFSET: 6
; COMPUTE_PGM_RSRC3_GFX90A:TG_SPLIT: 0
	.section	.text._ZN5aiter43moe_smooth_per_token_scaled_quant_kernel_v1IDF16_aLi128ELi8ELb0ELb1ELi1024EEEvPT0_PfPT_S3_PiS6_iiiii,"axG",@progbits,_ZN5aiter43moe_smooth_per_token_scaled_quant_kernel_v1IDF16_aLi128ELi8ELb0ELb1ELi1024EEEvPT0_PfPT_S3_PiS6_iiiii,comdat
	.protected	_ZN5aiter43moe_smooth_per_token_scaled_quant_kernel_v1IDF16_aLi128ELi8ELb0ELb1ELi1024EEEvPT0_PfPT_S3_PiS6_iiiii ; -- Begin function _ZN5aiter43moe_smooth_per_token_scaled_quant_kernel_v1IDF16_aLi128ELi8ELb0ELb1ELi1024EEEvPT0_PfPT_S3_PiS6_iiiii
	.globl	_ZN5aiter43moe_smooth_per_token_scaled_quant_kernel_v1IDF16_aLi128ELi8ELb0ELb1ELi1024EEEvPT0_PfPT_S3_PiS6_iiiii
	.p2align	8
	.type	_ZN5aiter43moe_smooth_per_token_scaled_quant_kernel_v1IDF16_aLi128ELi8ELb0ELb1ELi1024EEEvPT0_PfPT_S3_PiS6_iiiii,@function
_ZN5aiter43moe_smooth_per_token_scaled_quant_kernel_v1IDF16_aLi128ELi8ELb0ELb1ELi1024EEEvPT0_PfPT_S3_PiS6_iiiii: ; @_ZN5aiter43moe_smooth_per_token_scaled_quant_kernel_v1IDF16_aLi128ELi8ELb0ELb1ELi1024EEEvPT0_PfPT_S3_PiS6_iiiii
; %bb.0:
	s_load_dwordx4 s[8:11], s[4:5], 0x34
	s_load_dwordx4 s[12:15], s[4:5], 0x20
	s_load_dwordx2 s[16:17], s[4:5], 0x10
	v_and_b32_e32 v1, 0x3c0, v0
	v_lshlrev_b32_e32 v1, 2, v1
	v_lshlrev_b32_e32 v2, 2, v0
	v_readfirstlane_b32 s7, v1
	v_add_u32_e32 v3, 0x200, v1
	s_waitcnt lgkmcnt(0)
	s_lshl_b32 s2, s11, 2
	s_and_b32 s1, s15, 0xffff
	s_mov_b32 s3, 0x20000
	s_mov_b32 s0, s14
	;;#ASMSTART
	s_mov_b32 m0 s7
	buffer_load_dword v2, s[0:3], 0 offen offset:0 lds
	
	;;#ASMEND
	v_readfirstlane_b32 s7, v3
	v_add_u32_e32 v3, 0x200, v2
	;;#ASMSTART
	s_mov_b32 m0 s7
	buffer_load_dword v3, s[0:3], 0 offen offset:0 lds
	
	;;#ASMEND
	v_add_u32_e32 v3, 0x400, v1
	v_readfirstlane_b32 s7, v3
	v_add_u32_e32 v3, 0x400, v2
	;;#ASMSTART
	s_mov_b32 m0 s7
	buffer_load_dword v3, s[0:3], 0 offen offset:0 lds
	
	;;#ASMEND
	v_add_u32_e32 v3, 0x600, v1
	;; [unrolled: 8-line block ×5, first 2 shown]
	s_mul_i32 s20, s6, s8
	v_readfirstlane_b32 s7, v3
	v_add_u32_e32 v3, 0xc00, v2
	;;#ASMSTART
	s_mov_b32 m0 s7
	buffer_load_dword v3, s[0:3], 0 offen offset:0 lds
	
	;;#ASMEND
	v_add_u32_e32 v1, 0xe00, v1
	s_ashr_i32 s21, s20, 31
	v_readfirstlane_b32 s7, v1
	v_add_u32_e32 v1, 0xe00, v2
	;;#ASMSTART
	s_mov_b32 m0 s7
	buffer_load_dword v1, s[0:3], 0 offen offset:0 lds
	
	;;#ASMEND
	s_lshl_b64 s[0:1], s[20:21], 2
	s_add_u32 s0, s12, s0
	v_and_b32_e32 v1, 63, v0
	s_addc_u32 s1, s13, s1
	s_lshl_b32 s2, s8, 2
	s_and_b32 s1, s1, 0xffff
	v_lshlrev_b32_e32 v2, 2, v1
	buffer_load_dword v16, v2, s[0:3], 0 offen
	s_mul_hi_i32 s1, s10, s6
	s_mul_i32 s0, s10, s6
	s_lshl_b64 s[0:1], s[0:1], 1
	s_add_u32 s0, s16, s0
	s_addc_u32 s1, s17, s1
	s_lshl_b32 s2, s9, 1
	s_and_b32 s1, s1, 0xffff
	v_lshlrev_b32_e32 v2, 4, v0
	buffer_load_dwordx4 v[2:5], v2, s[0:3], 0 offen
	v_cmp_gt_i32_e32 vcc, s8, v1
	s_waitcnt vmcnt(1)
	s_barrier
	v_cmp_gt_i32_e64 s[2:3], s11, v16
	v_cmp_lt_i32_e64 s[0:1], -1, v16
	s_and_b64 s[2:3], vcc, s[2:3]
	s_and_b64 s[2:3], s[2:3], s[0:1]
	s_and_saveexec_b64 s[0:1], s[2:3]
	s_cbranch_execz .LBB182_2
; %bb.1:
	v_lshlrev_b32_e32 v6, 2, v16
	ds_read_b32 v16, v6
.LBB182_2:
	s_or_b64 exec, exec, s[0:1]
	s_cmp_lt_i32 s8, 1
	s_cbranch_scc1 .LBB182_13
; %bb.3:
	s_add_i32 s2, s9, 7
	s_load_dwordx4 s[12:15], s[4:5], 0x0
	s_load_dwordx2 s[10:11], s[4:5], 0x18
	s_ashr_i32 s3, s2, 31
	s_add_i32 s4, s9, 3
	s_waitcnt vmcnt(0)
	v_cvt_f32_f16_sdwa v7, v2 dst_sel:DWORD dst_unused:UNUSED_PAD src0_sel:WORD_1
	v_cvt_f32_f16_e32 v6, v2
	v_cvt_f32_f16_sdwa v9, v3 dst_sel:DWORD dst_unused:UNUSED_PAD src0_sel:WORD_1
	v_cvt_f32_f16_e32 v8, v3
	;; [unrolled: 2-line block ×4, first 2 shown]
	s_lshr_b32 s3, s3, 29
	s_ashr_i32 s5, s4, 31
	v_cmp_eq_u32_e32 vcc, 63, v1
	v_lshrrev_b32_e32 v1, 4, v0
	v_mov_b32_e32 v4, 0x1000
	s_add_i32 s2, s2, s3
	s_lshr_b32 s5, s5, 30
	v_and_or_b32 v19, v1, 60, v4
	v_and_b32_e32 v1, 1, v0
	s_ashr_i32 s2, s2, 3
	s_add_i32 s4, s4, s5
	s_mov_b32 s21, s9
	v_lshlrev_b32_e32 v17, 3, v0
	s_lshl_b32 s6, s9, 2
	v_lshlrev_b32_e32 v18, 5, v0
	v_lshl_or_b32 v20, v1, 2, v4
	s_mov_b32 s22, 0
	v_cmp_eq_u32_e64 s[0:1], 0, v0
	v_cmp_gt_u32_e64 s[2:3], s2, v0
	s_and_b32 s18, s4, -4
	s_mov_b32 s7, 0x20000
	s_mov_b32 s9, 0x2edbe6ff
	v_mov_b32_e32 v21, 0
	s_branch .LBB182_6
.LBB182_4:                              ;   in Loop: Header=BB182_6 Depth=1
	s_or_b64 exec, exec, s[4:5]
.LBB182_5:                              ;   in Loop: Header=BB182_6 Depth=1
	s_add_i32 s22, s22, 1
	s_cmp_eq_u32 s8, s22
	s_cbranch_scc1 .LBB182_13
.LBB182_6:                              ; =>This Inner Loop Header: Depth=1
	s_waitcnt lgkmcnt(0)
	v_readlane_b32 s4, v16, s22
	s_cmp_lt_i32 s4, 0
	s_cbranch_scc1 .LBB182_5
; %bb.7:                                ;   in Loop: Header=BB182_6 Depth=1
	s_mul_i32 s4, s4, s21
	s_ashr_i32 s5, s4, 31
	s_lshl_b64 s[4:5], s[4:5], 2
	s_add_u32 s4, s10, s4
	s_addc_u32 s5, s11, s5
	s_and_b32 s5, s5, 0xffff
	buffer_load_dwordx4 v[12:15], v18, s[4:7], 0 offen
	buffer_load_dwordx4 v[22:25], v18, s[4:7], 16 offen
	s_waitcnt vmcnt(1)
	v_pk_mul_f32 v[12:13], v[12:13], v[6:7]
	v_pk_mul_f32 v[14:15], v[14:15], v[8:9]
	s_waitcnt vmcnt(0)
	v_pk_mul_f32 v[0:1], v[22:23], v[2:3]
	v_max3_f32 v22, |v12|, s9, |v13|
	v_max3_f32 v22, v22, |v14|, |v15|
	v_pk_mul_f32 v[4:5], v[24:25], v[10:11]
	v_max3_f32 v22, v22, |v0|, |v1|
	v_max3_f32 v22, v22, |v4|, |v5|
	s_nop 1
	v_mov_b32_dpp v23, v22 quad_perm:[1,0,3,2] row_mask:0xf bank_mask:0xf
	v_cmp_gt_f32_e64 s[4:5], v22, v23
	v_cndmask_b32_e64 v22, v23, v22, s[4:5]
	s_nop 1
	v_mov_b32_dpp v23, v22 quad_perm:[2,3,0,1] row_mask:0xf bank_mask:0xf
	v_cmp_gt_f32_e64 s[4:5], v22, v23
	v_cndmask_b32_e64 v22, v23, v22, s[4:5]
	s_nop 1
	v_mov_b32_dpp v23, v22 row_half_mirror row_mask:0xf bank_mask:0xf
	v_cmp_gt_f32_e64 s[4:5], v22, v23
	v_cndmask_b32_e64 v22, v23, v22, s[4:5]
	s_nop 1
	v_mov_b32_dpp v23, v22 row_mirror row_mask:0xf bank_mask:0xf
	v_cmp_gt_f32_e64 s[4:5], v22, v23
	v_cndmask_b32_e64 v22, v23, v22, s[4:5]
	s_nop 1
	v_mov_b32_dpp v23, v22 row_bcast:15 row_mask:0xf bank_mask:0xf
	v_cmp_gt_f32_e64 s[4:5], v22, v23
	v_cndmask_b32_e64 v22, v23, v22, s[4:5]
	s_nop 1
	v_mov_b32_dpp v23, v22 row_bcast:31 row_mask:0xf bank_mask:0xf
	s_and_saveexec_b64 s[16:17], vcc
	s_cbranch_execz .LBB182_9
; %bb.8:                                ;   in Loop: Header=BB182_6 Depth=1
	v_cmp_gt_f32_e64 s[4:5], v22, v23
	v_cndmask_b32_e64 v22, v23, v22, s[4:5]
	ds_write_b32 v19, v22
.LBB182_9:                              ;   in Loop: Header=BB182_6 Depth=1
	s_or_b64 exec, exec, s[16:17]
	s_waitcnt lgkmcnt(0)
	s_barrier
	ds_read_b32 v22, v20
	s_add_i32 s16, s20, s22
	s_waitcnt lgkmcnt(0)
	v_mov_b32_dpp v23, v22 quad_perm:[1,0,3,2] row_mask:0xf bank_mask:0xf
	v_cmp_gt_f32_e64 s[4:5], v22, v23
	v_cndmask_b32_e64 v22, v23, v22, s[4:5]
	v_mul_f32_e32 v22, 0x3c010204, v22
	s_and_saveexec_b64 s[4:5], s[0:1]
	s_cbranch_execz .LBB182_11
; %bb.10:                               ;   in Loop: Header=BB182_6 Depth=1
	s_ashr_i32 s17, s16, 31
	s_lshl_b64 s[24:25], s[16:17], 2
	s_add_u32 s24, s14, s24
	s_addc_u32 s25, s15, s25
	global_store_dword v21, v22, s[24:25]
.LBB182_11:                             ;   in Loop: Header=BB182_6 Depth=1
	s_or_b64 exec, exec, s[4:5]
	s_and_saveexec_b64 s[4:5], s[2:3]
	s_cbranch_execz .LBB182_4
; %bb.12:                               ;   in Loop: Header=BB182_6 Depth=1
	v_rcp_f32_e32 v22, v22
	s_mul_hi_i32 s17, s16, s21
	s_mul_i32 s16, s16, s21
	s_add_u32 s16, s12, s16
	v_mov_b32_e32 v23, v22
	;;#ASMSTART
	v_pk_mul_f32 v[12:13], v[12:13], v[22:23]
	;;#ASMEND
	v_cvt_i32_f32_e32 v24, v12
	v_cvt_i32_f32_sdwa v25, v13 dst_sel:BYTE_1 dst_unused:UNUSED_PAD src0_sel:DWORD
	;;#ASMSTART
	v_pk_mul_f32 v[12:13], v[14:15], v[22:23]
	;;#ASMEND
	;;#ASMSTART
	v_pk_mul_f32 v[0:1], v[0:1], v[22:23]
	;;#ASMEND
	v_cvt_i32_f32_e32 v12, v12
	v_cvt_i32_f32_sdwa v13, v13 dst_sel:BYTE_1 dst_unused:UNUSED_PAD src0_sel:DWORD
	v_cvt_i32_f32_e32 v14, v0
	v_cvt_i32_f32_sdwa v15, v1 dst_sel:BYTE_1 dst_unused:UNUSED_PAD src0_sel:DWORD
	;;#ASMSTART
	v_pk_mul_f32 v[0:1], v[4:5], v[22:23]
	;;#ASMEND
	v_cvt_i32_f32_e32 v4, v0
	v_cvt_i32_f32_sdwa v1, v1 dst_sel:BYTE_1 dst_unused:UNUSED_PAD src0_sel:DWORD
	v_or_b32_sdwa v0, v24, v25 dst_sel:DWORD dst_unused:UNUSED_PAD src0_sel:BYTE_0 src1_sel:DWORD
	v_or_b32_sdwa v5, v12, v13 dst_sel:WORD_1 dst_unused:UNUSED_PAD src0_sel:BYTE_0 src1_sel:DWORD
	s_addc_u32 s17, s13, s17
	v_or_b32_sdwa v0, v0, v5 dst_sel:DWORD dst_unused:UNUSED_PAD src0_sel:WORD_0 src1_sel:DWORD
	v_or_b32_sdwa v5, v14, v15 dst_sel:DWORD dst_unused:UNUSED_PAD src0_sel:BYTE_0 src1_sel:DWORD
	v_or_b32_sdwa v1, v4, v1 dst_sel:WORD_1 dst_unused:UNUSED_PAD src0_sel:BYTE_0 src1_sel:DWORD
	s_and_b32 s17, s17, 0xffff
	s_mov_b32 s19, s7
	v_or_b32_sdwa v1, v5, v1 dst_sel:DWORD dst_unused:UNUSED_PAD src0_sel:WORD_0 src1_sel:DWORD
	buffer_store_dwordx2 v[0:1], v17, s[16:19], 0 offen
	;;#ASMSTART
	s_nop 0
	;;#ASMEND
	s_branch .LBB182_4
.LBB182_13:
	s_endpgm
	.section	.rodata,"a",@progbits
	.p2align	6, 0x0
	.amdhsa_kernel _ZN5aiter43moe_smooth_per_token_scaled_quant_kernel_v1IDF16_aLi128ELi8ELb0ELb1ELi1024EEEvPT0_PfPT_S3_PiS6_iiiii
		.amdhsa_group_segment_fixed_size 4104
		.amdhsa_private_segment_fixed_size 0
		.amdhsa_kernarg_size 68
		.amdhsa_user_sgpr_count 6
		.amdhsa_user_sgpr_private_segment_buffer 1
		.amdhsa_user_sgpr_dispatch_ptr 0
		.amdhsa_user_sgpr_queue_ptr 0
		.amdhsa_user_sgpr_kernarg_segment_ptr 1
		.amdhsa_user_sgpr_dispatch_id 0
		.amdhsa_user_sgpr_flat_scratch_init 0
		.amdhsa_user_sgpr_kernarg_preload_length 0
		.amdhsa_user_sgpr_kernarg_preload_offset 0
		.amdhsa_user_sgpr_private_segment_size 0
		.amdhsa_uses_dynamic_stack 0
		.amdhsa_system_sgpr_private_segment_wavefront_offset 0
		.amdhsa_system_sgpr_workgroup_id_x 1
		.amdhsa_system_sgpr_workgroup_id_y 0
		.amdhsa_system_sgpr_workgroup_id_z 0
		.amdhsa_system_sgpr_workgroup_info 0
		.amdhsa_system_vgpr_workitem_id 0
		.amdhsa_next_free_vgpr 26
		.amdhsa_next_free_sgpr 26
		.amdhsa_accum_offset 28
		.amdhsa_reserve_vcc 1
		.amdhsa_reserve_flat_scratch 0
		.amdhsa_float_round_mode_32 0
		.amdhsa_float_round_mode_16_64 0
		.amdhsa_float_denorm_mode_32 3
		.amdhsa_float_denorm_mode_16_64 3
		.amdhsa_dx10_clamp 1
		.amdhsa_ieee_mode 1
		.amdhsa_fp16_overflow 0
		.amdhsa_tg_split 0
		.amdhsa_exception_fp_ieee_invalid_op 0
		.amdhsa_exception_fp_denorm_src 0
		.amdhsa_exception_fp_ieee_div_zero 0
		.amdhsa_exception_fp_ieee_overflow 0
		.amdhsa_exception_fp_ieee_underflow 0
		.amdhsa_exception_fp_ieee_inexact 0
		.amdhsa_exception_int_div_zero 0
	.end_amdhsa_kernel
	.section	.text._ZN5aiter43moe_smooth_per_token_scaled_quant_kernel_v1IDF16_aLi128ELi8ELb0ELb1ELi1024EEEvPT0_PfPT_S3_PiS6_iiiii,"axG",@progbits,_ZN5aiter43moe_smooth_per_token_scaled_quant_kernel_v1IDF16_aLi128ELi8ELb0ELb1ELi1024EEEvPT0_PfPT_S3_PiS6_iiiii,comdat
.Lfunc_end182:
	.size	_ZN5aiter43moe_smooth_per_token_scaled_quant_kernel_v1IDF16_aLi128ELi8ELb0ELb1ELi1024EEEvPT0_PfPT_S3_PiS6_iiiii, .Lfunc_end182-_ZN5aiter43moe_smooth_per_token_scaled_quant_kernel_v1IDF16_aLi128ELi8ELb0ELb1ELi1024EEEvPT0_PfPT_S3_PiS6_iiiii
                                        ; -- End function
	.section	.AMDGPU.csdata,"",@progbits
; Kernel info:
; codeLenInByte = 1332
; NumSgprs: 30
; NumVgprs: 26
; NumAgprs: 0
; TotalNumVgprs: 26
; ScratchSize: 0
; MemoryBound: 0
; FloatMode: 240
; IeeeMode: 1
; LDSByteSize: 4104 bytes/workgroup (compile time only)
; SGPRBlocks: 3
; VGPRBlocks: 3
; NumSGPRsForWavesPerEU: 30
; NumVGPRsForWavesPerEU: 26
; AccumOffset: 28
; Occupancy: 8
; WaveLimiterHint : 0
; COMPUTE_PGM_RSRC2:SCRATCH_EN: 0
; COMPUTE_PGM_RSRC2:USER_SGPR: 6
; COMPUTE_PGM_RSRC2:TRAP_HANDLER: 0
; COMPUTE_PGM_RSRC2:TGID_X_EN: 1
; COMPUTE_PGM_RSRC2:TGID_Y_EN: 0
; COMPUTE_PGM_RSRC2:TGID_Z_EN: 0
; COMPUTE_PGM_RSRC2:TIDIG_COMP_CNT: 0
; COMPUTE_PGM_RSRC3_GFX90A:ACCUM_OFFSET: 6
; COMPUTE_PGM_RSRC3_GFX90A:TG_SPLIT: 0
	.section	.text._ZN5aiter43moe_smooth_per_token_scaled_quant_kernel_v1ItaLi128ELi8ELb0ELb1ELi1024EEEvPT0_PfPT_S3_PiS6_iiiii,"axG",@progbits,_ZN5aiter43moe_smooth_per_token_scaled_quant_kernel_v1ItaLi128ELi8ELb0ELb1ELi1024EEEvPT0_PfPT_S3_PiS6_iiiii,comdat
	.protected	_ZN5aiter43moe_smooth_per_token_scaled_quant_kernel_v1ItaLi128ELi8ELb0ELb1ELi1024EEEvPT0_PfPT_S3_PiS6_iiiii ; -- Begin function _ZN5aiter43moe_smooth_per_token_scaled_quant_kernel_v1ItaLi128ELi8ELb0ELb1ELi1024EEEvPT0_PfPT_S3_PiS6_iiiii
	.globl	_ZN5aiter43moe_smooth_per_token_scaled_quant_kernel_v1ItaLi128ELi8ELb0ELb1ELi1024EEEvPT0_PfPT_S3_PiS6_iiiii
	.p2align	8
	.type	_ZN5aiter43moe_smooth_per_token_scaled_quant_kernel_v1ItaLi128ELi8ELb0ELb1ELi1024EEEvPT0_PfPT_S3_PiS6_iiiii,@function
_ZN5aiter43moe_smooth_per_token_scaled_quant_kernel_v1ItaLi128ELi8ELb0ELb1ELi1024EEEvPT0_PfPT_S3_PiS6_iiiii: ; @_ZN5aiter43moe_smooth_per_token_scaled_quant_kernel_v1ItaLi128ELi8ELb0ELb1ELi1024EEEvPT0_PfPT_S3_PiS6_iiiii
; %bb.0:
	s_load_dwordx4 s[8:11], s[4:5], 0x34
	s_load_dwordx4 s[12:15], s[4:5], 0x20
	s_load_dwordx2 s[16:17], s[4:5], 0x10
	v_and_b32_e32 v1, 0x3c0, v0
	v_lshlrev_b32_e32 v1, 2, v1
	v_lshlrev_b32_e32 v2, 2, v0
	v_readfirstlane_b32 s7, v1
	v_add_u32_e32 v3, 0x200, v1
	s_waitcnt lgkmcnt(0)
	s_lshl_b32 s2, s11, 2
	s_and_b32 s1, s15, 0xffff
	s_mov_b32 s3, 0x20000
	s_mov_b32 s0, s14
	;;#ASMSTART
	s_mov_b32 m0 s7
	buffer_load_dword v2, s[0:3], 0 offen offset:0 lds
	
	;;#ASMEND
	v_readfirstlane_b32 s7, v3
	v_add_u32_e32 v3, 0x200, v2
	;;#ASMSTART
	s_mov_b32 m0 s7
	buffer_load_dword v3, s[0:3], 0 offen offset:0 lds
	
	;;#ASMEND
	v_add_u32_e32 v3, 0x400, v1
	v_readfirstlane_b32 s7, v3
	v_add_u32_e32 v3, 0x400, v2
	;;#ASMSTART
	s_mov_b32 m0 s7
	buffer_load_dword v3, s[0:3], 0 offen offset:0 lds
	
	;;#ASMEND
	v_add_u32_e32 v3, 0x600, v1
	;; [unrolled: 8-line block ×5, first 2 shown]
	s_mul_i32 s20, s6, s8
	v_readfirstlane_b32 s7, v3
	v_add_u32_e32 v3, 0xc00, v2
	;;#ASMSTART
	s_mov_b32 m0 s7
	buffer_load_dword v3, s[0:3], 0 offen offset:0 lds
	
	;;#ASMEND
	v_add_u32_e32 v1, 0xe00, v1
	s_ashr_i32 s21, s20, 31
	v_readfirstlane_b32 s7, v1
	v_add_u32_e32 v1, 0xe00, v2
	;;#ASMSTART
	s_mov_b32 m0 s7
	buffer_load_dword v1, s[0:3], 0 offen offset:0 lds
	
	;;#ASMEND
	s_lshl_b64 s[0:1], s[20:21], 2
	s_add_u32 s0, s12, s0
	v_and_b32_e32 v1, 63, v0
	s_addc_u32 s1, s13, s1
	s_lshl_b32 s2, s8, 2
	s_and_b32 s1, s1, 0xffff
	v_lshlrev_b32_e32 v2, 2, v1
	buffer_load_dword v16, v2, s[0:3], 0 offen
	s_mul_hi_i32 s1, s10, s6
	s_mul_i32 s0, s10, s6
	s_lshl_b64 s[0:1], s[0:1], 1
	s_add_u32 s0, s16, s0
	s_addc_u32 s1, s17, s1
	s_lshl_b32 s2, s9, 1
	s_and_b32 s1, s1, 0xffff
	v_lshlrev_b32_e32 v2, 4, v0
	buffer_load_dwordx4 v[2:5], v2, s[0:3], 0 offen
	v_cmp_gt_i32_e32 vcc, s8, v1
	s_waitcnt vmcnt(1)
	s_barrier
	v_cmp_gt_i32_e64 s[2:3], s11, v16
	v_cmp_lt_i32_e64 s[0:1], -1, v16
	s_and_b64 s[2:3], vcc, s[2:3]
	s_and_b64 s[2:3], s[2:3], s[0:1]
	s_and_saveexec_b64 s[0:1], s[2:3]
	s_cbranch_execz .LBB183_2
; %bb.1:
	v_lshlrev_b32_e32 v6, 2, v16
	ds_read_b32 v16, v6
.LBB183_2:
	s_or_b64 exec, exec, s[0:1]
	s_cmp_lt_i32 s8, 1
	s_cbranch_scc1 .LBB183_13
; %bb.3:
	s_add_i32 s2, s9, 7
	s_load_dwordx4 s[12:15], s[4:5], 0x0
	s_load_dwordx2 s[10:11], s[4:5], 0x18
	s_ashr_i32 s3, s2, 31
	s_add_i32 s4, s9, 3
	s_waitcnt vmcnt(0)
	v_cvt_f32_u32_sdwa v7, v2 dst_sel:DWORD dst_unused:UNUSED_PAD src0_sel:WORD_1
	v_cvt_f32_u32_sdwa v6, v2 dst_sel:DWORD dst_unused:UNUSED_PAD src0_sel:WORD_0
	v_cvt_f32_u32_sdwa v9, v3 dst_sel:DWORD dst_unused:UNUSED_PAD src0_sel:WORD_1
	v_cvt_f32_u32_sdwa v8, v3 dst_sel:DWORD dst_unused:UNUSED_PAD src0_sel:WORD_0
	;; [unrolled: 2-line block ×4, first 2 shown]
	s_lshr_b32 s3, s3, 29
	s_ashr_i32 s5, s4, 31
	v_cmp_eq_u32_e32 vcc, 63, v1
	v_lshrrev_b32_e32 v1, 4, v0
	v_mov_b32_e32 v4, 0x1000
	s_add_i32 s2, s2, s3
	s_lshr_b32 s5, s5, 30
	v_and_or_b32 v19, v1, 60, v4
	v_and_b32_e32 v1, 1, v0
	s_ashr_i32 s2, s2, 3
	s_add_i32 s4, s4, s5
	s_mov_b32 s21, s9
	v_lshlrev_b32_e32 v17, 3, v0
	s_lshl_b32 s6, s9, 2
	v_lshlrev_b32_e32 v18, 5, v0
	v_lshl_or_b32 v20, v1, 2, v4
	s_mov_b32 s22, 0
	v_cmp_eq_u32_e64 s[0:1], 0, v0
	v_cmp_gt_u32_e64 s[2:3], s2, v0
	s_and_b32 s18, s4, -4
	s_mov_b32 s7, 0x20000
	s_mov_b32 s9, 0x2edbe6ff
	v_mov_b32_e32 v21, 0
	s_branch .LBB183_6
.LBB183_4:                              ;   in Loop: Header=BB183_6 Depth=1
	s_or_b64 exec, exec, s[4:5]
.LBB183_5:                              ;   in Loop: Header=BB183_6 Depth=1
	s_add_i32 s22, s22, 1
	s_cmp_eq_u32 s8, s22
	s_cbranch_scc1 .LBB183_13
.LBB183_6:                              ; =>This Inner Loop Header: Depth=1
	s_waitcnt lgkmcnt(0)
	v_readlane_b32 s4, v16, s22
	s_cmp_lt_i32 s4, 0
	s_cbranch_scc1 .LBB183_5
; %bb.7:                                ;   in Loop: Header=BB183_6 Depth=1
	s_mul_i32 s4, s4, s21
	s_ashr_i32 s5, s4, 31
	s_lshl_b64 s[4:5], s[4:5], 2
	s_add_u32 s4, s10, s4
	s_addc_u32 s5, s11, s5
	s_and_b32 s5, s5, 0xffff
	buffer_load_dwordx4 v[12:15], v18, s[4:7], 0 offen
	buffer_load_dwordx4 v[22:25], v18, s[4:7], 16 offen
	s_waitcnt vmcnt(1)
	v_pk_mul_f32 v[12:13], v[12:13], v[6:7]
	v_pk_mul_f32 v[14:15], v[14:15], v[8:9]
	s_waitcnt vmcnt(0)
	v_pk_mul_f32 v[0:1], v[22:23], v[2:3]
	v_max3_f32 v22, |v12|, s9, |v13|
	v_max3_f32 v22, v22, |v14|, |v15|
	v_pk_mul_f32 v[4:5], v[24:25], v[10:11]
	v_max3_f32 v22, v22, |v0|, |v1|
	v_max3_f32 v22, v22, |v4|, |v5|
	s_nop 1
	v_mov_b32_dpp v23, v22 quad_perm:[1,0,3,2] row_mask:0xf bank_mask:0xf
	v_cmp_gt_f32_e64 s[4:5], v22, v23
	v_cndmask_b32_e64 v22, v23, v22, s[4:5]
	s_nop 1
	v_mov_b32_dpp v23, v22 quad_perm:[2,3,0,1] row_mask:0xf bank_mask:0xf
	v_cmp_gt_f32_e64 s[4:5], v22, v23
	v_cndmask_b32_e64 v22, v23, v22, s[4:5]
	s_nop 1
	v_mov_b32_dpp v23, v22 row_half_mirror row_mask:0xf bank_mask:0xf
	v_cmp_gt_f32_e64 s[4:5], v22, v23
	v_cndmask_b32_e64 v22, v23, v22, s[4:5]
	s_nop 1
	v_mov_b32_dpp v23, v22 row_mirror row_mask:0xf bank_mask:0xf
	v_cmp_gt_f32_e64 s[4:5], v22, v23
	v_cndmask_b32_e64 v22, v23, v22, s[4:5]
	s_nop 1
	v_mov_b32_dpp v23, v22 row_bcast:15 row_mask:0xf bank_mask:0xf
	v_cmp_gt_f32_e64 s[4:5], v22, v23
	v_cndmask_b32_e64 v22, v23, v22, s[4:5]
	s_nop 1
	v_mov_b32_dpp v23, v22 row_bcast:31 row_mask:0xf bank_mask:0xf
	s_and_saveexec_b64 s[16:17], vcc
	s_cbranch_execz .LBB183_9
; %bb.8:                                ;   in Loop: Header=BB183_6 Depth=1
	v_cmp_gt_f32_e64 s[4:5], v22, v23
	v_cndmask_b32_e64 v22, v23, v22, s[4:5]
	ds_write_b32 v19, v22
.LBB183_9:                              ;   in Loop: Header=BB183_6 Depth=1
	s_or_b64 exec, exec, s[16:17]
	s_waitcnt lgkmcnt(0)
	s_barrier
	ds_read_b32 v22, v20
	s_add_i32 s16, s20, s22
	s_waitcnt lgkmcnt(0)
	v_mov_b32_dpp v23, v22 quad_perm:[1,0,3,2] row_mask:0xf bank_mask:0xf
	v_cmp_gt_f32_e64 s[4:5], v22, v23
	v_cndmask_b32_e64 v22, v23, v22, s[4:5]
	v_mul_f32_e32 v22, 0x3c010204, v22
	s_and_saveexec_b64 s[4:5], s[0:1]
	s_cbranch_execz .LBB183_11
; %bb.10:                               ;   in Loop: Header=BB183_6 Depth=1
	s_ashr_i32 s17, s16, 31
	s_lshl_b64 s[24:25], s[16:17], 2
	s_add_u32 s24, s14, s24
	s_addc_u32 s25, s15, s25
	global_store_dword v21, v22, s[24:25]
.LBB183_11:                             ;   in Loop: Header=BB183_6 Depth=1
	s_or_b64 exec, exec, s[4:5]
	s_and_saveexec_b64 s[4:5], s[2:3]
	s_cbranch_execz .LBB183_4
; %bb.12:                               ;   in Loop: Header=BB183_6 Depth=1
	v_rcp_f32_e32 v22, v22
	s_mul_hi_i32 s17, s16, s21
	s_mul_i32 s16, s16, s21
	s_add_u32 s16, s12, s16
	v_mov_b32_e32 v23, v22
	;;#ASMSTART
	v_pk_mul_f32 v[12:13], v[12:13], v[22:23]
	;;#ASMEND
	v_cvt_i32_f32_e32 v24, v12
	v_cvt_i32_f32_sdwa v25, v13 dst_sel:BYTE_1 dst_unused:UNUSED_PAD src0_sel:DWORD
	;;#ASMSTART
	v_pk_mul_f32 v[12:13], v[14:15], v[22:23]
	;;#ASMEND
	;;#ASMSTART
	v_pk_mul_f32 v[0:1], v[0:1], v[22:23]
	;;#ASMEND
	v_cvt_i32_f32_e32 v12, v12
	v_cvt_i32_f32_sdwa v13, v13 dst_sel:BYTE_1 dst_unused:UNUSED_PAD src0_sel:DWORD
	v_cvt_i32_f32_e32 v14, v0
	v_cvt_i32_f32_sdwa v15, v1 dst_sel:BYTE_1 dst_unused:UNUSED_PAD src0_sel:DWORD
	;;#ASMSTART
	v_pk_mul_f32 v[0:1], v[4:5], v[22:23]
	;;#ASMEND
	v_cvt_i32_f32_e32 v4, v0
	v_cvt_i32_f32_sdwa v1, v1 dst_sel:BYTE_1 dst_unused:UNUSED_PAD src0_sel:DWORD
	v_or_b32_sdwa v0, v24, v25 dst_sel:DWORD dst_unused:UNUSED_PAD src0_sel:BYTE_0 src1_sel:DWORD
	v_or_b32_sdwa v5, v12, v13 dst_sel:WORD_1 dst_unused:UNUSED_PAD src0_sel:BYTE_0 src1_sel:DWORD
	s_addc_u32 s17, s13, s17
	v_or_b32_sdwa v0, v0, v5 dst_sel:DWORD dst_unused:UNUSED_PAD src0_sel:WORD_0 src1_sel:DWORD
	v_or_b32_sdwa v5, v14, v15 dst_sel:DWORD dst_unused:UNUSED_PAD src0_sel:BYTE_0 src1_sel:DWORD
	v_or_b32_sdwa v1, v4, v1 dst_sel:WORD_1 dst_unused:UNUSED_PAD src0_sel:BYTE_0 src1_sel:DWORD
	s_and_b32 s17, s17, 0xffff
	s_mov_b32 s19, s7
	v_or_b32_sdwa v1, v5, v1 dst_sel:DWORD dst_unused:UNUSED_PAD src0_sel:WORD_0 src1_sel:DWORD
	buffer_store_dwordx2 v[0:1], v17, s[16:19], 0 offen
	;;#ASMSTART
	s_nop 0
	;;#ASMEND
	s_branch .LBB183_4
.LBB183_13:
	s_endpgm
	.section	.rodata,"a",@progbits
	.p2align	6, 0x0
	.amdhsa_kernel _ZN5aiter43moe_smooth_per_token_scaled_quant_kernel_v1ItaLi128ELi8ELb0ELb1ELi1024EEEvPT0_PfPT_S3_PiS6_iiiii
		.amdhsa_group_segment_fixed_size 4104
		.amdhsa_private_segment_fixed_size 0
		.amdhsa_kernarg_size 68
		.amdhsa_user_sgpr_count 6
		.amdhsa_user_sgpr_private_segment_buffer 1
		.amdhsa_user_sgpr_dispatch_ptr 0
		.amdhsa_user_sgpr_queue_ptr 0
		.amdhsa_user_sgpr_kernarg_segment_ptr 1
		.amdhsa_user_sgpr_dispatch_id 0
		.amdhsa_user_sgpr_flat_scratch_init 0
		.amdhsa_user_sgpr_kernarg_preload_length 0
		.amdhsa_user_sgpr_kernarg_preload_offset 0
		.amdhsa_user_sgpr_private_segment_size 0
		.amdhsa_uses_dynamic_stack 0
		.amdhsa_system_sgpr_private_segment_wavefront_offset 0
		.amdhsa_system_sgpr_workgroup_id_x 1
		.amdhsa_system_sgpr_workgroup_id_y 0
		.amdhsa_system_sgpr_workgroup_id_z 0
		.amdhsa_system_sgpr_workgroup_info 0
		.amdhsa_system_vgpr_workitem_id 0
		.amdhsa_next_free_vgpr 26
		.amdhsa_next_free_sgpr 26
		.amdhsa_accum_offset 28
		.amdhsa_reserve_vcc 1
		.amdhsa_reserve_flat_scratch 0
		.amdhsa_float_round_mode_32 0
		.amdhsa_float_round_mode_16_64 0
		.amdhsa_float_denorm_mode_32 3
		.amdhsa_float_denorm_mode_16_64 3
		.amdhsa_dx10_clamp 1
		.amdhsa_ieee_mode 1
		.amdhsa_fp16_overflow 0
		.amdhsa_tg_split 0
		.amdhsa_exception_fp_ieee_invalid_op 0
		.amdhsa_exception_fp_denorm_src 0
		.amdhsa_exception_fp_ieee_div_zero 0
		.amdhsa_exception_fp_ieee_overflow 0
		.amdhsa_exception_fp_ieee_underflow 0
		.amdhsa_exception_fp_ieee_inexact 0
		.amdhsa_exception_int_div_zero 0
	.end_amdhsa_kernel
	.section	.text._ZN5aiter43moe_smooth_per_token_scaled_quant_kernel_v1ItaLi128ELi8ELb0ELb1ELi1024EEEvPT0_PfPT_S3_PiS6_iiiii,"axG",@progbits,_ZN5aiter43moe_smooth_per_token_scaled_quant_kernel_v1ItaLi128ELi8ELb0ELb1ELi1024EEEvPT0_PfPT_S3_PiS6_iiiii,comdat
.Lfunc_end183:
	.size	_ZN5aiter43moe_smooth_per_token_scaled_quant_kernel_v1ItaLi128ELi8ELb0ELb1ELi1024EEEvPT0_PfPT_S3_PiS6_iiiii, .Lfunc_end183-_ZN5aiter43moe_smooth_per_token_scaled_quant_kernel_v1ItaLi128ELi8ELb0ELb1ELi1024EEEvPT0_PfPT_S3_PiS6_iiiii
                                        ; -- End function
	.section	.AMDGPU.csdata,"",@progbits
; Kernel info:
; codeLenInByte = 1348
; NumSgprs: 30
; NumVgprs: 26
; NumAgprs: 0
; TotalNumVgprs: 26
; ScratchSize: 0
; MemoryBound: 0
; FloatMode: 240
; IeeeMode: 1
; LDSByteSize: 4104 bytes/workgroup (compile time only)
; SGPRBlocks: 3
; VGPRBlocks: 3
; NumSGPRsForWavesPerEU: 30
; NumVGPRsForWavesPerEU: 26
; AccumOffset: 28
; Occupancy: 8
; WaveLimiterHint : 0
; COMPUTE_PGM_RSRC2:SCRATCH_EN: 0
; COMPUTE_PGM_RSRC2:USER_SGPR: 6
; COMPUTE_PGM_RSRC2:TRAP_HANDLER: 0
; COMPUTE_PGM_RSRC2:TGID_X_EN: 1
; COMPUTE_PGM_RSRC2:TGID_Y_EN: 0
; COMPUTE_PGM_RSRC2:TGID_Z_EN: 0
; COMPUTE_PGM_RSRC2:TIDIG_COMP_CNT: 0
; COMPUTE_PGM_RSRC3_GFX90A:ACCUM_OFFSET: 6
; COMPUTE_PGM_RSRC3_GFX90A:TG_SPLIT: 0
	.section	.text._ZN5aiter43moe_smooth_per_token_scaled_quant_kernel_v1IDF16_aLi128ELi8ELb0ELb0ELi1024EEEvPT0_PfPT_S3_PiS6_iiiii,"axG",@progbits,_ZN5aiter43moe_smooth_per_token_scaled_quant_kernel_v1IDF16_aLi128ELi8ELb0ELb0ELi1024EEEvPT0_PfPT_S3_PiS6_iiiii,comdat
	.protected	_ZN5aiter43moe_smooth_per_token_scaled_quant_kernel_v1IDF16_aLi128ELi8ELb0ELb0ELi1024EEEvPT0_PfPT_S3_PiS6_iiiii ; -- Begin function _ZN5aiter43moe_smooth_per_token_scaled_quant_kernel_v1IDF16_aLi128ELi8ELb0ELb0ELi1024EEEvPT0_PfPT_S3_PiS6_iiiii
	.globl	_ZN5aiter43moe_smooth_per_token_scaled_quant_kernel_v1IDF16_aLi128ELi8ELb0ELb0ELi1024EEEvPT0_PfPT_S3_PiS6_iiiii
	.p2align	8
	.type	_ZN5aiter43moe_smooth_per_token_scaled_quant_kernel_v1IDF16_aLi128ELi8ELb0ELb0ELi1024EEEvPT0_PfPT_S3_PiS6_iiiii,@function
_ZN5aiter43moe_smooth_per_token_scaled_quant_kernel_v1IDF16_aLi128ELi8ELb0ELb0ELi1024EEEvPT0_PfPT_S3_PiS6_iiiii: ; @_ZN5aiter43moe_smooth_per_token_scaled_quant_kernel_v1IDF16_aLi128ELi8ELb0ELb0ELi1024EEEvPT0_PfPT_S3_PiS6_iiiii
; %bb.0:
	s_load_dwordx4 s[8:11], s[4:5], 0x34
	s_load_dwordx2 s[0:1], s[4:5], 0x10
	s_load_dwordx2 s[2:3], s[4:5], 0x20
	v_and_b32_e32 v1, 63, v0
	s_mov_b32 s15, 0x20000
	s_waitcnt lgkmcnt(0)
	s_mul_i32 s20, s6, s8
	s_ashr_i32 s21, s20, 31
	s_lshl_b64 s[12:13], s[20:21], 2
	s_add_u32 s12, s2, s12
	s_addc_u32 s2, s3, s13
	s_and_b32 s13, s2, 0xffff
	s_mul_hi_i32 s3, s10, s6
	s_mul_i32 s2, s10, s6
	s_lshl_b32 s14, s8, 2
	v_lshlrev_b32_e32 v2, 2, v1
	s_lshl_b64 s[2:3], s[2:3], 1
	buffer_load_dword v16, v2, s[12:15], 0 offen
	s_add_u32 s12, s0, s2
	s_addc_u32 s0, s1, s3
	s_lshl_b32 s14, s9, 1
	s_and_b32 s13, s0, 0xffff
	v_lshlrev_b32_e32 v2, 4, v0
	buffer_load_dwordx4 v[2:5], v2, s[12:15], 0 offen
	s_mov_b32 s21, 0
	s_cmp_lt_i32 s8, 1
	s_waitcnt vmcnt(1)
	s_barrier
	s_cbranch_scc1 .LBB184_11
; %bb.1:
	s_add_i32 s2, s9, 7
	s_load_dwordx4 s[16:19], s[4:5], 0x0
	s_load_dwordx2 s[10:11], s[4:5], 0x18
	s_ashr_i32 s3, s2, 31
	s_add_i32 s4, s9, 3
	s_waitcnt vmcnt(0)
	v_cvt_f32_f16_sdwa v7, v2 dst_sel:DWORD dst_unused:UNUSED_PAD src0_sel:WORD_1
	v_cvt_f32_f16_e32 v6, v2
	v_cvt_f32_f16_sdwa v9, v3 dst_sel:DWORD dst_unused:UNUSED_PAD src0_sel:WORD_1
	v_cvt_f32_f16_e32 v8, v3
	;; [unrolled: 2-line block ×4, first 2 shown]
	s_lshr_b32 s3, s3, 29
	s_ashr_i32 s5, s4, 31
	v_cmp_eq_u32_e32 vcc, 63, v1
	v_lshrrev_b32_e32 v1, 4, v0
	s_add_i32 s2, s2, s3
	s_lshr_b32 s5, s5, 30
	v_and_b32_e32 v19, 60, v1
	v_and_b32_e32 v1, 1, v0
	s_ashr_i32 s2, s2, 3
	s_add_i32 s4, s4, s5
	s_mov_b32 s22, s9
	v_lshlrev_b32_e32 v17, 3, v0
	s_lshl_b32 s14, s9, 2
	v_lshlrev_b32_e32 v18, 5, v0
	v_lshlrev_b32_e32 v20, 2, v1
	v_cmp_eq_u32_e64 s[0:1], 0, v0
	v_cmp_gt_u32_e64 s[2:3], s2, v0
	s_and_b32 s6, s4, -4
	s_mov_b32 s9, 0x2edbe6ff
	v_mov_b32_e32 v21, 0
	s_branch .LBB184_4
.LBB184_2:                              ;   in Loop: Header=BB184_4 Depth=1
	s_or_b64 exec, exec, s[12:13]
.LBB184_3:                              ;   in Loop: Header=BB184_4 Depth=1
	s_add_i32 s21, s21, 1
	s_cmp_eq_u32 s8, s21
	s_cbranch_scc1 .LBB184_11
.LBB184_4:                              ; =>This Inner Loop Header: Depth=1
	v_readlane_b32 s4, v16, s21
	s_cmp_lt_i32 s4, 0
	s_cbranch_scc1 .LBB184_3
; %bb.5:                                ;   in Loop: Header=BB184_4 Depth=1
	s_mul_i32 s4, s4, s22
	s_ashr_i32 s5, s4, 31
	s_lshl_b64 s[4:5], s[4:5], 2
	s_waitcnt lgkmcnt(0)
	s_add_u32 s12, s10, s4
	s_addc_u32 s4, s11, s5
	s_and_b32 s13, s4, 0xffff
	buffer_load_dwordx4 v[12:15], v18, s[12:15], 0 offen
	buffer_load_dwordx4 v[22:25], v18, s[12:15], 16 offen
	s_waitcnt vmcnt(1)
	v_pk_mul_f32 v[12:13], v[12:13], v[6:7]
	v_pk_mul_f32 v[14:15], v[14:15], v[8:9]
	s_waitcnt vmcnt(0)
	v_pk_mul_f32 v[0:1], v[22:23], v[2:3]
	v_max3_f32 v22, |v12|, s9, |v13|
	v_max3_f32 v22, v22, |v14|, |v15|
	v_pk_mul_f32 v[4:5], v[24:25], v[10:11]
	v_max3_f32 v22, v22, |v0|, |v1|
	v_max3_f32 v22, v22, |v4|, |v5|
	s_nop 1
	v_mov_b32_dpp v23, v22 quad_perm:[1,0,3,2] row_mask:0xf bank_mask:0xf
	v_cmp_gt_f32_e64 s[4:5], v22, v23
	v_cndmask_b32_e64 v22, v23, v22, s[4:5]
	s_nop 1
	v_mov_b32_dpp v23, v22 quad_perm:[2,3,0,1] row_mask:0xf bank_mask:0xf
	v_cmp_gt_f32_e64 s[4:5], v22, v23
	v_cndmask_b32_e64 v22, v23, v22, s[4:5]
	s_nop 1
	v_mov_b32_dpp v23, v22 row_half_mirror row_mask:0xf bank_mask:0xf
	v_cmp_gt_f32_e64 s[4:5], v22, v23
	v_cndmask_b32_e64 v22, v23, v22, s[4:5]
	s_nop 1
	v_mov_b32_dpp v23, v22 row_mirror row_mask:0xf bank_mask:0xf
	v_cmp_gt_f32_e64 s[4:5], v22, v23
	v_cndmask_b32_e64 v22, v23, v22, s[4:5]
	s_nop 1
	v_mov_b32_dpp v23, v22 row_bcast:15 row_mask:0xf bank_mask:0xf
	v_cmp_gt_f32_e64 s[4:5], v22, v23
	v_cndmask_b32_e64 v22, v23, v22, s[4:5]
	s_nop 1
	v_mov_b32_dpp v23, v22 row_bcast:31 row_mask:0xf bank_mask:0xf
	s_and_saveexec_b64 s[12:13], vcc
	s_cbranch_execz .LBB184_7
; %bb.6:                                ;   in Loop: Header=BB184_4 Depth=1
	v_cmp_gt_f32_e64 s[4:5], v22, v23
	v_cndmask_b32_e64 v22, v23, v22, s[4:5]
	ds_write_b32 v19, v22
.LBB184_7:                              ;   in Loop: Header=BB184_4 Depth=1
	s_or_b64 exec, exec, s[12:13]
	s_waitcnt lgkmcnt(0)
	s_barrier
	ds_read_b32 v22, v20
	s_waitcnt lgkmcnt(0)
	s_nop 0
	v_mov_b32_dpp v23, v22 quad_perm:[1,0,3,2] row_mask:0xf bank_mask:0xf
	v_cmp_gt_f32_e64 s[4:5], v22, v23
	v_cndmask_b32_e64 v22, v23, v22, s[4:5]
	v_mul_f32_e32 v22, 0x3c010204, v22
	s_add_i32 s4, s20, s21
	s_and_saveexec_b64 s[12:13], s[0:1]
	s_cbranch_execz .LBB184_9
; %bb.8:                                ;   in Loop: Header=BB184_4 Depth=1
	s_ashr_i32 s5, s4, 31
	s_lshl_b64 s[24:25], s[4:5], 2
	s_add_u32 s24, s18, s24
	s_addc_u32 s25, s19, s25
	global_store_dword v21, v22, s[24:25]
.LBB184_9:                              ;   in Loop: Header=BB184_4 Depth=1
	s_or_b64 exec, exec, s[12:13]
	s_and_saveexec_b64 s[12:13], s[2:3]
	s_cbranch_execz .LBB184_2
; %bb.10:                               ;   in Loop: Header=BB184_4 Depth=1
	v_rcp_f32_e32 v22, v22
	s_mul_hi_i32 s5, s4, s22
	s_mul_i32 s4, s4, s22
	s_add_u32 s4, s16, s4
	v_mov_b32_e32 v23, v22
	;;#ASMSTART
	v_pk_mul_f32 v[12:13], v[12:13], v[22:23]
	;;#ASMEND
	v_cvt_i32_f32_e32 v24, v12
	v_cvt_i32_f32_sdwa v25, v13 dst_sel:BYTE_1 dst_unused:UNUSED_PAD src0_sel:DWORD
	;;#ASMSTART
	v_pk_mul_f32 v[12:13], v[14:15], v[22:23]
	;;#ASMEND
	;;#ASMSTART
	v_pk_mul_f32 v[0:1], v[0:1], v[22:23]
	;;#ASMEND
	v_cvt_i32_f32_e32 v12, v12
	v_cvt_i32_f32_sdwa v13, v13 dst_sel:BYTE_1 dst_unused:UNUSED_PAD src0_sel:DWORD
	v_cvt_i32_f32_e32 v14, v0
	v_cvt_i32_f32_sdwa v15, v1 dst_sel:BYTE_1 dst_unused:UNUSED_PAD src0_sel:DWORD
	;;#ASMSTART
	v_pk_mul_f32 v[0:1], v[4:5], v[22:23]
	;;#ASMEND
	v_cvt_i32_f32_e32 v4, v0
	v_cvt_i32_f32_sdwa v1, v1 dst_sel:BYTE_1 dst_unused:UNUSED_PAD src0_sel:DWORD
	v_or_b32_sdwa v0, v24, v25 dst_sel:DWORD dst_unused:UNUSED_PAD src0_sel:BYTE_0 src1_sel:DWORD
	v_or_b32_sdwa v5, v12, v13 dst_sel:WORD_1 dst_unused:UNUSED_PAD src0_sel:BYTE_0 src1_sel:DWORD
	s_addc_u32 s5, s17, s5
	v_or_b32_sdwa v0, v0, v5 dst_sel:DWORD dst_unused:UNUSED_PAD src0_sel:WORD_0 src1_sel:DWORD
	v_or_b32_sdwa v5, v14, v15 dst_sel:DWORD dst_unused:UNUSED_PAD src0_sel:BYTE_0 src1_sel:DWORD
	v_or_b32_sdwa v1, v4, v1 dst_sel:WORD_1 dst_unused:UNUSED_PAD src0_sel:BYTE_0 src1_sel:DWORD
	s_and_b32 s5, s5, 0xffff
	s_mov_b32 s7, s15
	v_or_b32_sdwa v1, v5, v1 dst_sel:DWORD dst_unused:UNUSED_PAD src0_sel:WORD_0 src1_sel:DWORD
	buffer_store_dwordx2 v[0:1], v17, s[4:7], 0 offen
	;;#ASMSTART
	s_nop 0
	;;#ASMEND
	s_branch .LBB184_2
.LBB184_11:
	s_endpgm
	.section	.rodata,"a",@progbits
	.p2align	6, 0x0
	.amdhsa_kernel _ZN5aiter43moe_smooth_per_token_scaled_quant_kernel_v1IDF16_aLi128ELi8ELb0ELb0ELi1024EEEvPT0_PfPT_S3_PiS6_iiiii
		.amdhsa_group_segment_fixed_size 8
		.amdhsa_private_segment_fixed_size 0
		.amdhsa_kernarg_size 68
		.amdhsa_user_sgpr_count 6
		.amdhsa_user_sgpr_private_segment_buffer 1
		.amdhsa_user_sgpr_dispatch_ptr 0
		.amdhsa_user_sgpr_queue_ptr 0
		.amdhsa_user_sgpr_kernarg_segment_ptr 1
		.amdhsa_user_sgpr_dispatch_id 0
		.amdhsa_user_sgpr_flat_scratch_init 0
		.amdhsa_user_sgpr_kernarg_preload_length 0
		.amdhsa_user_sgpr_kernarg_preload_offset 0
		.amdhsa_user_sgpr_private_segment_size 0
		.amdhsa_uses_dynamic_stack 0
		.amdhsa_system_sgpr_private_segment_wavefront_offset 0
		.amdhsa_system_sgpr_workgroup_id_x 1
		.amdhsa_system_sgpr_workgroup_id_y 0
		.amdhsa_system_sgpr_workgroup_id_z 0
		.amdhsa_system_sgpr_workgroup_info 0
		.amdhsa_system_vgpr_workitem_id 0
		.amdhsa_next_free_vgpr 26
		.amdhsa_next_free_sgpr 26
		.amdhsa_accum_offset 28
		.amdhsa_reserve_vcc 1
		.amdhsa_reserve_flat_scratch 0
		.amdhsa_float_round_mode_32 0
		.amdhsa_float_round_mode_16_64 0
		.amdhsa_float_denorm_mode_32 3
		.amdhsa_float_denorm_mode_16_64 3
		.amdhsa_dx10_clamp 1
		.amdhsa_ieee_mode 1
		.amdhsa_fp16_overflow 0
		.amdhsa_tg_split 0
		.amdhsa_exception_fp_ieee_invalid_op 0
		.amdhsa_exception_fp_denorm_src 0
		.amdhsa_exception_fp_ieee_div_zero 0
		.amdhsa_exception_fp_ieee_overflow 0
		.amdhsa_exception_fp_ieee_underflow 0
		.amdhsa_exception_fp_ieee_inexact 0
		.amdhsa_exception_int_div_zero 0
	.end_amdhsa_kernel
	.section	.text._ZN5aiter43moe_smooth_per_token_scaled_quant_kernel_v1IDF16_aLi128ELi8ELb0ELb0ELi1024EEEvPT0_PfPT_S3_PiS6_iiiii,"axG",@progbits,_ZN5aiter43moe_smooth_per_token_scaled_quant_kernel_v1IDF16_aLi128ELi8ELb0ELb0ELi1024EEEvPT0_PfPT_S3_PiS6_iiiii,comdat
.Lfunc_end184:
	.size	_ZN5aiter43moe_smooth_per_token_scaled_quant_kernel_v1IDF16_aLi128ELi8ELb0ELb0ELi1024EEEvPT0_PfPT_S3_PiS6_iiiii, .Lfunc_end184-_ZN5aiter43moe_smooth_per_token_scaled_quant_kernel_v1IDF16_aLi128ELi8ELb0ELb0ELi1024EEEvPT0_PfPT_S3_PiS6_iiiii
                                        ; -- End function
	.section	.AMDGPU.csdata,"",@progbits
; Kernel info:
; codeLenInByte = 956
; NumSgprs: 30
; NumVgprs: 26
; NumAgprs: 0
; TotalNumVgprs: 26
; ScratchSize: 0
; MemoryBound: 0
; FloatMode: 240
; IeeeMode: 1
; LDSByteSize: 8 bytes/workgroup (compile time only)
; SGPRBlocks: 3
; VGPRBlocks: 3
; NumSGPRsForWavesPerEU: 30
; NumVGPRsForWavesPerEU: 26
; AccumOffset: 28
; Occupancy: 8
; WaveLimiterHint : 0
; COMPUTE_PGM_RSRC2:SCRATCH_EN: 0
; COMPUTE_PGM_RSRC2:USER_SGPR: 6
; COMPUTE_PGM_RSRC2:TRAP_HANDLER: 0
; COMPUTE_PGM_RSRC2:TGID_X_EN: 1
; COMPUTE_PGM_RSRC2:TGID_Y_EN: 0
; COMPUTE_PGM_RSRC2:TGID_Z_EN: 0
; COMPUTE_PGM_RSRC2:TIDIG_COMP_CNT: 0
; COMPUTE_PGM_RSRC3_GFX90A:ACCUM_OFFSET: 6
; COMPUTE_PGM_RSRC3_GFX90A:TG_SPLIT: 0
	.section	.text._ZN5aiter43moe_smooth_per_token_scaled_quant_kernel_v1ItaLi128ELi8ELb0ELb0ELi1024EEEvPT0_PfPT_S3_PiS6_iiiii,"axG",@progbits,_ZN5aiter43moe_smooth_per_token_scaled_quant_kernel_v1ItaLi128ELi8ELb0ELb0ELi1024EEEvPT0_PfPT_S3_PiS6_iiiii,comdat
	.protected	_ZN5aiter43moe_smooth_per_token_scaled_quant_kernel_v1ItaLi128ELi8ELb0ELb0ELi1024EEEvPT0_PfPT_S3_PiS6_iiiii ; -- Begin function _ZN5aiter43moe_smooth_per_token_scaled_quant_kernel_v1ItaLi128ELi8ELb0ELb0ELi1024EEEvPT0_PfPT_S3_PiS6_iiiii
	.globl	_ZN5aiter43moe_smooth_per_token_scaled_quant_kernel_v1ItaLi128ELi8ELb0ELb0ELi1024EEEvPT0_PfPT_S3_PiS6_iiiii
	.p2align	8
	.type	_ZN5aiter43moe_smooth_per_token_scaled_quant_kernel_v1ItaLi128ELi8ELb0ELb0ELi1024EEEvPT0_PfPT_S3_PiS6_iiiii,@function
_ZN5aiter43moe_smooth_per_token_scaled_quant_kernel_v1ItaLi128ELi8ELb0ELb0ELi1024EEEvPT0_PfPT_S3_PiS6_iiiii: ; @_ZN5aiter43moe_smooth_per_token_scaled_quant_kernel_v1ItaLi128ELi8ELb0ELb0ELi1024EEEvPT0_PfPT_S3_PiS6_iiiii
; %bb.0:
	s_load_dwordx4 s[8:11], s[4:5], 0x34
	s_load_dwordx2 s[0:1], s[4:5], 0x10
	s_load_dwordx2 s[2:3], s[4:5], 0x20
	v_and_b32_e32 v1, 63, v0
	s_mov_b32 s15, 0x20000
	s_waitcnt lgkmcnt(0)
	s_mul_i32 s20, s6, s8
	s_ashr_i32 s21, s20, 31
	s_lshl_b64 s[12:13], s[20:21], 2
	s_add_u32 s12, s2, s12
	s_addc_u32 s2, s3, s13
	s_and_b32 s13, s2, 0xffff
	s_mul_hi_i32 s3, s10, s6
	s_mul_i32 s2, s10, s6
	s_lshl_b32 s14, s8, 2
	v_lshlrev_b32_e32 v2, 2, v1
	s_lshl_b64 s[2:3], s[2:3], 1
	buffer_load_dword v16, v2, s[12:15], 0 offen
	s_add_u32 s12, s0, s2
	s_addc_u32 s0, s1, s3
	s_lshl_b32 s14, s9, 1
	s_and_b32 s13, s0, 0xffff
	v_lshlrev_b32_e32 v2, 4, v0
	buffer_load_dwordx4 v[2:5], v2, s[12:15], 0 offen
	s_mov_b32 s21, 0
	s_cmp_lt_i32 s8, 1
	s_waitcnt vmcnt(1)
	s_barrier
	s_cbranch_scc1 .LBB185_11
; %bb.1:
	s_add_i32 s2, s9, 7
	s_load_dwordx4 s[16:19], s[4:5], 0x0
	s_load_dwordx2 s[10:11], s[4:5], 0x18
	s_ashr_i32 s3, s2, 31
	s_add_i32 s4, s9, 3
	s_waitcnt vmcnt(0)
	v_cvt_f32_u32_sdwa v7, v2 dst_sel:DWORD dst_unused:UNUSED_PAD src0_sel:WORD_1
	v_cvt_f32_u32_sdwa v6, v2 dst_sel:DWORD dst_unused:UNUSED_PAD src0_sel:WORD_0
	v_cvt_f32_u32_sdwa v9, v3 dst_sel:DWORD dst_unused:UNUSED_PAD src0_sel:WORD_1
	v_cvt_f32_u32_sdwa v8, v3 dst_sel:DWORD dst_unused:UNUSED_PAD src0_sel:WORD_0
	;; [unrolled: 2-line block ×4, first 2 shown]
	s_lshr_b32 s3, s3, 29
	s_ashr_i32 s5, s4, 31
	v_cmp_eq_u32_e32 vcc, 63, v1
	v_lshrrev_b32_e32 v1, 4, v0
	s_add_i32 s2, s2, s3
	s_lshr_b32 s5, s5, 30
	v_and_b32_e32 v19, 60, v1
	v_and_b32_e32 v1, 1, v0
	s_ashr_i32 s2, s2, 3
	s_add_i32 s4, s4, s5
	s_mov_b32 s22, s9
	v_lshlrev_b32_e32 v17, 3, v0
	s_lshl_b32 s14, s9, 2
	v_lshlrev_b32_e32 v18, 5, v0
	v_lshlrev_b32_e32 v20, 2, v1
	v_cmp_eq_u32_e64 s[0:1], 0, v0
	v_cmp_gt_u32_e64 s[2:3], s2, v0
	s_and_b32 s6, s4, -4
	s_mov_b32 s9, 0x2edbe6ff
	v_mov_b32_e32 v21, 0
	s_branch .LBB185_4
.LBB185_2:                              ;   in Loop: Header=BB185_4 Depth=1
	s_or_b64 exec, exec, s[12:13]
.LBB185_3:                              ;   in Loop: Header=BB185_4 Depth=1
	s_add_i32 s21, s21, 1
	s_cmp_eq_u32 s8, s21
	s_cbranch_scc1 .LBB185_11
.LBB185_4:                              ; =>This Inner Loop Header: Depth=1
	v_readlane_b32 s4, v16, s21
	s_cmp_lt_i32 s4, 0
	s_cbranch_scc1 .LBB185_3
; %bb.5:                                ;   in Loop: Header=BB185_4 Depth=1
	s_mul_i32 s4, s4, s22
	s_ashr_i32 s5, s4, 31
	s_lshl_b64 s[4:5], s[4:5], 2
	s_waitcnt lgkmcnt(0)
	s_add_u32 s12, s10, s4
	s_addc_u32 s4, s11, s5
	s_and_b32 s13, s4, 0xffff
	buffer_load_dwordx4 v[12:15], v18, s[12:15], 0 offen
	buffer_load_dwordx4 v[22:25], v18, s[12:15], 16 offen
	s_waitcnt vmcnt(1)
	v_pk_mul_f32 v[12:13], v[12:13], v[6:7]
	v_pk_mul_f32 v[14:15], v[14:15], v[8:9]
	s_waitcnt vmcnt(0)
	v_pk_mul_f32 v[0:1], v[22:23], v[2:3]
	v_max3_f32 v22, |v12|, s9, |v13|
	v_max3_f32 v22, v22, |v14|, |v15|
	v_pk_mul_f32 v[4:5], v[24:25], v[10:11]
	v_max3_f32 v22, v22, |v0|, |v1|
	v_max3_f32 v22, v22, |v4|, |v5|
	s_nop 1
	v_mov_b32_dpp v23, v22 quad_perm:[1,0,3,2] row_mask:0xf bank_mask:0xf
	v_cmp_gt_f32_e64 s[4:5], v22, v23
	v_cndmask_b32_e64 v22, v23, v22, s[4:5]
	s_nop 1
	v_mov_b32_dpp v23, v22 quad_perm:[2,3,0,1] row_mask:0xf bank_mask:0xf
	v_cmp_gt_f32_e64 s[4:5], v22, v23
	v_cndmask_b32_e64 v22, v23, v22, s[4:5]
	s_nop 1
	v_mov_b32_dpp v23, v22 row_half_mirror row_mask:0xf bank_mask:0xf
	v_cmp_gt_f32_e64 s[4:5], v22, v23
	v_cndmask_b32_e64 v22, v23, v22, s[4:5]
	s_nop 1
	v_mov_b32_dpp v23, v22 row_mirror row_mask:0xf bank_mask:0xf
	v_cmp_gt_f32_e64 s[4:5], v22, v23
	v_cndmask_b32_e64 v22, v23, v22, s[4:5]
	s_nop 1
	v_mov_b32_dpp v23, v22 row_bcast:15 row_mask:0xf bank_mask:0xf
	v_cmp_gt_f32_e64 s[4:5], v22, v23
	v_cndmask_b32_e64 v22, v23, v22, s[4:5]
	s_nop 1
	v_mov_b32_dpp v23, v22 row_bcast:31 row_mask:0xf bank_mask:0xf
	s_and_saveexec_b64 s[12:13], vcc
	s_cbranch_execz .LBB185_7
; %bb.6:                                ;   in Loop: Header=BB185_4 Depth=1
	v_cmp_gt_f32_e64 s[4:5], v22, v23
	v_cndmask_b32_e64 v22, v23, v22, s[4:5]
	ds_write_b32 v19, v22
.LBB185_7:                              ;   in Loop: Header=BB185_4 Depth=1
	s_or_b64 exec, exec, s[12:13]
	s_waitcnt lgkmcnt(0)
	s_barrier
	ds_read_b32 v22, v20
	s_waitcnt lgkmcnt(0)
	s_nop 0
	v_mov_b32_dpp v23, v22 quad_perm:[1,0,3,2] row_mask:0xf bank_mask:0xf
	v_cmp_gt_f32_e64 s[4:5], v22, v23
	v_cndmask_b32_e64 v22, v23, v22, s[4:5]
	v_mul_f32_e32 v22, 0x3c010204, v22
	s_add_i32 s4, s20, s21
	s_and_saveexec_b64 s[12:13], s[0:1]
	s_cbranch_execz .LBB185_9
; %bb.8:                                ;   in Loop: Header=BB185_4 Depth=1
	s_ashr_i32 s5, s4, 31
	s_lshl_b64 s[24:25], s[4:5], 2
	s_add_u32 s24, s18, s24
	s_addc_u32 s25, s19, s25
	global_store_dword v21, v22, s[24:25]
.LBB185_9:                              ;   in Loop: Header=BB185_4 Depth=1
	s_or_b64 exec, exec, s[12:13]
	s_and_saveexec_b64 s[12:13], s[2:3]
	s_cbranch_execz .LBB185_2
; %bb.10:                               ;   in Loop: Header=BB185_4 Depth=1
	v_rcp_f32_e32 v22, v22
	s_mul_hi_i32 s5, s4, s22
	s_mul_i32 s4, s4, s22
	s_add_u32 s4, s16, s4
	v_mov_b32_e32 v23, v22
	;;#ASMSTART
	v_pk_mul_f32 v[12:13], v[12:13], v[22:23]
	;;#ASMEND
	v_cvt_i32_f32_e32 v24, v12
	v_cvt_i32_f32_sdwa v25, v13 dst_sel:BYTE_1 dst_unused:UNUSED_PAD src0_sel:DWORD
	;;#ASMSTART
	v_pk_mul_f32 v[12:13], v[14:15], v[22:23]
	;;#ASMEND
	;;#ASMSTART
	v_pk_mul_f32 v[0:1], v[0:1], v[22:23]
	;;#ASMEND
	v_cvt_i32_f32_e32 v12, v12
	v_cvt_i32_f32_sdwa v13, v13 dst_sel:BYTE_1 dst_unused:UNUSED_PAD src0_sel:DWORD
	v_cvt_i32_f32_e32 v14, v0
	v_cvt_i32_f32_sdwa v15, v1 dst_sel:BYTE_1 dst_unused:UNUSED_PAD src0_sel:DWORD
	;;#ASMSTART
	v_pk_mul_f32 v[0:1], v[4:5], v[22:23]
	;;#ASMEND
	v_cvt_i32_f32_e32 v4, v0
	v_cvt_i32_f32_sdwa v1, v1 dst_sel:BYTE_1 dst_unused:UNUSED_PAD src0_sel:DWORD
	v_or_b32_sdwa v0, v24, v25 dst_sel:DWORD dst_unused:UNUSED_PAD src0_sel:BYTE_0 src1_sel:DWORD
	v_or_b32_sdwa v5, v12, v13 dst_sel:WORD_1 dst_unused:UNUSED_PAD src0_sel:BYTE_0 src1_sel:DWORD
	s_addc_u32 s5, s17, s5
	v_or_b32_sdwa v0, v0, v5 dst_sel:DWORD dst_unused:UNUSED_PAD src0_sel:WORD_0 src1_sel:DWORD
	v_or_b32_sdwa v5, v14, v15 dst_sel:DWORD dst_unused:UNUSED_PAD src0_sel:BYTE_0 src1_sel:DWORD
	v_or_b32_sdwa v1, v4, v1 dst_sel:WORD_1 dst_unused:UNUSED_PAD src0_sel:BYTE_0 src1_sel:DWORD
	s_and_b32 s5, s5, 0xffff
	s_mov_b32 s7, s15
	v_or_b32_sdwa v1, v5, v1 dst_sel:DWORD dst_unused:UNUSED_PAD src0_sel:WORD_0 src1_sel:DWORD
	buffer_store_dwordx2 v[0:1], v17, s[4:7], 0 offen
	;;#ASMSTART
	s_nop 0
	;;#ASMEND
	s_branch .LBB185_2
.LBB185_11:
	s_endpgm
	.section	.rodata,"a",@progbits
	.p2align	6, 0x0
	.amdhsa_kernel _ZN5aiter43moe_smooth_per_token_scaled_quant_kernel_v1ItaLi128ELi8ELb0ELb0ELi1024EEEvPT0_PfPT_S3_PiS6_iiiii
		.amdhsa_group_segment_fixed_size 8
		.amdhsa_private_segment_fixed_size 0
		.amdhsa_kernarg_size 68
		.amdhsa_user_sgpr_count 6
		.amdhsa_user_sgpr_private_segment_buffer 1
		.amdhsa_user_sgpr_dispatch_ptr 0
		.amdhsa_user_sgpr_queue_ptr 0
		.amdhsa_user_sgpr_kernarg_segment_ptr 1
		.amdhsa_user_sgpr_dispatch_id 0
		.amdhsa_user_sgpr_flat_scratch_init 0
		.amdhsa_user_sgpr_kernarg_preload_length 0
		.amdhsa_user_sgpr_kernarg_preload_offset 0
		.amdhsa_user_sgpr_private_segment_size 0
		.amdhsa_uses_dynamic_stack 0
		.amdhsa_system_sgpr_private_segment_wavefront_offset 0
		.amdhsa_system_sgpr_workgroup_id_x 1
		.amdhsa_system_sgpr_workgroup_id_y 0
		.amdhsa_system_sgpr_workgroup_id_z 0
		.amdhsa_system_sgpr_workgroup_info 0
		.amdhsa_system_vgpr_workitem_id 0
		.amdhsa_next_free_vgpr 26
		.amdhsa_next_free_sgpr 26
		.amdhsa_accum_offset 28
		.amdhsa_reserve_vcc 1
		.amdhsa_reserve_flat_scratch 0
		.amdhsa_float_round_mode_32 0
		.amdhsa_float_round_mode_16_64 0
		.amdhsa_float_denorm_mode_32 3
		.amdhsa_float_denorm_mode_16_64 3
		.amdhsa_dx10_clamp 1
		.amdhsa_ieee_mode 1
		.amdhsa_fp16_overflow 0
		.amdhsa_tg_split 0
		.amdhsa_exception_fp_ieee_invalid_op 0
		.amdhsa_exception_fp_denorm_src 0
		.amdhsa_exception_fp_ieee_div_zero 0
		.amdhsa_exception_fp_ieee_overflow 0
		.amdhsa_exception_fp_ieee_underflow 0
		.amdhsa_exception_fp_ieee_inexact 0
		.amdhsa_exception_int_div_zero 0
	.end_amdhsa_kernel
	.section	.text._ZN5aiter43moe_smooth_per_token_scaled_quant_kernel_v1ItaLi128ELi8ELb0ELb0ELi1024EEEvPT0_PfPT_S3_PiS6_iiiii,"axG",@progbits,_ZN5aiter43moe_smooth_per_token_scaled_quant_kernel_v1ItaLi128ELi8ELb0ELb0ELi1024EEEvPT0_PfPT_S3_PiS6_iiiii,comdat
.Lfunc_end185:
	.size	_ZN5aiter43moe_smooth_per_token_scaled_quant_kernel_v1ItaLi128ELi8ELb0ELb0ELi1024EEEvPT0_PfPT_S3_PiS6_iiiii, .Lfunc_end185-_ZN5aiter43moe_smooth_per_token_scaled_quant_kernel_v1ItaLi128ELi8ELb0ELb0ELi1024EEEvPT0_PfPT_S3_PiS6_iiiii
                                        ; -- End function
	.section	.AMDGPU.csdata,"",@progbits
; Kernel info:
; codeLenInByte = 972
; NumSgprs: 30
; NumVgprs: 26
; NumAgprs: 0
; TotalNumVgprs: 26
; ScratchSize: 0
; MemoryBound: 0
; FloatMode: 240
; IeeeMode: 1
; LDSByteSize: 8 bytes/workgroup (compile time only)
; SGPRBlocks: 3
; VGPRBlocks: 3
; NumSGPRsForWavesPerEU: 30
; NumVGPRsForWavesPerEU: 26
; AccumOffset: 28
; Occupancy: 8
; WaveLimiterHint : 0
; COMPUTE_PGM_RSRC2:SCRATCH_EN: 0
; COMPUTE_PGM_RSRC2:USER_SGPR: 6
; COMPUTE_PGM_RSRC2:TRAP_HANDLER: 0
; COMPUTE_PGM_RSRC2:TGID_X_EN: 1
; COMPUTE_PGM_RSRC2:TGID_Y_EN: 0
; COMPUTE_PGM_RSRC2:TGID_Z_EN: 0
; COMPUTE_PGM_RSRC2:TIDIG_COMP_CNT: 0
; COMPUTE_PGM_RSRC3_GFX90A:ACCUM_OFFSET: 6
; COMPUTE_PGM_RSRC3_GFX90A:TG_SPLIT: 0
	.section	.text._ZN5aiter43moe_smooth_per_token_scaled_quant_kernel_v1IDF16_aLi256ELi8ELb1ELb1ELi1024EEEvPT0_PfPT_S3_PiS6_iiiii,"axG",@progbits,_ZN5aiter43moe_smooth_per_token_scaled_quant_kernel_v1IDF16_aLi256ELi8ELb1ELb1ELi1024EEEvPT0_PfPT_S3_PiS6_iiiii,comdat
	.protected	_ZN5aiter43moe_smooth_per_token_scaled_quant_kernel_v1IDF16_aLi256ELi8ELb1ELb1ELi1024EEEvPT0_PfPT_S3_PiS6_iiiii ; -- Begin function _ZN5aiter43moe_smooth_per_token_scaled_quant_kernel_v1IDF16_aLi256ELi8ELb1ELb1ELi1024EEEvPT0_PfPT_S3_PiS6_iiiii
	.globl	_ZN5aiter43moe_smooth_per_token_scaled_quant_kernel_v1IDF16_aLi256ELi8ELb1ELb1ELi1024EEEvPT0_PfPT_S3_PiS6_iiiii
	.p2align	8
	.type	_ZN5aiter43moe_smooth_per_token_scaled_quant_kernel_v1IDF16_aLi256ELi8ELb1ELb1ELi1024EEEvPT0_PfPT_S3_PiS6_iiiii,@function
_ZN5aiter43moe_smooth_per_token_scaled_quant_kernel_v1IDF16_aLi256ELi8ELb1ELb1ELi1024EEEvPT0_PfPT_S3_PiS6_iiiii: ; @_ZN5aiter43moe_smooth_per_token_scaled_quant_kernel_v1IDF16_aLi256ELi8ELb1ELb1ELi1024EEEvPT0_PfPT_S3_PiS6_iiiii
; %bb.0:
	s_load_dword s7, s[4:5], 0x40
	s_load_dwordx8 s[8:15], s[4:5], 0x20
	s_load_dwordx2 s[16:17], s[4:5], 0x10
	v_and_b32_e32 v1, 0x3c0, v0
	v_lshlrev_b32_e32 v1, 2, v1
	v_lshlrev_b32_e32 v2, 2, v0
	s_waitcnt lgkmcnt(0)
	s_mov_b32 s0, s10
	v_readfirstlane_b32 s10, v1
	v_add_u32_e32 v3, 0x400, v1
	s_lshl_b32 s2, s7, 2
	s_and_b32 s1, s11, 0xffff
	s_mov_b32 s3, 0x20000
	;;#ASMSTART
	s_mov_b32 m0 s10
	buffer_load_dword v2, s[0:3], 0 offen offset:0 lds
	
	;;#ASMEND
	v_readfirstlane_b32 s10, v3
	v_add_u32_e32 v3, 0x400, v2
	;;#ASMSTART
	s_mov_b32 m0 s10
	buffer_load_dword v3, s[0:3], 0 offen offset:0 lds
	
	;;#ASMEND
	v_add_u32_e32 v3, 0x800, v1
	v_readfirstlane_b32 s10, v3
	v_add_u32_e32 v3, 0x800, v2
	;;#ASMSTART
	s_mov_b32 m0 s10
	buffer_load_dword v3, s[0:3], 0 offen offset:0 lds
	
	;;#ASMEND
	v_add_u32_e32 v1, 0xc00, v1
	v_readfirstlane_b32 s10, v1
	v_add_u32_e32 v1, 0xc00, v2
	;;#ASMSTART
	s_mov_b32 m0 s10
	buffer_load_dword v1, s[0:3], 0 offen offset:0 lds
	
	;;#ASMEND
	s_mul_i32 s0, s6, s13
	s_ashr_i32 s1, s0, 31
	s_lshl_b64 s[0:1], s[0:1], 2
	s_add_u32 s0, s8, s0
	v_and_b32_e32 v1, 63, v0
	s_addc_u32 s1, s9, s1
	s_lshl_b32 s2, s13, 2
	s_and_b32 s1, s1, 0xffff
	v_lshlrev_b32_e32 v2, 2, v1
	buffer_load_dword v16, v2, s[0:3], 0 offen
	s_mul_hi_i32 s1, s15, s6
	s_mul_i32 s0, s15, s6
	s_lshl_b64 s[0:1], s[0:1], 1
	s_add_u32 s0, s16, s0
	s_addc_u32 s1, s17, s1
	s_lshl_b32 s2, s14, 1
	s_and_b32 s1, s1, 0xffff
	v_lshlrev_b32_e32 v2, 4, v0
	buffer_load_dwordx4 v[2:5], v2, s[0:3], 0 offen
	v_cmp_gt_i32_e32 vcc, s13, v1
	s_waitcnt vmcnt(1)
	s_barrier
	v_cmp_gt_i32_e64 s[2:3], s7, v16
	v_cmp_lt_i32_e64 s[0:1], -1, v16
	s_and_b64 s[2:3], vcc, s[2:3]
	s_and_b64 s[2:3], s[2:3], s[0:1]
	s_and_saveexec_b64 s[0:1], s[2:3]
	s_cbranch_execz .LBB186_2
; %bb.1:
	v_lshlrev_b32_e32 v6, 2, v16
	ds_read_b32 v16, v6
.LBB186_2:
	s_or_b64 exec, exec, s[0:1]
	s_cmp_lt_i32 s13, 1
	s_cbranch_scc1 .LBB186_13
; %bb.3:
	s_add_i32 s2, s14, 7
	s_load_dwordx4 s[8:11], s[4:5], 0x0
	s_load_dwordx2 s[24:25], s[4:5], 0x18
	s_ashr_i32 s3, s2, 31
	s_add_i32 s4, s14, 3
	s_waitcnt vmcnt(0)
	v_cvt_f32_f16_sdwa v7, v2 dst_sel:DWORD dst_unused:UNUSED_PAD src0_sel:WORD_1
	v_cvt_f32_f16_e32 v6, v2
	v_cvt_f32_f16_sdwa v9, v3 dst_sel:DWORD dst_unused:UNUSED_PAD src0_sel:WORD_1
	v_cvt_f32_f16_e32 v8, v3
	;; [unrolled: 2-line block ×4, first 2 shown]
	s_lshr_b32 s3, s3, 29
	s_ashr_i32 s5, s4, 31
	v_cmp_eq_u32_e32 vcc, 63, v1
	v_lshrrev_b32_e32 v1, 4, v0
	v_mov_b32_e32 v4, 0x1000
	s_add_i32 s2, s2, s3
	s_lshr_b32 s5, s5, 30
	v_and_or_b32 v19, v1, 60, v4
	v_and_b32_e32 v1, 3, v0
	s_ashr_i32 s2, s2, 3
	s_add_i32 s4, s4, s5
	v_lshlrev_b32_e32 v17, 3, v0
	s_lshl_b32 s18, s14, 2
	v_lshlrev_b32_e32 v18, 5, v0
	v_lshl_or_b32 v20, v1, 2, v4
	s_mov_b32 s15, 0
	v_cmp_eq_u32_e64 s[0:1], 0, v0
	v_cmp_gt_u32_e64 s[2:3], s2, v0
	s_and_b32 s22, s4, -4
	s_mov_b32 s19, 0x20000
	s_mov_b32 s26, 0x2edbe6ff
	v_mov_b32_e32 v21, 0
	s_branch .LBB186_6
.LBB186_4:                              ;   in Loop: Header=BB186_6 Depth=1
	s_or_b64 exec, exec, s[4:5]
.LBB186_5:                              ;   in Loop: Header=BB186_6 Depth=1
	s_add_i32 s15, s15, 1
	s_add_i32 s6, s6, s12
	s_cmp_eq_u32 s13, s15
	s_cbranch_scc1 .LBB186_13
.LBB186_6:                              ; =>This Inner Loop Header: Depth=1
	s_waitcnt lgkmcnt(0)
	v_readlane_b32 s4, v16, s15
	s_cmp_lt_i32 s4, 0
	s_cbranch_scc1 .LBB186_5
; %bb.7:                                ;   in Loop: Header=BB186_6 Depth=1
	s_mul_i32 s4, s4, s14
	s_ashr_i32 s5, s4, 31
	s_lshl_b64 s[4:5], s[4:5], 2
	s_add_u32 s16, s24, s4
	s_addc_u32 s4, s25, s5
	s_and_b32 s17, s4, 0xffff
	buffer_load_dwordx4 v[12:15], v18, s[16:19], 0 offen
	buffer_load_dwordx4 v[22:25], v18, s[16:19], 16 offen
	s_waitcnt vmcnt(1)
	v_pk_mul_f32 v[12:13], v[12:13], v[6:7]
	v_pk_mul_f32 v[14:15], v[14:15], v[8:9]
	s_waitcnt vmcnt(0)
	v_pk_mul_f32 v[0:1], v[22:23], v[2:3]
	v_max3_f32 v22, |v12|, s26, |v13|
	v_max3_f32 v22, v22, |v14|, |v15|
	v_pk_mul_f32 v[4:5], v[24:25], v[10:11]
	v_max3_f32 v22, v22, |v0|, |v1|
	v_max3_f32 v22, v22, |v4|, |v5|
	s_nop 1
	v_mov_b32_dpp v23, v22 quad_perm:[1,0,3,2] row_mask:0xf bank_mask:0xf
	v_cmp_gt_f32_e64 s[4:5], v22, v23
	v_cndmask_b32_e64 v22, v23, v22, s[4:5]
	s_nop 1
	v_mov_b32_dpp v23, v22 quad_perm:[2,3,0,1] row_mask:0xf bank_mask:0xf
	v_cmp_gt_f32_e64 s[4:5], v22, v23
	v_cndmask_b32_e64 v22, v23, v22, s[4:5]
	s_nop 1
	v_mov_b32_dpp v23, v22 row_half_mirror row_mask:0xf bank_mask:0xf
	v_cmp_gt_f32_e64 s[4:5], v22, v23
	v_cndmask_b32_e64 v22, v23, v22, s[4:5]
	s_nop 1
	v_mov_b32_dpp v23, v22 row_mirror row_mask:0xf bank_mask:0xf
	v_cmp_gt_f32_e64 s[4:5], v22, v23
	v_cndmask_b32_e64 v22, v23, v22, s[4:5]
	s_nop 1
	v_mov_b32_dpp v23, v22 row_bcast:15 row_mask:0xf bank_mask:0xf
	v_cmp_gt_f32_e64 s[4:5], v22, v23
	v_cndmask_b32_e64 v22, v23, v22, s[4:5]
	s_nop 1
	v_mov_b32_dpp v23, v22 row_bcast:31 row_mask:0xf bank_mask:0xf
	s_and_saveexec_b64 s[16:17], vcc
	s_cbranch_execz .LBB186_9
; %bb.8:                                ;   in Loop: Header=BB186_6 Depth=1
	v_cmp_gt_f32_e64 s[4:5], v22, v23
	v_cndmask_b32_e64 v22, v23, v22, s[4:5]
	ds_write_b32 v19, v22
.LBB186_9:                              ;   in Loop: Header=BB186_6 Depth=1
	s_or_b64 exec, exec, s[16:17]
	s_waitcnt lgkmcnt(0)
	s_barrier
	ds_read_b32 v22, v20
	s_waitcnt lgkmcnt(0)
	s_nop 0
	v_mov_b32_dpp v23, v22 quad_perm:[1,0,3,2] row_mask:0xf bank_mask:0xf
	v_cmp_gt_f32_e64 s[4:5], v22, v23
	v_cndmask_b32_e64 v22, v23, v22, s[4:5]
	s_nop 1
	v_mov_b32_dpp v23, v22 quad_perm:[2,3,0,1] row_mask:0xf bank_mask:0xf
	v_cmp_gt_f32_e64 s[4:5], v22, v23
	v_cndmask_b32_e64 v22, v23, v22, s[4:5]
	v_mul_f32_e32 v22, 0x3c010204, v22
	s_and_saveexec_b64 s[4:5], s[0:1]
	s_cbranch_execz .LBB186_11
; %bb.10:                               ;   in Loop: Header=BB186_6 Depth=1
	s_ashr_i32 s7, s6, 31
	s_lshl_b64 s[16:17], s[6:7], 2
	s_add_u32 s16, s10, s16
	s_addc_u32 s17, s11, s17
	global_store_dword v21, v22, s[16:17]
.LBB186_11:                             ;   in Loop: Header=BB186_6 Depth=1
	s_or_b64 exec, exec, s[4:5]
	s_and_saveexec_b64 s[4:5], s[2:3]
	s_cbranch_execz .LBB186_4
; %bb.12:                               ;   in Loop: Header=BB186_6 Depth=1
	v_rcp_f32_e32 v22, v22
	s_mul_i32 s16, s6, s14
	s_mul_hi_i32 s7, s6, s14
	s_add_u32 s20, s8, s16
	v_mov_b32_e32 v23, v22
	;;#ASMSTART
	v_pk_mul_f32 v[12:13], v[12:13], v[22:23]
	;;#ASMEND
	v_cvt_i32_f32_e32 v24, v12
	v_cvt_i32_f32_sdwa v25, v13 dst_sel:BYTE_1 dst_unused:UNUSED_PAD src0_sel:DWORD
	;;#ASMSTART
	v_pk_mul_f32 v[12:13], v[14:15], v[22:23]
	;;#ASMEND
	;;#ASMSTART
	v_pk_mul_f32 v[0:1], v[0:1], v[22:23]
	;;#ASMEND
	v_cvt_i32_f32_e32 v12, v12
	v_cvt_i32_f32_sdwa v13, v13 dst_sel:BYTE_1 dst_unused:UNUSED_PAD src0_sel:DWORD
	v_cvt_i32_f32_e32 v14, v0
	v_cvt_i32_f32_sdwa v15, v1 dst_sel:BYTE_1 dst_unused:UNUSED_PAD src0_sel:DWORD
	;;#ASMSTART
	v_pk_mul_f32 v[0:1], v[4:5], v[22:23]
	;;#ASMEND
	v_cvt_i32_f32_e32 v4, v0
	v_cvt_i32_f32_sdwa v1, v1 dst_sel:BYTE_1 dst_unused:UNUSED_PAD src0_sel:DWORD
	v_or_b32_sdwa v0, v24, v25 dst_sel:DWORD dst_unused:UNUSED_PAD src0_sel:BYTE_0 src1_sel:DWORD
	v_or_b32_sdwa v5, v12, v13 dst_sel:WORD_1 dst_unused:UNUSED_PAD src0_sel:BYTE_0 src1_sel:DWORD
	s_addc_u32 s7, s9, s7
	v_or_b32_sdwa v0, v0, v5 dst_sel:DWORD dst_unused:UNUSED_PAD src0_sel:WORD_0 src1_sel:DWORD
	v_or_b32_sdwa v5, v14, v15 dst_sel:DWORD dst_unused:UNUSED_PAD src0_sel:BYTE_0 src1_sel:DWORD
	v_or_b32_sdwa v1, v4, v1 dst_sel:WORD_1 dst_unused:UNUSED_PAD src0_sel:BYTE_0 src1_sel:DWORD
	s_and_b32 s21, s7, 0xffff
	s_mov_b32 s23, s19
	v_or_b32_sdwa v1, v5, v1 dst_sel:DWORD dst_unused:UNUSED_PAD src0_sel:WORD_0 src1_sel:DWORD
	buffer_store_dwordx2 v[0:1], v17, s[20:23], 0 offen
	;;#ASMSTART
	s_nop 0
	;;#ASMEND
	s_branch .LBB186_4
.LBB186_13:
	s_endpgm
	.section	.rodata,"a",@progbits
	.p2align	6, 0x0
	.amdhsa_kernel _ZN5aiter43moe_smooth_per_token_scaled_quant_kernel_v1IDF16_aLi256ELi8ELb1ELb1ELi1024EEEvPT0_PfPT_S3_PiS6_iiiii
		.amdhsa_group_segment_fixed_size 4112
		.amdhsa_private_segment_fixed_size 0
		.amdhsa_kernarg_size 68
		.amdhsa_user_sgpr_count 6
		.amdhsa_user_sgpr_private_segment_buffer 1
		.amdhsa_user_sgpr_dispatch_ptr 0
		.amdhsa_user_sgpr_queue_ptr 0
		.amdhsa_user_sgpr_kernarg_segment_ptr 1
		.amdhsa_user_sgpr_dispatch_id 0
		.amdhsa_user_sgpr_flat_scratch_init 0
		.amdhsa_user_sgpr_kernarg_preload_length 0
		.amdhsa_user_sgpr_kernarg_preload_offset 0
		.amdhsa_user_sgpr_private_segment_size 0
		.amdhsa_uses_dynamic_stack 0
		.amdhsa_system_sgpr_private_segment_wavefront_offset 0
		.amdhsa_system_sgpr_workgroup_id_x 1
		.amdhsa_system_sgpr_workgroup_id_y 0
		.amdhsa_system_sgpr_workgroup_id_z 0
		.amdhsa_system_sgpr_workgroup_info 0
		.amdhsa_system_vgpr_workitem_id 0
		.amdhsa_next_free_vgpr 26
		.amdhsa_next_free_sgpr 27
		.amdhsa_accum_offset 28
		.amdhsa_reserve_vcc 1
		.amdhsa_reserve_flat_scratch 0
		.amdhsa_float_round_mode_32 0
		.amdhsa_float_round_mode_16_64 0
		.amdhsa_float_denorm_mode_32 3
		.amdhsa_float_denorm_mode_16_64 3
		.amdhsa_dx10_clamp 1
		.amdhsa_ieee_mode 1
		.amdhsa_fp16_overflow 0
		.amdhsa_tg_split 0
		.amdhsa_exception_fp_ieee_invalid_op 0
		.amdhsa_exception_fp_denorm_src 0
		.amdhsa_exception_fp_ieee_div_zero 0
		.amdhsa_exception_fp_ieee_overflow 0
		.amdhsa_exception_fp_ieee_underflow 0
		.amdhsa_exception_fp_ieee_inexact 0
		.amdhsa_exception_int_div_zero 0
	.end_amdhsa_kernel
	.section	.text._ZN5aiter43moe_smooth_per_token_scaled_quant_kernel_v1IDF16_aLi256ELi8ELb1ELb1ELi1024EEEvPT0_PfPT_S3_PiS6_iiiii,"axG",@progbits,_ZN5aiter43moe_smooth_per_token_scaled_quant_kernel_v1IDF16_aLi256ELi8ELb1ELb1ELi1024EEEvPT0_PfPT_S3_PiS6_iiiii,comdat
.Lfunc_end186:
	.size	_ZN5aiter43moe_smooth_per_token_scaled_quant_kernel_v1IDF16_aLi256ELi8ELb1ELb1ELi1024EEEvPT0_PfPT_S3_PiS6_iiiii, .Lfunc_end186-_ZN5aiter43moe_smooth_per_token_scaled_quant_kernel_v1IDF16_aLi256ELi8ELb1ELb1ELi1024EEEvPT0_PfPT_S3_PiS6_iiiii
                                        ; -- End function
	.section	.AMDGPU.csdata,"",@progbits
; Kernel info:
; codeLenInByte = 1216
; NumSgprs: 31
; NumVgprs: 26
; NumAgprs: 0
; TotalNumVgprs: 26
; ScratchSize: 0
; MemoryBound: 0
; FloatMode: 240
; IeeeMode: 1
; LDSByteSize: 4112 bytes/workgroup (compile time only)
; SGPRBlocks: 3
; VGPRBlocks: 3
; NumSGPRsForWavesPerEU: 31
; NumVGPRsForWavesPerEU: 26
; AccumOffset: 28
; Occupancy: 8
; WaveLimiterHint : 0
; COMPUTE_PGM_RSRC2:SCRATCH_EN: 0
; COMPUTE_PGM_RSRC2:USER_SGPR: 6
; COMPUTE_PGM_RSRC2:TRAP_HANDLER: 0
; COMPUTE_PGM_RSRC2:TGID_X_EN: 1
; COMPUTE_PGM_RSRC2:TGID_Y_EN: 0
; COMPUTE_PGM_RSRC2:TGID_Z_EN: 0
; COMPUTE_PGM_RSRC2:TIDIG_COMP_CNT: 0
; COMPUTE_PGM_RSRC3_GFX90A:ACCUM_OFFSET: 6
; COMPUTE_PGM_RSRC3_GFX90A:TG_SPLIT: 0
	.section	.text._ZN5aiter43moe_smooth_per_token_scaled_quant_kernel_v1ItaLi256ELi8ELb1ELb1ELi1024EEEvPT0_PfPT_S3_PiS6_iiiii,"axG",@progbits,_ZN5aiter43moe_smooth_per_token_scaled_quant_kernel_v1ItaLi256ELi8ELb1ELb1ELi1024EEEvPT0_PfPT_S3_PiS6_iiiii,comdat
	.protected	_ZN5aiter43moe_smooth_per_token_scaled_quant_kernel_v1ItaLi256ELi8ELb1ELb1ELi1024EEEvPT0_PfPT_S3_PiS6_iiiii ; -- Begin function _ZN5aiter43moe_smooth_per_token_scaled_quant_kernel_v1ItaLi256ELi8ELb1ELb1ELi1024EEEvPT0_PfPT_S3_PiS6_iiiii
	.globl	_ZN5aiter43moe_smooth_per_token_scaled_quant_kernel_v1ItaLi256ELi8ELb1ELb1ELi1024EEEvPT0_PfPT_S3_PiS6_iiiii
	.p2align	8
	.type	_ZN5aiter43moe_smooth_per_token_scaled_quant_kernel_v1ItaLi256ELi8ELb1ELb1ELi1024EEEvPT0_PfPT_S3_PiS6_iiiii,@function
_ZN5aiter43moe_smooth_per_token_scaled_quant_kernel_v1ItaLi256ELi8ELb1ELb1ELi1024EEEvPT0_PfPT_S3_PiS6_iiiii: ; @_ZN5aiter43moe_smooth_per_token_scaled_quant_kernel_v1ItaLi256ELi8ELb1ELb1ELi1024EEEvPT0_PfPT_S3_PiS6_iiiii
; %bb.0:
	s_load_dword s7, s[4:5], 0x40
	s_load_dwordx8 s[8:15], s[4:5], 0x20
	s_load_dwordx2 s[16:17], s[4:5], 0x10
	v_and_b32_e32 v1, 0x3c0, v0
	v_lshlrev_b32_e32 v1, 2, v1
	v_lshlrev_b32_e32 v2, 2, v0
	s_waitcnt lgkmcnt(0)
	s_mov_b32 s0, s10
	v_readfirstlane_b32 s10, v1
	v_add_u32_e32 v3, 0x400, v1
	s_lshl_b32 s2, s7, 2
	s_and_b32 s1, s11, 0xffff
	s_mov_b32 s3, 0x20000
	;;#ASMSTART
	s_mov_b32 m0 s10
	buffer_load_dword v2, s[0:3], 0 offen offset:0 lds
	
	;;#ASMEND
	v_readfirstlane_b32 s10, v3
	v_add_u32_e32 v3, 0x400, v2
	;;#ASMSTART
	s_mov_b32 m0 s10
	buffer_load_dword v3, s[0:3], 0 offen offset:0 lds
	
	;;#ASMEND
	v_add_u32_e32 v3, 0x800, v1
	v_readfirstlane_b32 s10, v3
	v_add_u32_e32 v3, 0x800, v2
	;;#ASMSTART
	s_mov_b32 m0 s10
	buffer_load_dword v3, s[0:3], 0 offen offset:0 lds
	
	;;#ASMEND
	v_add_u32_e32 v1, 0xc00, v1
	v_readfirstlane_b32 s10, v1
	v_add_u32_e32 v1, 0xc00, v2
	;;#ASMSTART
	s_mov_b32 m0 s10
	buffer_load_dword v1, s[0:3], 0 offen offset:0 lds
	
	;;#ASMEND
	s_mul_i32 s0, s6, s13
	s_ashr_i32 s1, s0, 31
	s_lshl_b64 s[0:1], s[0:1], 2
	s_add_u32 s0, s8, s0
	v_and_b32_e32 v1, 63, v0
	s_addc_u32 s1, s9, s1
	s_lshl_b32 s2, s13, 2
	s_and_b32 s1, s1, 0xffff
	v_lshlrev_b32_e32 v2, 2, v1
	buffer_load_dword v16, v2, s[0:3], 0 offen
	s_mul_hi_i32 s1, s15, s6
	s_mul_i32 s0, s15, s6
	s_lshl_b64 s[0:1], s[0:1], 1
	s_add_u32 s0, s16, s0
	s_addc_u32 s1, s17, s1
	s_lshl_b32 s2, s14, 1
	s_and_b32 s1, s1, 0xffff
	v_lshlrev_b32_e32 v2, 4, v0
	buffer_load_dwordx4 v[2:5], v2, s[0:3], 0 offen
	v_cmp_gt_i32_e32 vcc, s13, v1
	s_waitcnt vmcnt(1)
	s_barrier
	v_cmp_gt_i32_e64 s[2:3], s7, v16
	v_cmp_lt_i32_e64 s[0:1], -1, v16
	s_and_b64 s[2:3], vcc, s[2:3]
	s_and_b64 s[2:3], s[2:3], s[0:1]
	s_and_saveexec_b64 s[0:1], s[2:3]
	s_cbranch_execz .LBB187_2
; %bb.1:
	v_lshlrev_b32_e32 v6, 2, v16
	ds_read_b32 v16, v6
.LBB187_2:
	s_or_b64 exec, exec, s[0:1]
	s_cmp_lt_i32 s13, 1
	s_cbranch_scc1 .LBB187_13
; %bb.3:
	s_add_i32 s2, s14, 7
	s_load_dwordx4 s[8:11], s[4:5], 0x0
	s_load_dwordx2 s[24:25], s[4:5], 0x18
	s_ashr_i32 s3, s2, 31
	s_add_i32 s4, s14, 3
	s_waitcnt vmcnt(0)
	v_cvt_f32_u32_sdwa v7, v2 dst_sel:DWORD dst_unused:UNUSED_PAD src0_sel:WORD_1
	v_cvt_f32_u32_sdwa v6, v2 dst_sel:DWORD dst_unused:UNUSED_PAD src0_sel:WORD_0
	v_cvt_f32_u32_sdwa v9, v3 dst_sel:DWORD dst_unused:UNUSED_PAD src0_sel:WORD_1
	v_cvt_f32_u32_sdwa v8, v3 dst_sel:DWORD dst_unused:UNUSED_PAD src0_sel:WORD_0
	;; [unrolled: 2-line block ×4, first 2 shown]
	s_lshr_b32 s3, s3, 29
	s_ashr_i32 s5, s4, 31
	v_cmp_eq_u32_e32 vcc, 63, v1
	v_lshrrev_b32_e32 v1, 4, v0
	v_mov_b32_e32 v4, 0x1000
	s_add_i32 s2, s2, s3
	s_lshr_b32 s5, s5, 30
	v_and_or_b32 v19, v1, 60, v4
	v_and_b32_e32 v1, 3, v0
	s_ashr_i32 s2, s2, 3
	s_add_i32 s4, s4, s5
	v_lshlrev_b32_e32 v17, 3, v0
	s_lshl_b32 s18, s14, 2
	v_lshlrev_b32_e32 v18, 5, v0
	v_lshl_or_b32 v20, v1, 2, v4
	s_mov_b32 s15, 0
	v_cmp_eq_u32_e64 s[0:1], 0, v0
	v_cmp_gt_u32_e64 s[2:3], s2, v0
	s_and_b32 s22, s4, -4
	s_mov_b32 s19, 0x20000
	s_mov_b32 s26, 0x2edbe6ff
	v_mov_b32_e32 v21, 0
	s_branch .LBB187_6
.LBB187_4:                              ;   in Loop: Header=BB187_6 Depth=1
	s_or_b64 exec, exec, s[4:5]
.LBB187_5:                              ;   in Loop: Header=BB187_6 Depth=1
	s_add_i32 s15, s15, 1
	s_add_i32 s6, s6, s12
	s_cmp_eq_u32 s13, s15
	s_cbranch_scc1 .LBB187_13
.LBB187_6:                              ; =>This Inner Loop Header: Depth=1
	s_waitcnt lgkmcnt(0)
	v_readlane_b32 s4, v16, s15
	s_cmp_lt_i32 s4, 0
	s_cbranch_scc1 .LBB187_5
; %bb.7:                                ;   in Loop: Header=BB187_6 Depth=1
	s_mul_i32 s4, s4, s14
	s_ashr_i32 s5, s4, 31
	s_lshl_b64 s[4:5], s[4:5], 2
	s_add_u32 s16, s24, s4
	s_addc_u32 s4, s25, s5
	s_and_b32 s17, s4, 0xffff
	buffer_load_dwordx4 v[12:15], v18, s[16:19], 0 offen
	buffer_load_dwordx4 v[22:25], v18, s[16:19], 16 offen
	s_waitcnt vmcnt(1)
	v_pk_mul_f32 v[12:13], v[12:13], v[6:7]
	v_pk_mul_f32 v[14:15], v[14:15], v[8:9]
	s_waitcnt vmcnt(0)
	v_pk_mul_f32 v[0:1], v[22:23], v[2:3]
	v_max3_f32 v22, |v12|, s26, |v13|
	v_max3_f32 v22, v22, |v14|, |v15|
	v_pk_mul_f32 v[4:5], v[24:25], v[10:11]
	v_max3_f32 v22, v22, |v0|, |v1|
	v_max3_f32 v22, v22, |v4|, |v5|
	s_nop 1
	v_mov_b32_dpp v23, v22 quad_perm:[1,0,3,2] row_mask:0xf bank_mask:0xf
	v_cmp_gt_f32_e64 s[4:5], v22, v23
	v_cndmask_b32_e64 v22, v23, v22, s[4:5]
	s_nop 1
	v_mov_b32_dpp v23, v22 quad_perm:[2,3,0,1] row_mask:0xf bank_mask:0xf
	v_cmp_gt_f32_e64 s[4:5], v22, v23
	v_cndmask_b32_e64 v22, v23, v22, s[4:5]
	s_nop 1
	v_mov_b32_dpp v23, v22 row_half_mirror row_mask:0xf bank_mask:0xf
	v_cmp_gt_f32_e64 s[4:5], v22, v23
	v_cndmask_b32_e64 v22, v23, v22, s[4:5]
	s_nop 1
	v_mov_b32_dpp v23, v22 row_mirror row_mask:0xf bank_mask:0xf
	v_cmp_gt_f32_e64 s[4:5], v22, v23
	v_cndmask_b32_e64 v22, v23, v22, s[4:5]
	s_nop 1
	v_mov_b32_dpp v23, v22 row_bcast:15 row_mask:0xf bank_mask:0xf
	v_cmp_gt_f32_e64 s[4:5], v22, v23
	v_cndmask_b32_e64 v22, v23, v22, s[4:5]
	s_nop 1
	v_mov_b32_dpp v23, v22 row_bcast:31 row_mask:0xf bank_mask:0xf
	s_and_saveexec_b64 s[16:17], vcc
	s_cbranch_execz .LBB187_9
; %bb.8:                                ;   in Loop: Header=BB187_6 Depth=1
	v_cmp_gt_f32_e64 s[4:5], v22, v23
	v_cndmask_b32_e64 v22, v23, v22, s[4:5]
	ds_write_b32 v19, v22
.LBB187_9:                              ;   in Loop: Header=BB187_6 Depth=1
	s_or_b64 exec, exec, s[16:17]
	s_waitcnt lgkmcnt(0)
	s_barrier
	ds_read_b32 v22, v20
	s_waitcnt lgkmcnt(0)
	s_nop 0
	v_mov_b32_dpp v23, v22 quad_perm:[1,0,3,2] row_mask:0xf bank_mask:0xf
	v_cmp_gt_f32_e64 s[4:5], v22, v23
	v_cndmask_b32_e64 v22, v23, v22, s[4:5]
	s_nop 1
	v_mov_b32_dpp v23, v22 quad_perm:[2,3,0,1] row_mask:0xf bank_mask:0xf
	v_cmp_gt_f32_e64 s[4:5], v22, v23
	v_cndmask_b32_e64 v22, v23, v22, s[4:5]
	v_mul_f32_e32 v22, 0x3c010204, v22
	s_and_saveexec_b64 s[4:5], s[0:1]
	s_cbranch_execz .LBB187_11
; %bb.10:                               ;   in Loop: Header=BB187_6 Depth=1
	s_ashr_i32 s7, s6, 31
	s_lshl_b64 s[16:17], s[6:7], 2
	s_add_u32 s16, s10, s16
	s_addc_u32 s17, s11, s17
	global_store_dword v21, v22, s[16:17]
.LBB187_11:                             ;   in Loop: Header=BB187_6 Depth=1
	s_or_b64 exec, exec, s[4:5]
	s_and_saveexec_b64 s[4:5], s[2:3]
	s_cbranch_execz .LBB187_4
; %bb.12:                               ;   in Loop: Header=BB187_6 Depth=1
	v_rcp_f32_e32 v22, v22
	s_mul_i32 s16, s6, s14
	s_mul_hi_i32 s7, s6, s14
	s_add_u32 s20, s8, s16
	v_mov_b32_e32 v23, v22
	;;#ASMSTART
	v_pk_mul_f32 v[12:13], v[12:13], v[22:23]
	;;#ASMEND
	v_cvt_i32_f32_e32 v24, v12
	v_cvt_i32_f32_sdwa v25, v13 dst_sel:BYTE_1 dst_unused:UNUSED_PAD src0_sel:DWORD
	;;#ASMSTART
	v_pk_mul_f32 v[12:13], v[14:15], v[22:23]
	;;#ASMEND
	;;#ASMSTART
	v_pk_mul_f32 v[0:1], v[0:1], v[22:23]
	;;#ASMEND
	v_cvt_i32_f32_e32 v12, v12
	v_cvt_i32_f32_sdwa v13, v13 dst_sel:BYTE_1 dst_unused:UNUSED_PAD src0_sel:DWORD
	v_cvt_i32_f32_e32 v14, v0
	v_cvt_i32_f32_sdwa v15, v1 dst_sel:BYTE_1 dst_unused:UNUSED_PAD src0_sel:DWORD
	;;#ASMSTART
	v_pk_mul_f32 v[0:1], v[4:5], v[22:23]
	;;#ASMEND
	v_cvt_i32_f32_e32 v4, v0
	v_cvt_i32_f32_sdwa v1, v1 dst_sel:BYTE_1 dst_unused:UNUSED_PAD src0_sel:DWORD
	v_or_b32_sdwa v0, v24, v25 dst_sel:DWORD dst_unused:UNUSED_PAD src0_sel:BYTE_0 src1_sel:DWORD
	v_or_b32_sdwa v5, v12, v13 dst_sel:WORD_1 dst_unused:UNUSED_PAD src0_sel:BYTE_0 src1_sel:DWORD
	s_addc_u32 s7, s9, s7
	v_or_b32_sdwa v0, v0, v5 dst_sel:DWORD dst_unused:UNUSED_PAD src0_sel:WORD_0 src1_sel:DWORD
	v_or_b32_sdwa v5, v14, v15 dst_sel:DWORD dst_unused:UNUSED_PAD src0_sel:BYTE_0 src1_sel:DWORD
	v_or_b32_sdwa v1, v4, v1 dst_sel:WORD_1 dst_unused:UNUSED_PAD src0_sel:BYTE_0 src1_sel:DWORD
	s_and_b32 s21, s7, 0xffff
	s_mov_b32 s23, s19
	v_or_b32_sdwa v1, v5, v1 dst_sel:DWORD dst_unused:UNUSED_PAD src0_sel:WORD_0 src1_sel:DWORD
	buffer_store_dwordx2 v[0:1], v17, s[20:23], 0 offen
	;;#ASMSTART
	s_nop 0
	;;#ASMEND
	s_branch .LBB187_4
.LBB187_13:
	s_endpgm
	.section	.rodata,"a",@progbits
	.p2align	6, 0x0
	.amdhsa_kernel _ZN5aiter43moe_smooth_per_token_scaled_quant_kernel_v1ItaLi256ELi8ELb1ELb1ELi1024EEEvPT0_PfPT_S3_PiS6_iiiii
		.amdhsa_group_segment_fixed_size 4112
		.amdhsa_private_segment_fixed_size 0
		.amdhsa_kernarg_size 68
		.amdhsa_user_sgpr_count 6
		.amdhsa_user_sgpr_private_segment_buffer 1
		.amdhsa_user_sgpr_dispatch_ptr 0
		.amdhsa_user_sgpr_queue_ptr 0
		.amdhsa_user_sgpr_kernarg_segment_ptr 1
		.amdhsa_user_sgpr_dispatch_id 0
		.amdhsa_user_sgpr_flat_scratch_init 0
		.amdhsa_user_sgpr_kernarg_preload_length 0
		.amdhsa_user_sgpr_kernarg_preload_offset 0
		.amdhsa_user_sgpr_private_segment_size 0
		.amdhsa_uses_dynamic_stack 0
		.amdhsa_system_sgpr_private_segment_wavefront_offset 0
		.amdhsa_system_sgpr_workgroup_id_x 1
		.amdhsa_system_sgpr_workgroup_id_y 0
		.amdhsa_system_sgpr_workgroup_id_z 0
		.amdhsa_system_sgpr_workgroup_info 0
		.amdhsa_system_vgpr_workitem_id 0
		.amdhsa_next_free_vgpr 26
		.amdhsa_next_free_sgpr 27
		.amdhsa_accum_offset 28
		.amdhsa_reserve_vcc 1
		.amdhsa_reserve_flat_scratch 0
		.amdhsa_float_round_mode_32 0
		.amdhsa_float_round_mode_16_64 0
		.amdhsa_float_denorm_mode_32 3
		.amdhsa_float_denorm_mode_16_64 3
		.amdhsa_dx10_clamp 1
		.amdhsa_ieee_mode 1
		.amdhsa_fp16_overflow 0
		.amdhsa_tg_split 0
		.amdhsa_exception_fp_ieee_invalid_op 0
		.amdhsa_exception_fp_denorm_src 0
		.amdhsa_exception_fp_ieee_div_zero 0
		.amdhsa_exception_fp_ieee_overflow 0
		.amdhsa_exception_fp_ieee_underflow 0
		.amdhsa_exception_fp_ieee_inexact 0
		.amdhsa_exception_int_div_zero 0
	.end_amdhsa_kernel
	.section	.text._ZN5aiter43moe_smooth_per_token_scaled_quant_kernel_v1ItaLi256ELi8ELb1ELb1ELi1024EEEvPT0_PfPT_S3_PiS6_iiiii,"axG",@progbits,_ZN5aiter43moe_smooth_per_token_scaled_quant_kernel_v1ItaLi256ELi8ELb1ELb1ELi1024EEEvPT0_PfPT_S3_PiS6_iiiii,comdat
.Lfunc_end187:
	.size	_ZN5aiter43moe_smooth_per_token_scaled_quant_kernel_v1ItaLi256ELi8ELb1ELb1ELi1024EEEvPT0_PfPT_S3_PiS6_iiiii, .Lfunc_end187-_ZN5aiter43moe_smooth_per_token_scaled_quant_kernel_v1ItaLi256ELi8ELb1ELb1ELi1024EEEvPT0_PfPT_S3_PiS6_iiiii
                                        ; -- End function
	.section	.AMDGPU.csdata,"",@progbits
; Kernel info:
; codeLenInByte = 1232
; NumSgprs: 31
; NumVgprs: 26
; NumAgprs: 0
; TotalNumVgprs: 26
; ScratchSize: 0
; MemoryBound: 0
; FloatMode: 240
; IeeeMode: 1
; LDSByteSize: 4112 bytes/workgroup (compile time only)
; SGPRBlocks: 3
; VGPRBlocks: 3
; NumSGPRsForWavesPerEU: 31
; NumVGPRsForWavesPerEU: 26
; AccumOffset: 28
; Occupancy: 8
; WaveLimiterHint : 0
; COMPUTE_PGM_RSRC2:SCRATCH_EN: 0
; COMPUTE_PGM_RSRC2:USER_SGPR: 6
; COMPUTE_PGM_RSRC2:TRAP_HANDLER: 0
; COMPUTE_PGM_RSRC2:TGID_X_EN: 1
; COMPUTE_PGM_RSRC2:TGID_Y_EN: 0
; COMPUTE_PGM_RSRC2:TGID_Z_EN: 0
; COMPUTE_PGM_RSRC2:TIDIG_COMP_CNT: 0
; COMPUTE_PGM_RSRC3_GFX90A:ACCUM_OFFSET: 6
; COMPUTE_PGM_RSRC3_GFX90A:TG_SPLIT: 0
	.section	.text._ZN5aiter43moe_smooth_per_token_scaled_quant_kernel_v1IDF16_aLi256ELi8ELb1ELb0ELi1024EEEvPT0_PfPT_S3_PiS6_iiiii,"axG",@progbits,_ZN5aiter43moe_smooth_per_token_scaled_quant_kernel_v1IDF16_aLi256ELi8ELb1ELb0ELi1024EEEvPT0_PfPT_S3_PiS6_iiiii,comdat
	.protected	_ZN5aiter43moe_smooth_per_token_scaled_quant_kernel_v1IDF16_aLi256ELi8ELb1ELb0ELi1024EEEvPT0_PfPT_S3_PiS6_iiiii ; -- Begin function _ZN5aiter43moe_smooth_per_token_scaled_quant_kernel_v1IDF16_aLi256ELi8ELb1ELb0ELi1024EEEvPT0_PfPT_S3_PiS6_iiiii
	.globl	_ZN5aiter43moe_smooth_per_token_scaled_quant_kernel_v1IDF16_aLi256ELi8ELb1ELb0ELi1024EEEvPT0_PfPT_S3_PiS6_iiiii
	.p2align	8
	.type	_ZN5aiter43moe_smooth_per_token_scaled_quant_kernel_v1IDF16_aLi256ELi8ELb1ELb0ELi1024EEEvPT0_PfPT_S3_PiS6_iiiii,@function
_ZN5aiter43moe_smooth_per_token_scaled_quant_kernel_v1IDF16_aLi256ELi8ELb1ELb0ELi1024EEEvPT0_PfPT_S3_PiS6_iiiii: ; @_ZN5aiter43moe_smooth_per_token_scaled_quant_kernel_v1IDF16_aLi256ELi8ELb1ELb0ELi1024EEEvPT0_PfPT_S3_PiS6_iiiii
; %bb.0:
	s_load_dwordx4 s[8:11], s[4:5], 0x30
	s_load_dwordx2 s[0:1], s[4:5], 0x10
	s_load_dwordx2 s[2:3], s[4:5], 0x20
	v_and_b32_e32 v1, 63, v0
	s_mov_b32 s15, 0x20000
	s_waitcnt lgkmcnt(0)
	s_mul_i32 s12, s6, s9
	s_ashr_i32 s13, s12, 31
	s_lshl_b64 s[12:13], s[12:13], 2
	s_add_u32 s12, s2, s12
	s_addc_u32 s2, s3, s13
	s_and_b32 s13, s2, 0xffff
	s_mul_hi_i32 s3, s11, s6
	s_mul_i32 s2, s11, s6
	s_lshl_b32 s14, s9, 2
	v_lshlrev_b32_e32 v2, 2, v1
	s_lshl_b64 s[2:3], s[2:3], 1
	buffer_load_dword v16, v2, s[12:15], 0 offen
	s_add_u32 s12, s0, s2
	s_addc_u32 s0, s1, s3
	s_lshl_b32 s14, s10, 1
	s_and_b32 s13, s0, 0xffff
	v_lshlrev_b32_e32 v2, 4, v0
	buffer_load_dwordx4 v[2:5], v2, s[12:15], 0 offen
	s_mov_b32 s11, 0
	s_cmp_lt_i32 s9, 1
	s_waitcnt vmcnt(1)
	s_barrier
	s_cbranch_scc1 .LBB188_11
; %bb.1:
	s_add_i32 s2, s10, 7
	s_load_dwordx4 s[16:19], s[4:5], 0x0
	s_load_dwordx2 s[24:25], s[4:5], 0x18
	s_ashr_i32 s3, s2, 31
	s_add_i32 s4, s10, 3
	s_waitcnt vmcnt(0)
	v_cvt_f32_f16_sdwa v7, v2 dst_sel:DWORD dst_unused:UNUSED_PAD src0_sel:WORD_1
	v_cvt_f32_f16_e32 v6, v2
	v_cvt_f32_f16_sdwa v9, v3 dst_sel:DWORD dst_unused:UNUSED_PAD src0_sel:WORD_1
	v_cvt_f32_f16_e32 v8, v3
	;; [unrolled: 2-line block ×4, first 2 shown]
	s_lshr_b32 s3, s3, 29
	s_ashr_i32 s5, s4, 31
	v_cmp_eq_u32_e32 vcc, 63, v1
	v_lshrrev_b32_e32 v1, 4, v0
	s_add_i32 s2, s2, s3
	s_lshr_b32 s5, s5, 30
	v_and_b32_e32 v19, 60, v1
	v_and_b32_e32 v1, 3, v0
	s_ashr_i32 s2, s2, 3
	s_add_i32 s4, s4, s5
	v_lshlrev_b32_e32 v17, 3, v0
	s_lshl_b32 s14, s10, 2
	v_lshlrev_b32_e32 v18, 5, v0
	v_lshlrev_b32_e32 v20, 2, v1
	v_cmp_eq_u32_e64 s[0:1], 0, v0
	v_cmp_gt_u32_e64 s[2:3], s2, v0
	s_and_b32 s22, s4, -4
	s_mov_b32 s26, 0x2edbe6ff
	v_mov_b32_e32 v21, 0
	s_branch .LBB188_4
.LBB188_2:                              ;   in Loop: Header=BB188_4 Depth=1
	s_or_b64 exec, exec, s[4:5]
.LBB188_3:                              ;   in Loop: Header=BB188_4 Depth=1
	s_add_i32 s11, s11, 1
	s_add_i32 s6, s6, s8
	s_cmp_eq_u32 s9, s11
	s_cbranch_scc1 .LBB188_11
.LBB188_4:                              ; =>This Inner Loop Header: Depth=1
	v_readlane_b32 s4, v16, s11
	s_cmp_lt_i32 s4, 0
	s_cbranch_scc1 .LBB188_3
; %bb.5:                                ;   in Loop: Header=BB188_4 Depth=1
	s_mul_i32 s4, s4, s10
	s_ashr_i32 s5, s4, 31
	s_lshl_b64 s[4:5], s[4:5], 2
	s_waitcnt lgkmcnt(0)
	s_add_u32 s12, s24, s4
	s_addc_u32 s4, s25, s5
	s_and_b32 s13, s4, 0xffff
	buffer_load_dwordx4 v[12:15], v18, s[12:15], 0 offen
	buffer_load_dwordx4 v[22:25], v18, s[12:15], 16 offen
	s_waitcnt vmcnt(1)
	v_pk_mul_f32 v[12:13], v[12:13], v[6:7]
	v_pk_mul_f32 v[14:15], v[14:15], v[8:9]
	s_waitcnt vmcnt(0)
	v_pk_mul_f32 v[0:1], v[22:23], v[2:3]
	v_max3_f32 v22, |v12|, s26, |v13|
	v_max3_f32 v22, v22, |v14|, |v15|
	v_pk_mul_f32 v[4:5], v[24:25], v[10:11]
	v_max3_f32 v22, v22, |v0|, |v1|
	v_max3_f32 v22, v22, |v4|, |v5|
	s_nop 1
	v_mov_b32_dpp v23, v22 quad_perm:[1,0,3,2] row_mask:0xf bank_mask:0xf
	v_cmp_gt_f32_e64 s[4:5], v22, v23
	v_cndmask_b32_e64 v22, v23, v22, s[4:5]
	s_nop 1
	v_mov_b32_dpp v23, v22 quad_perm:[2,3,0,1] row_mask:0xf bank_mask:0xf
	v_cmp_gt_f32_e64 s[4:5], v22, v23
	v_cndmask_b32_e64 v22, v23, v22, s[4:5]
	s_nop 1
	v_mov_b32_dpp v23, v22 row_half_mirror row_mask:0xf bank_mask:0xf
	v_cmp_gt_f32_e64 s[4:5], v22, v23
	v_cndmask_b32_e64 v22, v23, v22, s[4:5]
	s_nop 1
	v_mov_b32_dpp v23, v22 row_mirror row_mask:0xf bank_mask:0xf
	v_cmp_gt_f32_e64 s[4:5], v22, v23
	v_cndmask_b32_e64 v22, v23, v22, s[4:5]
	s_nop 1
	v_mov_b32_dpp v23, v22 row_bcast:15 row_mask:0xf bank_mask:0xf
	v_cmp_gt_f32_e64 s[4:5], v22, v23
	v_cndmask_b32_e64 v22, v23, v22, s[4:5]
	s_nop 1
	v_mov_b32_dpp v23, v22 row_bcast:31 row_mask:0xf bank_mask:0xf
	s_and_saveexec_b64 s[12:13], vcc
	s_cbranch_execz .LBB188_7
; %bb.6:                                ;   in Loop: Header=BB188_4 Depth=1
	v_cmp_gt_f32_e64 s[4:5], v22, v23
	v_cndmask_b32_e64 v22, v23, v22, s[4:5]
	ds_write_b32 v19, v22
.LBB188_7:                              ;   in Loop: Header=BB188_4 Depth=1
	s_or_b64 exec, exec, s[12:13]
	s_waitcnt lgkmcnt(0)
	s_barrier
	ds_read_b32 v22, v20
	s_waitcnt lgkmcnt(0)
	s_nop 0
	v_mov_b32_dpp v23, v22 quad_perm:[1,0,3,2] row_mask:0xf bank_mask:0xf
	v_cmp_gt_f32_e64 s[4:5], v22, v23
	v_cndmask_b32_e64 v22, v23, v22, s[4:5]
	s_nop 1
	v_mov_b32_dpp v23, v22 quad_perm:[2,3,0,1] row_mask:0xf bank_mask:0xf
	v_cmp_gt_f32_e64 s[4:5], v22, v23
	v_cndmask_b32_e64 v22, v23, v22, s[4:5]
	v_mul_f32_e32 v22, 0x3c010204, v22
	s_and_saveexec_b64 s[4:5], s[0:1]
	s_cbranch_execz .LBB188_9
; %bb.8:                                ;   in Loop: Header=BB188_4 Depth=1
	s_ashr_i32 s7, s6, 31
	s_lshl_b64 s[12:13], s[6:7], 2
	s_add_u32 s12, s18, s12
	s_addc_u32 s13, s19, s13
	global_store_dword v21, v22, s[12:13]
.LBB188_9:                              ;   in Loop: Header=BB188_4 Depth=1
	s_or_b64 exec, exec, s[4:5]
	s_and_saveexec_b64 s[4:5], s[2:3]
	s_cbranch_execz .LBB188_2
; %bb.10:                               ;   in Loop: Header=BB188_4 Depth=1
	v_rcp_f32_e32 v22, v22
	s_mul_i32 s12, s6, s10
	s_mul_hi_i32 s7, s6, s10
	s_add_u32 s20, s16, s12
	v_mov_b32_e32 v23, v22
	;;#ASMSTART
	v_pk_mul_f32 v[12:13], v[12:13], v[22:23]
	;;#ASMEND
	v_cvt_i32_f32_e32 v24, v12
	v_cvt_i32_f32_sdwa v25, v13 dst_sel:BYTE_1 dst_unused:UNUSED_PAD src0_sel:DWORD
	;;#ASMSTART
	v_pk_mul_f32 v[12:13], v[14:15], v[22:23]
	;;#ASMEND
	;;#ASMSTART
	v_pk_mul_f32 v[0:1], v[0:1], v[22:23]
	;;#ASMEND
	v_cvt_i32_f32_e32 v12, v12
	v_cvt_i32_f32_sdwa v13, v13 dst_sel:BYTE_1 dst_unused:UNUSED_PAD src0_sel:DWORD
	v_cvt_i32_f32_e32 v14, v0
	v_cvt_i32_f32_sdwa v15, v1 dst_sel:BYTE_1 dst_unused:UNUSED_PAD src0_sel:DWORD
	;;#ASMSTART
	v_pk_mul_f32 v[0:1], v[4:5], v[22:23]
	;;#ASMEND
	v_cvt_i32_f32_e32 v4, v0
	v_cvt_i32_f32_sdwa v1, v1 dst_sel:BYTE_1 dst_unused:UNUSED_PAD src0_sel:DWORD
	v_or_b32_sdwa v0, v24, v25 dst_sel:DWORD dst_unused:UNUSED_PAD src0_sel:BYTE_0 src1_sel:DWORD
	v_or_b32_sdwa v5, v12, v13 dst_sel:WORD_1 dst_unused:UNUSED_PAD src0_sel:BYTE_0 src1_sel:DWORD
	s_addc_u32 s7, s17, s7
	v_or_b32_sdwa v0, v0, v5 dst_sel:DWORD dst_unused:UNUSED_PAD src0_sel:WORD_0 src1_sel:DWORD
	v_or_b32_sdwa v5, v14, v15 dst_sel:DWORD dst_unused:UNUSED_PAD src0_sel:BYTE_0 src1_sel:DWORD
	v_or_b32_sdwa v1, v4, v1 dst_sel:WORD_1 dst_unused:UNUSED_PAD src0_sel:BYTE_0 src1_sel:DWORD
	s_and_b32 s21, s7, 0xffff
	s_mov_b32 s23, s15
	v_or_b32_sdwa v1, v5, v1 dst_sel:DWORD dst_unused:UNUSED_PAD src0_sel:WORD_0 src1_sel:DWORD
	buffer_store_dwordx2 v[0:1], v17, s[20:23], 0 offen
	;;#ASMSTART
	s_nop 0
	;;#ASMEND
	s_branch .LBB188_2
.LBB188_11:
	s_endpgm
	.section	.rodata,"a",@progbits
	.p2align	6, 0x0
	.amdhsa_kernel _ZN5aiter43moe_smooth_per_token_scaled_quant_kernel_v1IDF16_aLi256ELi8ELb1ELb0ELi1024EEEvPT0_PfPT_S3_PiS6_iiiii
		.amdhsa_group_segment_fixed_size 16
		.amdhsa_private_segment_fixed_size 0
		.amdhsa_kernarg_size 68
		.amdhsa_user_sgpr_count 6
		.amdhsa_user_sgpr_private_segment_buffer 1
		.amdhsa_user_sgpr_dispatch_ptr 0
		.amdhsa_user_sgpr_queue_ptr 0
		.amdhsa_user_sgpr_kernarg_segment_ptr 1
		.amdhsa_user_sgpr_dispatch_id 0
		.amdhsa_user_sgpr_flat_scratch_init 0
		.amdhsa_user_sgpr_kernarg_preload_length 0
		.amdhsa_user_sgpr_kernarg_preload_offset 0
		.amdhsa_user_sgpr_private_segment_size 0
		.amdhsa_uses_dynamic_stack 0
		.amdhsa_system_sgpr_private_segment_wavefront_offset 0
		.amdhsa_system_sgpr_workgroup_id_x 1
		.amdhsa_system_sgpr_workgroup_id_y 0
		.amdhsa_system_sgpr_workgroup_id_z 0
		.amdhsa_system_sgpr_workgroup_info 0
		.amdhsa_system_vgpr_workitem_id 0
		.amdhsa_next_free_vgpr 26
		.amdhsa_next_free_sgpr 27
		.amdhsa_accum_offset 28
		.amdhsa_reserve_vcc 1
		.amdhsa_reserve_flat_scratch 0
		.amdhsa_float_round_mode_32 0
		.amdhsa_float_round_mode_16_64 0
		.amdhsa_float_denorm_mode_32 3
		.amdhsa_float_denorm_mode_16_64 3
		.amdhsa_dx10_clamp 1
		.amdhsa_ieee_mode 1
		.amdhsa_fp16_overflow 0
		.amdhsa_tg_split 0
		.amdhsa_exception_fp_ieee_invalid_op 0
		.amdhsa_exception_fp_denorm_src 0
		.amdhsa_exception_fp_ieee_div_zero 0
		.amdhsa_exception_fp_ieee_overflow 0
		.amdhsa_exception_fp_ieee_underflow 0
		.amdhsa_exception_fp_ieee_inexact 0
		.amdhsa_exception_int_div_zero 0
	.end_amdhsa_kernel
	.section	.text._ZN5aiter43moe_smooth_per_token_scaled_quant_kernel_v1IDF16_aLi256ELi8ELb1ELb0ELi1024EEEvPT0_PfPT_S3_PiS6_iiiii,"axG",@progbits,_ZN5aiter43moe_smooth_per_token_scaled_quant_kernel_v1IDF16_aLi256ELi8ELb1ELb0ELi1024EEEvPT0_PfPT_S3_PiS6_iiiii,comdat
.Lfunc_end188:
	.size	_ZN5aiter43moe_smooth_per_token_scaled_quant_kernel_v1IDF16_aLi256ELi8ELb1ELb0ELi1024EEEvPT0_PfPT_S3_PiS6_iiiii, .Lfunc_end188-_ZN5aiter43moe_smooth_per_token_scaled_quant_kernel_v1IDF16_aLi256ELi8ELb1ELb0ELi1024EEEvPT0_PfPT_S3_PiS6_iiiii
                                        ; -- End function
	.section	.AMDGPU.csdata,"",@progbits
; Kernel info:
; codeLenInByte = 980
; NumSgprs: 31
; NumVgprs: 26
; NumAgprs: 0
; TotalNumVgprs: 26
; ScratchSize: 0
; MemoryBound: 0
; FloatMode: 240
; IeeeMode: 1
; LDSByteSize: 16 bytes/workgroup (compile time only)
; SGPRBlocks: 3
; VGPRBlocks: 3
; NumSGPRsForWavesPerEU: 31
; NumVGPRsForWavesPerEU: 26
; AccumOffset: 28
; Occupancy: 8
; WaveLimiterHint : 0
; COMPUTE_PGM_RSRC2:SCRATCH_EN: 0
; COMPUTE_PGM_RSRC2:USER_SGPR: 6
; COMPUTE_PGM_RSRC2:TRAP_HANDLER: 0
; COMPUTE_PGM_RSRC2:TGID_X_EN: 1
; COMPUTE_PGM_RSRC2:TGID_Y_EN: 0
; COMPUTE_PGM_RSRC2:TGID_Z_EN: 0
; COMPUTE_PGM_RSRC2:TIDIG_COMP_CNT: 0
; COMPUTE_PGM_RSRC3_GFX90A:ACCUM_OFFSET: 6
; COMPUTE_PGM_RSRC3_GFX90A:TG_SPLIT: 0
	.section	.text._ZN5aiter43moe_smooth_per_token_scaled_quant_kernel_v1ItaLi256ELi8ELb1ELb0ELi1024EEEvPT0_PfPT_S3_PiS6_iiiii,"axG",@progbits,_ZN5aiter43moe_smooth_per_token_scaled_quant_kernel_v1ItaLi256ELi8ELb1ELb0ELi1024EEEvPT0_PfPT_S3_PiS6_iiiii,comdat
	.protected	_ZN5aiter43moe_smooth_per_token_scaled_quant_kernel_v1ItaLi256ELi8ELb1ELb0ELi1024EEEvPT0_PfPT_S3_PiS6_iiiii ; -- Begin function _ZN5aiter43moe_smooth_per_token_scaled_quant_kernel_v1ItaLi256ELi8ELb1ELb0ELi1024EEEvPT0_PfPT_S3_PiS6_iiiii
	.globl	_ZN5aiter43moe_smooth_per_token_scaled_quant_kernel_v1ItaLi256ELi8ELb1ELb0ELi1024EEEvPT0_PfPT_S3_PiS6_iiiii
	.p2align	8
	.type	_ZN5aiter43moe_smooth_per_token_scaled_quant_kernel_v1ItaLi256ELi8ELb1ELb0ELi1024EEEvPT0_PfPT_S3_PiS6_iiiii,@function
_ZN5aiter43moe_smooth_per_token_scaled_quant_kernel_v1ItaLi256ELi8ELb1ELb0ELi1024EEEvPT0_PfPT_S3_PiS6_iiiii: ; @_ZN5aiter43moe_smooth_per_token_scaled_quant_kernel_v1ItaLi256ELi8ELb1ELb0ELi1024EEEvPT0_PfPT_S3_PiS6_iiiii
; %bb.0:
	s_load_dwordx4 s[8:11], s[4:5], 0x30
	s_load_dwordx2 s[0:1], s[4:5], 0x10
	s_load_dwordx2 s[2:3], s[4:5], 0x20
	v_and_b32_e32 v1, 63, v0
	s_mov_b32 s15, 0x20000
	s_waitcnt lgkmcnt(0)
	s_mul_i32 s12, s6, s9
	s_ashr_i32 s13, s12, 31
	s_lshl_b64 s[12:13], s[12:13], 2
	s_add_u32 s12, s2, s12
	s_addc_u32 s2, s3, s13
	s_and_b32 s13, s2, 0xffff
	s_mul_hi_i32 s3, s11, s6
	s_mul_i32 s2, s11, s6
	s_lshl_b32 s14, s9, 2
	v_lshlrev_b32_e32 v2, 2, v1
	s_lshl_b64 s[2:3], s[2:3], 1
	buffer_load_dword v16, v2, s[12:15], 0 offen
	s_add_u32 s12, s0, s2
	s_addc_u32 s0, s1, s3
	s_lshl_b32 s14, s10, 1
	s_and_b32 s13, s0, 0xffff
	v_lshlrev_b32_e32 v2, 4, v0
	buffer_load_dwordx4 v[2:5], v2, s[12:15], 0 offen
	s_mov_b32 s11, 0
	s_cmp_lt_i32 s9, 1
	s_waitcnt vmcnt(1)
	s_barrier
	s_cbranch_scc1 .LBB189_11
; %bb.1:
	s_add_i32 s2, s10, 7
	s_load_dwordx4 s[16:19], s[4:5], 0x0
	s_load_dwordx2 s[24:25], s[4:5], 0x18
	s_ashr_i32 s3, s2, 31
	s_add_i32 s4, s10, 3
	s_waitcnt vmcnt(0)
	v_cvt_f32_u32_sdwa v7, v2 dst_sel:DWORD dst_unused:UNUSED_PAD src0_sel:WORD_1
	v_cvt_f32_u32_sdwa v6, v2 dst_sel:DWORD dst_unused:UNUSED_PAD src0_sel:WORD_0
	v_cvt_f32_u32_sdwa v9, v3 dst_sel:DWORD dst_unused:UNUSED_PAD src0_sel:WORD_1
	v_cvt_f32_u32_sdwa v8, v3 dst_sel:DWORD dst_unused:UNUSED_PAD src0_sel:WORD_0
	;; [unrolled: 2-line block ×4, first 2 shown]
	s_lshr_b32 s3, s3, 29
	s_ashr_i32 s5, s4, 31
	v_cmp_eq_u32_e32 vcc, 63, v1
	v_lshrrev_b32_e32 v1, 4, v0
	s_add_i32 s2, s2, s3
	s_lshr_b32 s5, s5, 30
	v_and_b32_e32 v19, 60, v1
	v_and_b32_e32 v1, 3, v0
	s_ashr_i32 s2, s2, 3
	s_add_i32 s4, s4, s5
	v_lshlrev_b32_e32 v17, 3, v0
	s_lshl_b32 s14, s10, 2
	v_lshlrev_b32_e32 v18, 5, v0
	v_lshlrev_b32_e32 v20, 2, v1
	v_cmp_eq_u32_e64 s[0:1], 0, v0
	v_cmp_gt_u32_e64 s[2:3], s2, v0
	s_and_b32 s22, s4, -4
	s_mov_b32 s26, 0x2edbe6ff
	v_mov_b32_e32 v21, 0
	s_branch .LBB189_4
.LBB189_2:                              ;   in Loop: Header=BB189_4 Depth=1
	s_or_b64 exec, exec, s[4:5]
.LBB189_3:                              ;   in Loop: Header=BB189_4 Depth=1
	s_add_i32 s11, s11, 1
	s_add_i32 s6, s6, s8
	s_cmp_eq_u32 s9, s11
	s_cbranch_scc1 .LBB189_11
.LBB189_4:                              ; =>This Inner Loop Header: Depth=1
	v_readlane_b32 s4, v16, s11
	s_cmp_lt_i32 s4, 0
	s_cbranch_scc1 .LBB189_3
; %bb.5:                                ;   in Loop: Header=BB189_4 Depth=1
	s_mul_i32 s4, s4, s10
	s_ashr_i32 s5, s4, 31
	s_lshl_b64 s[4:5], s[4:5], 2
	s_waitcnt lgkmcnt(0)
	s_add_u32 s12, s24, s4
	s_addc_u32 s4, s25, s5
	s_and_b32 s13, s4, 0xffff
	buffer_load_dwordx4 v[12:15], v18, s[12:15], 0 offen
	buffer_load_dwordx4 v[22:25], v18, s[12:15], 16 offen
	s_waitcnt vmcnt(1)
	v_pk_mul_f32 v[12:13], v[12:13], v[6:7]
	v_pk_mul_f32 v[14:15], v[14:15], v[8:9]
	s_waitcnt vmcnt(0)
	v_pk_mul_f32 v[0:1], v[22:23], v[2:3]
	v_max3_f32 v22, |v12|, s26, |v13|
	v_max3_f32 v22, v22, |v14|, |v15|
	v_pk_mul_f32 v[4:5], v[24:25], v[10:11]
	v_max3_f32 v22, v22, |v0|, |v1|
	v_max3_f32 v22, v22, |v4|, |v5|
	s_nop 1
	v_mov_b32_dpp v23, v22 quad_perm:[1,0,3,2] row_mask:0xf bank_mask:0xf
	v_cmp_gt_f32_e64 s[4:5], v22, v23
	v_cndmask_b32_e64 v22, v23, v22, s[4:5]
	s_nop 1
	v_mov_b32_dpp v23, v22 quad_perm:[2,3,0,1] row_mask:0xf bank_mask:0xf
	v_cmp_gt_f32_e64 s[4:5], v22, v23
	v_cndmask_b32_e64 v22, v23, v22, s[4:5]
	s_nop 1
	v_mov_b32_dpp v23, v22 row_half_mirror row_mask:0xf bank_mask:0xf
	v_cmp_gt_f32_e64 s[4:5], v22, v23
	v_cndmask_b32_e64 v22, v23, v22, s[4:5]
	s_nop 1
	v_mov_b32_dpp v23, v22 row_mirror row_mask:0xf bank_mask:0xf
	v_cmp_gt_f32_e64 s[4:5], v22, v23
	v_cndmask_b32_e64 v22, v23, v22, s[4:5]
	s_nop 1
	v_mov_b32_dpp v23, v22 row_bcast:15 row_mask:0xf bank_mask:0xf
	v_cmp_gt_f32_e64 s[4:5], v22, v23
	v_cndmask_b32_e64 v22, v23, v22, s[4:5]
	s_nop 1
	v_mov_b32_dpp v23, v22 row_bcast:31 row_mask:0xf bank_mask:0xf
	s_and_saveexec_b64 s[12:13], vcc
	s_cbranch_execz .LBB189_7
; %bb.6:                                ;   in Loop: Header=BB189_4 Depth=1
	v_cmp_gt_f32_e64 s[4:5], v22, v23
	v_cndmask_b32_e64 v22, v23, v22, s[4:5]
	ds_write_b32 v19, v22
.LBB189_7:                              ;   in Loop: Header=BB189_4 Depth=1
	s_or_b64 exec, exec, s[12:13]
	s_waitcnt lgkmcnt(0)
	s_barrier
	ds_read_b32 v22, v20
	s_waitcnt lgkmcnt(0)
	s_nop 0
	v_mov_b32_dpp v23, v22 quad_perm:[1,0,3,2] row_mask:0xf bank_mask:0xf
	v_cmp_gt_f32_e64 s[4:5], v22, v23
	v_cndmask_b32_e64 v22, v23, v22, s[4:5]
	s_nop 1
	v_mov_b32_dpp v23, v22 quad_perm:[2,3,0,1] row_mask:0xf bank_mask:0xf
	v_cmp_gt_f32_e64 s[4:5], v22, v23
	v_cndmask_b32_e64 v22, v23, v22, s[4:5]
	v_mul_f32_e32 v22, 0x3c010204, v22
	s_and_saveexec_b64 s[4:5], s[0:1]
	s_cbranch_execz .LBB189_9
; %bb.8:                                ;   in Loop: Header=BB189_4 Depth=1
	s_ashr_i32 s7, s6, 31
	s_lshl_b64 s[12:13], s[6:7], 2
	s_add_u32 s12, s18, s12
	s_addc_u32 s13, s19, s13
	global_store_dword v21, v22, s[12:13]
.LBB189_9:                              ;   in Loop: Header=BB189_4 Depth=1
	s_or_b64 exec, exec, s[4:5]
	s_and_saveexec_b64 s[4:5], s[2:3]
	s_cbranch_execz .LBB189_2
; %bb.10:                               ;   in Loop: Header=BB189_4 Depth=1
	v_rcp_f32_e32 v22, v22
	s_mul_i32 s12, s6, s10
	s_mul_hi_i32 s7, s6, s10
	s_add_u32 s20, s16, s12
	v_mov_b32_e32 v23, v22
	;;#ASMSTART
	v_pk_mul_f32 v[12:13], v[12:13], v[22:23]
	;;#ASMEND
	v_cvt_i32_f32_e32 v24, v12
	v_cvt_i32_f32_sdwa v25, v13 dst_sel:BYTE_1 dst_unused:UNUSED_PAD src0_sel:DWORD
	;;#ASMSTART
	v_pk_mul_f32 v[12:13], v[14:15], v[22:23]
	;;#ASMEND
	;;#ASMSTART
	v_pk_mul_f32 v[0:1], v[0:1], v[22:23]
	;;#ASMEND
	v_cvt_i32_f32_e32 v12, v12
	v_cvt_i32_f32_sdwa v13, v13 dst_sel:BYTE_1 dst_unused:UNUSED_PAD src0_sel:DWORD
	v_cvt_i32_f32_e32 v14, v0
	v_cvt_i32_f32_sdwa v15, v1 dst_sel:BYTE_1 dst_unused:UNUSED_PAD src0_sel:DWORD
	;;#ASMSTART
	v_pk_mul_f32 v[0:1], v[4:5], v[22:23]
	;;#ASMEND
	v_cvt_i32_f32_e32 v4, v0
	v_cvt_i32_f32_sdwa v1, v1 dst_sel:BYTE_1 dst_unused:UNUSED_PAD src0_sel:DWORD
	v_or_b32_sdwa v0, v24, v25 dst_sel:DWORD dst_unused:UNUSED_PAD src0_sel:BYTE_0 src1_sel:DWORD
	v_or_b32_sdwa v5, v12, v13 dst_sel:WORD_1 dst_unused:UNUSED_PAD src0_sel:BYTE_0 src1_sel:DWORD
	s_addc_u32 s7, s17, s7
	v_or_b32_sdwa v0, v0, v5 dst_sel:DWORD dst_unused:UNUSED_PAD src0_sel:WORD_0 src1_sel:DWORD
	v_or_b32_sdwa v5, v14, v15 dst_sel:DWORD dst_unused:UNUSED_PAD src0_sel:BYTE_0 src1_sel:DWORD
	v_or_b32_sdwa v1, v4, v1 dst_sel:WORD_1 dst_unused:UNUSED_PAD src0_sel:BYTE_0 src1_sel:DWORD
	s_and_b32 s21, s7, 0xffff
	s_mov_b32 s23, s15
	v_or_b32_sdwa v1, v5, v1 dst_sel:DWORD dst_unused:UNUSED_PAD src0_sel:WORD_0 src1_sel:DWORD
	buffer_store_dwordx2 v[0:1], v17, s[20:23], 0 offen
	;;#ASMSTART
	s_nop 0
	;;#ASMEND
	s_branch .LBB189_2
.LBB189_11:
	s_endpgm
	.section	.rodata,"a",@progbits
	.p2align	6, 0x0
	.amdhsa_kernel _ZN5aiter43moe_smooth_per_token_scaled_quant_kernel_v1ItaLi256ELi8ELb1ELb0ELi1024EEEvPT0_PfPT_S3_PiS6_iiiii
		.amdhsa_group_segment_fixed_size 16
		.amdhsa_private_segment_fixed_size 0
		.amdhsa_kernarg_size 68
		.amdhsa_user_sgpr_count 6
		.amdhsa_user_sgpr_private_segment_buffer 1
		.amdhsa_user_sgpr_dispatch_ptr 0
		.amdhsa_user_sgpr_queue_ptr 0
		.amdhsa_user_sgpr_kernarg_segment_ptr 1
		.amdhsa_user_sgpr_dispatch_id 0
		.amdhsa_user_sgpr_flat_scratch_init 0
		.amdhsa_user_sgpr_kernarg_preload_length 0
		.amdhsa_user_sgpr_kernarg_preload_offset 0
		.amdhsa_user_sgpr_private_segment_size 0
		.amdhsa_uses_dynamic_stack 0
		.amdhsa_system_sgpr_private_segment_wavefront_offset 0
		.amdhsa_system_sgpr_workgroup_id_x 1
		.amdhsa_system_sgpr_workgroup_id_y 0
		.amdhsa_system_sgpr_workgroup_id_z 0
		.amdhsa_system_sgpr_workgroup_info 0
		.amdhsa_system_vgpr_workitem_id 0
		.amdhsa_next_free_vgpr 26
		.amdhsa_next_free_sgpr 27
		.amdhsa_accum_offset 28
		.amdhsa_reserve_vcc 1
		.amdhsa_reserve_flat_scratch 0
		.amdhsa_float_round_mode_32 0
		.amdhsa_float_round_mode_16_64 0
		.amdhsa_float_denorm_mode_32 3
		.amdhsa_float_denorm_mode_16_64 3
		.amdhsa_dx10_clamp 1
		.amdhsa_ieee_mode 1
		.amdhsa_fp16_overflow 0
		.amdhsa_tg_split 0
		.amdhsa_exception_fp_ieee_invalid_op 0
		.amdhsa_exception_fp_denorm_src 0
		.amdhsa_exception_fp_ieee_div_zero 0
		.amdhsa_exception_fp_ieee_overflow 0
		.amdhsa_exception_fp_ieee_underflow 0
		.amdhsa_exception_fp_ieee_inexact 0
		.amdhsa_exception_int_div_zero 0
	.end_amdhsa_kernel
	.section	.text._ZN5aiter43moe_smooth_per_token_scaled_quant_kernel_v1ItaLi256ELi8ELb1ELb0ELi1024EEEvPT0_PfPT_S3_PiS6_iiiii,"axG",@progbits,_ZN5aiter43moe_smooth_per_token_scaled_quant_kernel_v1ItaLi256ELi8ELb1ELb0ELi1024EEEvPT0_PfPT_S3_PiS6_iiiii,comdat
.Lfunc_end189:
	.size	_ZN5aiter43moe_smooth_per_token_scaled_quant_kernel_v1ItaLi256ELi8ELb1ELb0ELi1024EEEvPT0_PfPT_S3_PiS6_iiiii, .Lfunc_end189-_ZN5aiter43moe_smooth_per_token_scaled_quant_kernel_v1ItaLi256ELi8ELb1ELb0ELi1024EEEvPT0_PfPT_S3_PiS6_iiiii
                                        ; -- End function
	.section	.AMDGPU.csdata,"",@progbits
; Kernel info:
; codeLenInByte = 996
; NumSgprs: 31
; NumVgprs: 26
; NumAgprs: 0
; TotalNumVgprs: 26
; ScratchSize: 0
; MemoryBound: 0
; FloatMode: 240
; IeeeMode: 1
; LDSByteSize: 16 bytes/workgroup (compile time only)
; SGPRBlocks: 3
; VGPRBlocks: 3
; NumSGPRsForWavesPerEU: 31
; NumVGPRsForWavesPerEU: 26
; AccumOffset: 28
; Occupancy: 8
; WaveLimiterHint : 0
; COMPUTE_PGM_RSRC2:SCRATCH_EN: 0
; COMPUTE_PGM_RSRC2:USER_SGPR: 6
; COMPUTE_PGM_RSRC2:TRAP_HANDLER: 0
; COMPUTE_PGM_RSRC2:TGID_X_EN: 1
; COMPUTE_PGM_RSRC2:TGID_Y_EN: 0
; COMPUTE_PGM_RSRC2:TGID_Z_EN: 0
; COMPUTE_PGM_RSRC2:TIDIG_COMP_CNT: 0
; COMPUTE_PGM_RSRC3_GFX90A:ACCUM_OFFSET: 6
; COMPUTE_PGM_RSRC3_GFX90A:TG_SPLIT: 0
	.section	.text._ZN5aiter43moe_smooth_per_token_scaled_quant_kernel_v1IDF16_aLi256ELi8ELb0ELb1ELi1024EEEvPT0_PfPT_S3_PiS6_iiiii,"axG",@progbits,_ZN5aiter43moe_smooth_per_token_scaled_quant_kernel_v1IDF16_aLi256ELi8ELb0ELb1ELi1024EEEvPT0_PfPT_S3_PiS6_iiiii,comdat
	.protected	_ZN5aiter43moe_smooth_per_token_scaled_quant_kernel_v1IDF16_aLi256ELi8ELb0ELb1ELi1024EEEvPT0_PfPT_S3_PiS6_iiiii ; -- Begin function _ZN5aiter43moe_smooth_per_token_scaled_quant_kernel_v1IDF16_aLi256ELi8ELb0ELb1ELi1024EEEvPT0_PfPT_S3_PiS6_iiiii
	.globl	_ZN5aiter43moe_smooth_per_token_scaled_quant_kernel_v1IDF16_aLi256ELi8ELb0ELb1ELi1024EEEvPT0_PfPT_S3_PiS6_iiiii
	.p2align	8
	.type	_ZN5aiter43moe_smooth_per_token_scaled_quant_kernel_v1IDF16_aLi256ELi8ELb0ELb1ELi1024EEEvPT0_PfPT_S3_PiS6_iiiii,@function
_ZN5aiter43moe_smooth_per_token_scaled_quant_kernel_v1IDF16_aLi256ELi8ELb0ELb1ELi1024EEEvPT0_PfPT_S3_PiS6_iiiii: ; @_ZN5aiter43moe_smooth_per_token_scaled_quant_kernel_v1IDF16_aLi256ELi8ELb0ELb1ELi1024EEEvPT0_PfPT_S3_PiS6_iiiii
; %bb.0:
	s_load_dwordx4 s[8:11], s[4:5], 0x34
	s_load_dwordx4 s[12:15], s[4:5], 0x20
	s_load_dwordx2 s[16:17], s[4:5], 0x10
	v_and_b32_e32 v1, 0x3c0, v0
	v_lshlrev_b32_e32 v1, 2, v1
	v_lshlrev_b32_e32 v2, 2, v0
	v_readfirstlane_b32 s7, v1
	v_add_u32_e32 v3, 0x400, v1
	s_waitcnt lgkmcnt(0)
	s_lshl_b32 s2, s11, 2
	s_and_b32 s1, s15, 0xffff
	s_mov_b32 s3, 0x20000
	s_mov_b32 s0, s14
	;;#ASMSTART
	s_mov_b32 m0 s7
	buffer_load_dword v2, s[0:3], 0 offen offset:0 lds
	
	;;#ASMEND
	v_readfirstlane_b32 s7, v3
	v_add_u32_e32 v3, 0x400, v2
	;;#ASMSTART
	s_mov_b32 m0 s7
	buffer_load_dword v3, s[0:3], 0 offen offset:0 lds
	
	;;#ASMEND
	v_add_u32_e32 v3, 0x800, v1
	s_mul_i32 s20, s6, s8
	v_readfirstlane_b32 s7, v3
	v_add_u32_e32 v3, 0x800, v2
	;;#ASMSTART
	s_mov_b32 m0 s7
	buffer_load_dword v3, s[0:3], 0 offen offset:0 lds
	
	;;#ASMEND
	v_add_u32_e32 v1, 0xc00, v1
	s_ashr_i32 s21, s20, 31
	v_readfirstlane_b32 s7, v1
	v_add_u32_e32 v1, 0xc00, v2
	;;#ASMSTART
	s_mov_b32 m0 s7
	buffer_load_dword v1, s[0:3], 0 offen offset:0 lds
	
	;;#ASMEND
	s_lshl_b64 s[0:1], s[20:21], 2
	s_add_u32 s0, s12, s0
	v_and_b32_e32 v1, 63, v0
	s_addc_u32 s1, s13, s1
	s_lshl_b32 s2, s8, 2
	s_and_b32 s1, s1, 0xffff
	v_lshlrev_b32_e32 v2, 2, v1
	buffer_load_dword v16, v2, s[0:3], 0 offen
	s_mul_hi_i32 s1, s10, s6
	s_mul_i32 s0, s10, s6
	s_lshl_b64 s[0:1], s[0:1], 1
	s_add_u32 s0, s16, s0
	s_addc_u32 s1, s17, s1
	s_lshl_b32 s2, s9, 1
	s_and_b32 s1, s1, 0xffff
	v_lshlrev_b32_e32 v2, 4, v0
	buffer_load_dwordx4 v[2:5], v2, s[0:3], 0 offen
	v_cmp_gt_i32_e32 vcc, s8, v1
	s_waitcnt vmcnt(1)
	s_barrier
	v_cmp_gt_i32_e64 s[2:3], s11, v16
	v_cmp_lt_i32_e64 s[0:1], -1, v16
	s_and_b64 s[2:3], vcc, s[2:3]
	s_and_b64 s[2:3], s[2:3], s[0:1]
	s_and_saveexec_b64 s[0:1], s[2:3]
	s_cbranch_execz .LBB190_2
; %bb.1:
	v_lshlrev_b32_e32 v6, 2, v16
	ds_read_b32 v16, v6
.LBB190_2:
	s_or_b64 exec, exec, s[0:1]
	s_cmp_lt_i32 s8, 1
	s_cbranch_scc1 .LBB190_13
; %bb.3:
	s_add_i32 s2, s9, 7
	s_load_dwordx4 s[12:15], s[4:5], 0x0
	s_load_dwordx2 s[10:11], s[4:5], 0x18
	s_ashr_i32 s3, s2, 31
	s_add_i32 s4, s9, 3
	s_waitcnt vmcnt(0)
	v_cvt_f32_f16_sdwa v7, v2 dst_sel:DWORD dst_unused:UNUSED_PAD src0_sel:WORD_1
	v_cvt_f32_f16_e32 v6, v2
	v_cvt_f32_f16_sdwa v9, v3 dst_sel:DWORD dst_unused:UNUSED_PAD src0_sel:WORD_1
	v_cvt_f32_f16_e32 v8, v3
	;; [unrolled: 2-line block ×4, first 2 shown]
	s_lshr_b32 s3, s3, 29
	s_ashr_i32 s5, s4, 31
	v_cmp_eq_u32_e32 vcc, 63, v1
	v_lshrrev_b32_e32 v1, 4, v0
	v_mov_b32_e32 v4, 0x1000
	s_add_i32 s2, s2, s3
	s_lshr_b32 s5, s5, 30
	v_and_or_b32 v19, v1, 60, v4
	v_and_b32_e32 v1, 3, v0
	s_ashr_i32 s2, s2, 3
	s_add_i32 s4, s4, s5
	s_mov_b32 s21, s9
	v_lshlrev_b32_e32 v17, 3, v0
	s_lshl_b32 s6, s9, 2
	v_lshlrev_b32_e32 v18, 5, v0
	v_lshl_or_b32 v20, v1, 2, v4
	s_mov_b32 s22, 0
	v_cmp_eq_u32_e64 s[0:1], 0, v0
	v_cmp_gt_u32_e64 s[2:3], s2, v0
	s_and_b32 s18, s4, -4
	s_mov_b32 s7, 0x20000
	s_mov_b32 s9, 0x2edbe6ff
	v_mov_b32_e32 v21, 0
	s_branch .LBB190_6
.LBB190_4:                              ;   in Loop: Header=BB190_6 Depth=1
	s_or_b64 exec, exec, s[4:5]
.LBB190_5:                              ;   in Loop: Header=BB190_6 Depth=1
	s_add_i32 s22, s22, 1
	s_cmp_eq_u32 s8, s22
	s_cbranch_scc1 .LBB190_13
.LBB190_6:                              ; =>This Inner Loop Header: Depth=1
	s_waitcnt lgkmcnt(0)
	v_readlane_b32 s4, v16, s22
	s_cmp_lt_i32 s4, 0
	s_cbranch_scc1 .LBB190_5
; %bb.7:                                ;   in Loop: Header=BB190_6 Depth=1
	s_mul_i32 s4, s4, s21
	s_ashr_i32 s5, s4, 31
	s_lshl_b64 s[4:5], s[4:5], 2
	s_add_u32 s4, s10, s4
	s_addc_u32 s5, s11, s5
	s_and_b32 s5, s5, 0xffff
	buffer_load_dwordx4 v[12:15], v18, s[4:7], 0 offen
	buffer_load_dwordx4 v[22:25], v18, s[4:7], 16 offen
	s_waitcnt vmcnt(1)
	v_pk_mul_f32 v[12:13], v[12:13], v[6:7]
	v_pk_mul_f32 v[14:15], v[14:15], v[8:9]
	s_waitcnt vmcnt(0)
	v_pk_mul_f32 v[0:1], v[22:23], v[2:3]
	v_max3_f32 v22, |v12|, s9, |v13|
	v_max3_f32 v22, v22, |v14|, |v15|
	v_pk_mul_f32 v[4:5], v[24:25], v[10:11]
	v_max3_f32 v22, v22, |v0|, |v1|
	v_max3_f32 v22, v22, |v4|, |v5|
	s_nop 1
	v_mov_b32_dpp v23, v22 quad_perm:[1,0,3,2] row_mask:0xf bank_mask:0xf
	v_cmp_gt_f32_e64 s[4:5], v22, v23
	v_cndmask_b32_e64 v22, v23, v22, s[4:5]
	s_nop 1
	v_mov_b32_dpp v23, v22 quad_perm:[2,3,0,1] row_mask:0xf bank_mask:0xf
	v_cmp_gt_f32_e64 s[4:5], v22, v23
	v_cndmask_b32_e64 v22, v23, v22, s[4:5]
	s_nop 1
	v_mov_b32_dpp v23, v22 row_half_mirror row_mask:0xf bank_mask:0xf
	v_cmp_gt_f32_e64 s[4:5], v22, v23
	v_cndmask_b32_e64 v22, v23, v22, s[4:5]
	s_nop 1
	v_mov_b32_dpp v23, v22 row_mirror row_mask:0xf bank_mask:0xf
	v_cmp_gt_f32_e64 s[4:5], v22, v23
	v_cndmask_b32_e64 v22, v23, v22, s[4:5]
	s_nop 1
	v_mov_b32_dpp v23, v22 row_bcast:15 row_mask:0xf bank_mask:0xf
	v_cmp_gt_f32_e64 s[4:5], v22, v23
	v_cndmask_b32_e64 v22, v23, v22, s[4:5]
	s_nop 1
	v_mov_b32_dpp v23, v22 row_bcast:31 row_mask:0xf bank_mask:0xf
	s_and_saveexec_b64 s[16:17], vcc
	s_cbranch_execz .LBB190_9
; %bb.8:                                ;   in Loop: Header=BB190_6 Depth=1
	v_cmp_gt_f32_e64 s[4:5], v22, v23
	v_cndmask_b32_e64 v22, v23, v22, s[4:5]
	ds_write_b32 v19, v22
.LBB190_9:                              ;   in Loop: Header=BB190_6 Depth=1
	s_or_b64 exec, exec, s[16:17]
	s_waitcnt lgkmcnt(0)
	s_barrier
	ds_read_b32 v22, v20
	s_add_i32 s16, s20, s22
	s_waitcnt lgkmcnt(0)
	v_mov_b32_dpp v23, v22 quad_perm:[1,0,3,2] row_mask:0xf bank_mask:0xf
	v_cmp_gt_f32_e64 s[4:5], v22, v23
	v_cndmask_b32_e64 v22, v23, v22, s[4:5]
	s_nop 1
	v_mov_b32_dpp v23, v22 quad_perm:[2,3,0,1] row_mask:0xf bank_mask:0xf
	v_cmp_gt_f32_e64 s[4:5], v22, v23
	v_cndmask_b32_e64 v22, v23, v22, s[4:5]
	v_mul_f32_e32 v22, 0x3c010204, v22
	s_and_saveexec_b64 s[4:5], s[0:1]
	s_cbranch_execz .LBB190_11
; %bb.10:                               ;   in Loop: Header=BB190_6 Depth=1
	s_ashr_i32 s17, s16, 31
	s_lshl_b64 s[24:25], s[16:17], 2
	s_add_u32 s24, s14, s24
	s_addc_u32 s25, s15, s25
	global_store_dword v21, v22, s[24:25]
.LBB190_11:                             ;   in Loop: Header=BB190_6 Depth=1
	s_or_b64 exec, exec, s[4:5]
	s_and_saveexec_b64 s[4:5], s[2:3]
	s_cbranch_execz .LBB190_4
; %bb.12:                               ;   in Loop: Header=BB190_6 Depth=1
	v_rcp_f32_e32 v22, v22
	s_mul_hi_i32 s17, s16, s21
	s_mul_i32 s16, s16, s21
	s_add_u32 s16, s12, s16
	v_mov_b32_e32 v23, v22
	;;#ASMSTART
	v_pk_mul_f32 v[12:13], v[12:13], v[22:23]
	;;#ASMEND
	v_cvt_i32_f32_e32 v24, v12
	v_cvt_i32_f32_sdwa v25, v13 dst_sel:BYTE_1 dst_unused:UNUSED_PAD src0_sel:DWORD
	;;#ASMSTART
	v_pk_mul_f32 v[12:13], v[14:15], v[22:23]
	;;#ASMEND
	;;#ASMSTART
	v_pk_mul_f32 v[0:1], v[0:1], v[22:23]
	;;#ASMEND
	v_cvt_i32_f32_e32 v12, v12
	v_cvt_i32_f32_sdwa v13, v13 dst_sel:BYTE_1 dst_unused:UNUSED_PAD src0_sel:DWORD
	v_cvt_i32_f32_e32 v14, v0
	v_cvt_i32_f32_sdwa v15, v1 dst_sel:BYTE_1 dst_unused:UNUSED_PAD src0_sel:DWORD
	;;#ASMSTART
	v_pk_mul_f32 v[0:1], v[4:5], v[22:23]
	;;#ASMEND
	v_cvt_i32_f32_e32 v4, v0
	v_cvt_i32_f32_sdwa v1, v1 dst_sel:BYTE_1 dst_unused:UNUSED_PAD src0_sel:DWORD
	v_or_b32_sdwa v0, v24, v25 dst_sel:DWORD dst_unused:UNUSED_PAD src0_sel:BYTE_0 src1_sel:DWORD
	v_or_b32_sdwa v5, v12, v13 dst_sel:WORD_1 dst_unused:UNUSED_PAD src0_sel:BYTE_0 src1_sel:DWORD
	s_addc_u32 s17, s13, s17
	v_or_b32_sdwa v0, v0, v5 dst_sel:DWORD dst_unused:UNUSED_PAD src0_sel:WORD_0 src1_sel:DWORD
	v_or_b32_sdwa v5, v14, v15 dst_sel:DWORD dst_unused:UNUSED_PAD src0_sel:BYTE_0 src1_sel:DWORD
	v_or_b32_sdwa v1, v4, v1 dst_sel:WORD_1 dst_unused:UNUSED_PAD src0_sel:BYTE_0 src1_sel:DWORD
	s_and_b32 s17, s17, 0xffff
	s_mov_b32 s19, s7
	v_or_b32_sdwa v1, v5, v1 dst_sel:DWORD dst_unused:UNUSED_PAD src0_sel:WORD_0 src1_sel:DWORD
	buffer_store_dwordx2 v[0:1], v17, s[16:19], 0 offen
	;;#ASMSTART
	s_nop 0
	;;#ASMEND
	s_branch .LBB190_4
.LBB190_13:
	s_endpgm
	.section	.rodata,"a",@progbits
	.p2align	6, 0x0
	.amdhsa_kernel _ZN5aiter43moe_smooth_per_token_scaled_quant_kernel_v1IDF16_aLi256ELi8ELb0ELb1ELi1024EEEvPT0_PfPT_S3_PiS6_iiiii
		.amdhsa_group_segment_fixed_size 4112
		.amdhsa_private_segment_fixed_size 0
		.amdhsa_kernarg_size 68
		.amdhsa_user_sgpr_count 6
		.amdhsa_user_sgpr_private_segment_buffer 1
		.amdhsa_user_sgpr_dispatch_ptr 0
		.amdhsa_user_sgpr_queue_ptr 0
		.amdhsa_user_sgpr_kernarg_segment_ptr 1
		.amdhsa_user_sgpr_dispatch_id 0
		.amdhsa_user_sgpr_flat_scratch_init 0
		.amdhsa_user_sgpr_kernarg_preload_length 0
		.amdhsa_user_sgpr_kernarg_preload_offset 0
		.amdhsa_user_sgpr_private_segment_size 0
		.amdhsa_uses_dynamic_stack 0
		.amdhsa_system_sgpr_private_segment_wavefront_offset 0
		.amdhsa_system_sgpr_workgroup_id_x 1
		.amdhsa_system_sgpr_workgroup_id_y 0
		.amdhsa_system_sgpr_workgroup_id_z 0
		.amdhsa_system_sgpr_workgroup_info 0
		.amdhsa_system_vgpr_workitem_id 0
		.amdhsa_next_free_vgpr 26
		.amdhsa_next_free_sgpr 26
		.amdhsa_accum_offset 28
		.amdhsa_reserve_vcc 1
		.amdhsa_reserve_flat_scratch 0
		.amdhsa_float_round_mode_32 0
		.amdhsa_float_round_mode_16_64 0
		.amdhsa_float_denorm_mode_32 3
		.amdhsa_float_denorm_mode_16_64 3
		.amdhsa_dx10_clamp 1
		.amdhsa_ieee_mode 1
		.amdhsa_fp16_overflow 0
		.amdhsa_tg_split 0
		.amdhsa_exception_fp_ieee_invalid_op 0
		.amdhsa_exception_fp_denorm_src 0
		.amdhsa_exception_fp_ieee_div_zero 0
		.amdhsa_exception_fp_ieee_overflow 0
		.amdhsa_exception_fp_ieee_underflow 0
		.amdhsa_exception_fp_ieee_inexact 0
		.amdhsa_exception_int_div_zero 0
	.end_amdhsa_kernel
	.section	.text._ZN5aiter43moe_smooth_per_token_scaled_quant_kernel_v1IDF16_aLi256ELi8ELb0ELb1ELi1024EEEvPT0_PfPT_S3_PiS6_iiiii,"axG",@progbits,_ZN5aiter43moe_smooth_per_token_scaled_quant_kernel_v1IDF16_aLi256ELi8ELb0ELb1ELi1024EEEvPT0_PfPT_S3_PiS6_iiiii,comdat
.Lfunc_end190:
	.size	_ZN5aiter43moe_smooth_per_token_scaled_quant_kernel_v1IDF16_aLi256ELi8ELb0ELb1ELi1024EEEvPT0_PfPT_S3_PiS6_iiiii, .Lfunc_end190-_ZN5aiter43moe_smooth_per_token_scaled_quant_kernel_v1IDF16_aLi256ELi8ELb0ELb1ELi1024EEEvPT0_PfPT_S3_PiS6_iiiii
                                        ; -- End function
	.section	.AMDGPU.csdata,"",@progbits
; Kernel info:
; codeLenInByte = 1216
; NumSgprs: 30
; NumVgprs: 26
; NumAgprs: 0
; TotalNumVgprs: 26
; ScratchSize: 0
; MemoryBound: 0
; FloatMode: 240
; IeeeMode: 1
; LDSByteSize: 4112 bytes/workgroup (compile time only)
; SGPRBlocks: 3
; VGPRBlocks: 3
; NumSGPRsForWavesPerEU: 30
; NumVGPRsForWavesPerEU: 26
; AccumOffset: 28
; Occupancy: 8
; WaveLimiterHint : 0
; COMPUTE_PGM_RSRC2:SCRATCH_EN: 0
; COMPUTE_PGM_RSRC2:USER_SGPR: 6
; COMPUTE_PGM_RSRC2:TRAP_HANDLER: 0
; COMPUTE_PGM_RSRC2:TGID_X_EN: 1
; COMPUTE_PGM_RSRC2:TGID_Y_EN: 0
; COMPUTE_PGM_RSRC2:TGID_Z_EN: 0
; COMPUTE_PGM_RSRC2:TIDIG_COMP_CNT: 0
; COMPUTE_PGM_RSRC3_GFX90A:ACCUM_OFFSET: 6
; COMPUTE_PGM_RSRC3_GFX90A:TG_SPLIT: 0
	.section	.text._ZN5aiter43moe_smooth_per_token_scaled_quant_kernel_v1ItaLi256ELi8ELb0ELb1ELi1024EEEvPT0_PfPT_S3_PiS6_iiiii,"axG",@progbits,_ZN5aiter43moe_smooth_per_token_scaled_quant_kernel_v1ItaLi256ELi8ELb0ELb1ELi1024EEEvPT0_PfPT_S3_PiS6_iiiii,comdat
	.protected	_ZN5aiter43moe_smooth_per_token_scaled_quant_kernel_v1ItaLi256ELi8ELb0ELb1ELi1024EEEvPT0_PfPT_S3_PiS6_iiiii ; -- Begin function _ZN5aiter43moe_smooth_per_token_scaled_quant_kernel_v1ItaLi256ELi8ELb0ELb1ELi1024EEEvPT0_PfPT_S3_PiS6_iiiii
	.globl	_ZN5aiter43moe_smooth_per_token_scaled_quant_kernel_v1ItaLi256ELi8ELb0ELb1ELi1024EEEvPT0_PfPT_S3_PiS6_iiiii
	.p2align	8
	.type	_ZN5aiter43moe_smooth_per_token_scaled_quant_kernel_v1ItaLi256ELi8ELb0ELb1ELi1024EEEvPT0_PfPT_S3_PiS6_iiiii,@function
_ZN5aiter43moe_smooth_per_token_scaled_quant_kernel_v1ItaLi256ELi8ELb0ELb1ELi1024EEEvPT0_PfPT_S3_PiS6_iiiii: ; @_ZN5aiter43moe_smooth_per_token_scaled_quant_kernel_v1ItaLi256ELi8ELb0ELb1ELi1024EEEvPT0_PfPT_S3_PiS6_iiiii
; %bb.0:
	s_load_dwordx4 s[8:11], s[4:5], 0x34
	s_load_dwordx4 s[12:15], s[4:5], 0x20
	s_load_dwordx2 s[16:17], s[4:5], 0x10
	v_and_b32_e32 v1, 0x3c0, v0
	v_lshlrev_b32_e32 v1, 2, v1
	v_lshlrev_b32_e32 v2, 2, v0
	v_readfirstlane_b32 s7, v1
	v_add_u32_e32 v3, 0x400, v1
	s_waitcnt lgkmcnt(0)
	s_lshl_b32 s2, s11, 2
	s_and_b32 s1, s15, 0xffff
	s_mov_b32 s3, 0x20000
	s_mov_b32 s0, s14
	;;#ASMSTART
	s_mov_b32 m0 s7
	buffer_load_dword v2, s[0:3], 0 offen offset:0 lds
	
	;;#ASMEND
	v_readfirstlane_b32 s7, v3
	v_add_u32_e32 v3, 0x400, v2
	;;#ASMSTART
	s_mov_b32 m0 s7
	buffer_load_dword v3, s[0:3], 0 offen offset:0 lds
	
	;;#ASMEND
	v_add_u32_e32 v3, 0x800, v1
	s_mul_i32 s20, s6, s8
	v_readfirstlane_b32 s7, v3
	v_add_u32_e32 v3, 0x800, v2
	;;#ASMSTART
	s_mov_b32 m0 s7
	buffer_load_dword v3, s[0:3], 0 offen offset:0 lds
	
	;;#ASMEND
	v_add_u32_e32 v1, 0xc00, v1
	s_ashr_i32 s21, s20, 31
	v_readfirstlane_b32 s7, v1
	v_add_u32_e32 v1, 0xc00, v2
	;;#ASMSTART
	s_mov_b32 m0 s7
	buffer_load_dword v1, s[0:3], 0 offen offset:0 lds
	
	;;#ASMEND
	s_lshl_b64 s[0:1], s[20:21], 2
	s_add_u32 s0, s12, s0
	v_and_b32_e32 v1, 63, v0
	s_addc_u32 s1, s13, s1
	s_lshl_b32 s2, s8, 2
	s_and_b32 s1, s1, 0xffff
	v_lshlrev_b32_e32 v2, 2, v1
	buffer_load_dword v16, v2, s[0:3], 0 offen
	s_mul_hi_i32 s1, s10, s6
	s_mul_i32 s0, s10, s6
	s_lshl_b64 s[0:1], s[0:1], 1
	s_add_u32 s0, s16, s0
	s_addc_u32 s1, s17, s1
	s_lshl_b32 s2, s9, 1
	s_and_b32 s1, s1, 0xffff
	v_lshlrev_b32_e32 v2, 4, v0
	buffer_load_dwordx4 v[2:5], v2, s[0:3], 0 offen
	v_cmp_gt_i32_e32 vcc, s8, v1
	s_waitcnt vmcnt(1)
	s_barrier
	v_cmp_gt_i32_e64 s[2:3], s11, v16
	v_cmp_lt_i32_e64 s[0:1], -1, v16
	s_and_b64 s[2:3], vcc, s[2:3]
	s_and_b64 s[2:3], s[2:3], s[0:1]
	s_and_saveexec_b64 s[0:1], s[2:3]
	s_cbranch_execz .LBB191_2
; %bb.1:
	v_lshlrev_b32_e32 v6, 2, v16
	ds_read_b32 v16, v6
.LBB191_2:
	s_or_b64 exec, exec, s[0:1]
	s_cmp_lt_i32 s8, 1
	s_cbranch_scc1 .LBB191_13
; %bb.3:
	s_add_i32 s2, s9, 7
	s_load_dwordx4 s[12:15], s[4:5], 0x0
	s_load_dwordx2 s[10:11], s[4:5], 0x18
	s_ashr_i32 s3, s2, 31
	s_add_i32 s4, s9, 3
	s_waitcnt vmcnt(0)
	v_cvt_f32_u32_sdwa v7, v2 dst_sel:DWORD dst_unused:UNUSED_PAD src0_sel:WORD_1
	v_cvt_f32_u32_sdwa v6, v2 dst_sel:DWORD dst_unused:UNUSED_PAD src0_sel:WORD_0
	v_cvt_f32_u32_sdwa v9, v3 dst_sel:DWORD dst_unused:UNUSED_PAD src0_sel:WORD_1
	v_cvt_f32_u32_sdwa v8, v3 dst_sel:DWORD dst_unused:UNUSED_PAD src0_sel:WORD_0
	;; [unrolled: 2-line block ×4, first 2 shown]
	s_lshr_b32 s3, s3, 29
	s_ashr_i32 s5, s4, 31
	v_cmp_eq_u32_e32 vcc, 63, v1
	v_lshrrev_b32_e32 v1, 4, v0
	v_mov_b32_e32 v4, 0x1000
	s_add_i32 s2, s2, s3
	s_lshr_b32 s5, s5, 30
	v_and_or_b32 v19, v1, 60, v4
	v_and_b32_e32 v1, 3, v0
	s_ashr_i32 s2, s2, 3
	s_add_i32 s4, s4, s5
	s_mov_b32 s21, s9
	v_lshlrev_b32_e32 v17, 3, v0
	s_lshl_b32 s6, s9, 2
	v_lshlrev_b32_e32 v18, 5, v0
	v_lshl_or_b32 v20, v1, 2, v4
	s_mov_b32 s22, 0
	v_cmp_eq_u32_e64 s[0:1], 0, v0
	v_cmp_gt_u32_e64 s[2:3], s2, v0
	s_and_b32 s18, s4, -4
	s_mov_b32 s7, 0x20000
	s_mov_b32 s9, 0x2edbe6ff
	v_mov_b32_e32 v21, 0
	s_branch .LBB191_6
.LBB191_4:                              ;   in Loop: Header=BB191_6 Depth=1
	s_or_b64 exec, exec, s[4:5]
.LBB191_5:                              ;   in Loop: Header=BB191_6 Depth=1
	s_add_i32 s22, s22, 1
	s_cmp_eq_u32 s8, s22
	s_cbranch_scc1 .LBB191_13
.LBB191_6:                              ; =>This Inner Loop Header: Depth=1
	s_waitcnt lgkmcnt(0)
	v_readlane_b32 s4, v16, s22
	s_cmp_lt_i32 s4, 0
	s_cbranch_scc1 .LBB191_5
; %bb.7:                                ;   in Loop: Header=BB191_6 Depth=1
	s_mul_i32 s4, s4, s21
	s_ashr_i32 s5, s4, 31
	s_lshl_b64 s[4:5], s[4:5], 2
	s_add_u32 s4, s10, s4
	s_addc_u32 s5, s11, s5
	s_and_b32 s5, s5, 0xffff
	buffer_load_dwordx4 v[12:15], v18, s[4:7], 0 offen
	buffer_load_dwordx4 v[22:25], v18, s[4:7], 16 offen
	s_waitcnt vmcnt(1)
	v_pk_mul_f32 v[12:13], v[12:13], v[6:7]
	v_pk_mul_f32 v[14:15], v[14:15], v[8:9]
	s_waitcnt vmcnt(0)
	v_pk_mul_f32 v[0:1], v[22:23], v[2:3]
	v_max3_f32 v22, |v12|, s9, |v13|
	v_max3_f32 v22, v22, |v14|, |v15|
	v_pk_mul_f32 v[4:5], v[24:25], v[10:11]
	v_max3_f32 v22, v22, |v0|, |v1|
	v_max3_f32 v22, v22, |v4|, |v5|
	s_nop 1
	v_mov_b32_dpp v23, v22 quad_perm:[1,0,3,2] row_mask:0xf bank_mask:0xf
	v_cmp_gt_f32_e64 s[4:5], v22, v23
	v_cndmask_b32_e64 v22, v23, v22, s[4:5]
	s_nop 1
	v_mov_b32_dpp v23, v22 quad_perm:[2,3,0,1] row_mask:0xf bank_mask:0xf
	v_cmp_gt_f32_e64 s[4:5], v22, v23
	v_cndmask_b32_e64 v22, v23, v22, s[4:5]
	s_nop 1
	v_mov_b32_dpp v23, v22 row_half_mirror row_mask:0xf bank_mask:0xf
	v_cmp_gt_f32_e64 s[4:5], v22, v23
	v_cndmask_b32_e64 v22, v23, v22, s[4:5]
	s_nop 1
	v_mov_b32_dpp v23, v22 row_mirror row_mask:0xf bank_mask:0xf
	v_cmp_gt_f32_e64 s[4:5], v22, v23
	v_cndmask_b32_e64 v22, v23, v22, s[4:5]
	s_nop 1
	v_mov_b32_dpp v23, v22 row_bcast:15 row_mask:0xf bank_mask:0xf
	v_cmp_gt_f32_e64 s[4:5], v22, v23
	v_cndmask_b32_e64 v22, v23, v22, s[4:5]
	s_nop 1
	v_mov_b32_dpp v23, v22 row_bcast:31 row_mask:0xf bank_mask:0xf
	s_and_saveexec_b64 s[16:17], vcc
	s_cbranch_execz .LBB191_9
; %bb.8:                                ;   in Loop: Header=BB191_6 Depth=1
	v_cmp_gt_f32_e64 s[4:5], v22, v23
	v_cndmask_b32_e64 v22, v23, v22, s[4:5]
	ds_write_b32 v19, v22
.LBB191_9:                              ;   in Loop: Header=BB191_6 Depth=1
	s_or_b64 exec, exec, s[16:17]
	s_waitcnt lgkmcnt(0)
	s_barrier
	ds_read_b32 v22, v20
	s_add_i32 s16, s20, s22
	s_waitcnt lgkmcnt(0)
	v_mov_b32_dpp v23, v22 quad_perm:[1,0,3,2] row_mask:0xf bank_mask:0xf
	v_cmp_gt_f32_e64 s[4:5], v22, v23
	v_cndmask_b32_e64 v22, v23, v22, s[4:5]
	s_nop 1
	v_mov_b32_dpp v23, v22 quad_perm:[2,3,0,1] row_mask:0xf bank_mask:0xf
	v_cmp_gt_f32_e64 s[4:5], v22, v23
	v_cndmask_b32_e64 v22, v23, v22, s[4:5]
	v_mul_f32_e32 v22, 0x3c010204, v22
	s_and_saveexec_b64 s[4:5], s[0:1]
	s_cbranch_execz .LBB191_11
; %bb.10:                               ;   in Loop: Header=BB191_6 Depth=1
	s_ashr_i32 s17, s16, 31
	s_lshl_b64 s[24:25], s[16:17], 2
	s_add_u32 s24, s14, s24
	s_addc_u32 s25, s15, s25
	global_store_dword v21, v22, s[24:25]
.LBB191_11:                             ;   in Loop: Header=BB191_6 Depth=1
	s_or_b64 exec, exec, s[4:5]
	s_and_saveexec_b64 s[4:5], s[2:3]
	s_cbranch_execz .LBB191_4
; %bb.12:                               ;   in Loop: Header=BB191_6 Depth=1
	v_rcp_f32_e32 v22, v22
	s_mul_hi_i32 s17, s16, s21
	s_mul_i32 s16, s16, s21
	s_add_u32 s16, s12, s16
	v_mov_b32_e32 v23, v22
	;;#ASMSTART
	v_pk_mul_f32 v[12:13], v[12:13], v[22:23]
	;;#ASMEND
	v_cvt_i32_f32_e32 v24, v12
	v_cvt_i32_f32_sdwa v25, v13 dst_sel:BYTE_1 dst_unused:UNUSED_PAD src0_sel:DWORD
	;;#ASMSTART
	v_pk_mul_f32 v[12:13], v[14:15], v[22:23]
	;;#ASMEND
	;;#ASMSTART
	v_pk_mul_f32 v[0:1], v[0:1], v[22:23]
	;;#ASMEND
	v_cvt_i32_f32_e32 v12, v12
	v_cvt_i32_f32_sdwa v13, v13 dst_sel:BYTE_1 dst_unused:UNUSED_PAD src0_sel:DWORD
	v_cvt_i32_f32_e32 v14, v0
	v_cvt_i32_f32_sdwa v15, v1 dst_sel:BYTE_1 dst_unused:UNUSED_PAD src0_sel:DWORD
	;;#ASMSTART
	v_pk_mul_f32 v[0:1], v[4:5], v[22:23]
	;;#ASMEND
	v_cvt_i32_f32_e32 v4, v0
	v_cvt_i32_f32_sdwa v1, v1 dst_sel:BYTE_1 dst_unused:UNUSED_PAD src0_sel:DWORD
	v_or_b32_sdwa v0, v24, v25 dst_sel:DWORD dst_unused:UNUSED_PAD src0_sel:BYTE_0 src1_sel:DWORD
	v_or_b32_sdwa v5, v12, v13 dst_sel:WORD_1 dst_unused:UNUSED_PAD src0_sel:BYTE_0 src1_sel:DWORD
	s_addc_u32 s17, s13, s17
	v_or_b32_sdwa v0, v0, v5 dst_sel:DWORD dst_unused:UNUSED_PAD src0_sel:WORD_0 src1_sel:DWORD
	v_or_b32_sdwa v5, v14, v15 dst_sel:DWORD dst_unused:UNUSED_PAD src0_sel:BYTE_0 src1_sel:DWORD
	v_or_b32_sdwa v1, v4, v1 dst_sel:WORD_1 dst_unused:UNUSED_PAD src0_sel:BYTE_0 src1_sel:DWORD
	s_and_b32 s17, s17, 0xffff
	s_mov_b32 s19, s7
	v_or_b32_sdwa v1, v5, v1 dst_sel:DWORD dst_unused:UNUSED_PAD src0_sel:WORD_0 src1_sel:DWORD
	buffer_store_dwordx2 v[0:1], v17, s[16:19], 0 offen
	;;#ASMSTART
	s_nop 0
	;;#ASMEND
	s_branch .LBB191_4
.LBB191_13:
	s_endpgm
	.section	.rodata,"a",@progbits
	.p2align	6, 0x0
	.amdhsa_kernel _ZN5aiter43moe_smooth_per_token_scaled_quant_kernel_v1ItaLi256ELi8ELb0ELb1ELi1024EEEvPT0_PfPT_S3_PiS6_iiiii
		.amdhsa_group_segment_fixed_size 4112
		.amdhsa_private_segment_fixed_size 0
		.amdhsa_kernarg_size 68
		.amdhsa_user_sgpr_count 6
		.amdhsa_user_sgpr_private_segment_buffer 1
		.amdhsa_user_sgpr_dispatch_ptr 0
		.amdhsa_user_sgpr_queue_ptr 0
		.amdhsa_user_sgpr_kernarg_segment_ptr 1
		.amdhsa_user_sgpr_dispatch_id 0
		.amdhsa_user_sgpr_flat_scratch_init 0
		.amdhsa_user_sgpr_kernarg_preload_length 0
		.amdhsa_user_sgpr_kernarg_preload_offset 0
		.amdhsa_user_sgpr_private_segment_size 0
		.amdhsa_uses_dynamic_stack 0
		.amdhsa_system_sgpr_private_segment_wavefront_offset 0
		.amdhsa_system_sgpr_workgroup_id_x 1
		.amdhsa_system_sgpr_workgroup_id_y 0
		.amdhsa_system_sgpr_workgroup_id_z 0
		.amdhsa_system_sgpr_workgroup_info 0
		.amdhsa_system_vgpr_workitem_id 0
		.amdhsa_next_free_vgpr 26
		.amdhsa_next_free_sgpr 26
		.amdhsa_accum_offset 28
		.amdhsa_reserve_vcc 1
		.amdhsa_reserve_flat_scratch 0
		.amdhsa_float_round_mode_32 0
		.amdhsa_float_round_mode_16_64 0
		.amdhsa_float_denorm_mode_32 3
		.amdhsa_float_denorm_mode_16_64 3
		.amdhsa_dx10_clamp 1
		.amdhsa_ieee_mode 1
		.amdhsa_fp16_overflow 0
		.amdhsa_tg_split 0
		.amdhsa_exception_fp_ieee_invalid_op 0
		.amdhsa_exception_fp_denorm_src 0
		.amdhsa_exception_fp_ieee_div_zero 0
		.amdhsa_exception_fp_ieee_overflow 0
		.amdhsa_exception_fp_ieee_underflow 0
		.amdhsa_exception_fp_ieee_inexact 0
		.amdhsa_exception_int_div_zero 0
	.end_amdhsa_kernel
	.section	.text._ZN5aiter43moe_smooth_per_token_scaled_quant_kernel_v1ItaLi256ELi8ELb0ELb1ELi1024EEEvPT0_PfPT_S3_PiS6_iiiii,"axG",@progbits,_ZN5aiter43moe_smooth_per_token_scaled_quant_kernel_v1ItaLi256ELi8ELb0ELb1ELi1024EEEvPT0_PfPT_S3_PiS6_iiiii,comdat
.Lfunc_end191:
	.size	_ZN5aiter43moe_smooth_per_token_scaled_quant_kernel_v1ItaLi256ELi8ELb0ELb1ELi1024EEEvPT0_PfPT_S3_PiS6_iiiii, .Lfunc_end191-_ZN5aiter43moe_smooth_per_token_scaled_quant_kernel_v1ItaLi256ELi8ELb0ELb1ELi1024EEEvPT0_PfPT_S3_PiS6_iiiii
                                        ; -- End function
	.section	.AMDGPU.csdata,"",@progbits
; Kernel info:
; codeLenInByte = 1232
; NumSgprs: 30
; NumVgprs: 26
; NumAgprs: 0
; TotalNumVgprs: 26
; ScratchSize: 0
; MemoryBound: 0
; FloatMode: 240
; IeeeMode: 1
; LDSByteSize: 4112 bytes/workgroup (compile time only)
; SGPRBlocks: 3
; VGPRBlocks: 3
; NumSGPRsForWavesPerEU: 30
; NumVGPRsForWavesPerEU: 26
; AccumOffset: 28
; Occupancy: 8
; WaveLimiterHint : 0
; COMPUTE_PGM_RSRC2:SCRATCH_EN: 0
; COMPUTE_PGM_RSRC2:USER_SGPR: 6
; COMPUTE_PGM_RSRC2:TRAP_HANDLER: 0
; COMPUTE_PGM_RSRC2:TGID_X_EN: 1
; COMPUTE_PGM_RSRC2:TGID_Y_EN: 0
; COMPUTE_PGM_RSRC2:TGID_Z_EN: 0
; COMPUTE_PGM_RSRC2:TIDIG_COMP_CNT: 0
; COMPUTE_PGM_RSRC3_GFX90A:ACCUM_OFFSET: 6
; COMPUTE_PGM_RSRC3_GFX90A:TG_SPLIT: 0
	.section	.text._ZN5aiter43moe_smooth_per_token_scaled_quant_kernel_v1IDF16_aLi256ELi8ELb0ELb0ELi1024EEEvPT0_PfPT_S3_PiS6_iiiii,"axG",@progbits,_ZN5aiter43moe_smooth_per_token_scaled_quant_kernel_v1IDF16_aLi256ELi8ELb0ELb0ELi1024EEEvPT0_PfPT_S3_PiS6_iiiii,comdat
	.protected	_ZN5aiter43moe_smooth_per_token_scaled_quant_kernel_v1IDF16_aLi256ELi8ELb0ELb0ELi1024EEEvPT0_PfPT_S3_PiS6_iiiii ; -- Begin function _ZN5aiter43moe_smooth_per_token_scaled_quant_kernel_v1IDF16_aLi256ELi8ELb0ELb0ELi1024EEEvPT0_PfPT_S3_PiS6_iiiii
	.globl	_ZN5aiter43moe_smooth_per_token_scaled_quant_kernel_v1IDF16_aLi256ELi8ELb0ELb0ELi1024EEEvPT0_PfPT_S3_PiS6_iiiii
	.p2align	8
	.type	_ZN5aiter43moe_smooth_per_token_scaled_quant_kernel_v1IDF16_aLi256ELi8ELb0ELb0ELi1024EEEvPT0_PfPT_S3_PiS6_iiiii,@function
_ZN5aiter43moe_smooth_per_token_scaled_quant_kernel_v1IDF16_aLi256ELi8ELb0ELb0ELi1024EEEvPT0_PfPT_S3_PiS6_iiiii: ; @_ZN5aiter43moe_smooth_per_token_scaled_quant_kernel_v1IDF16_aLi256ELi8ELb0ELb0ELi1024EEEvPT0_PfPT_S3_PiS6_iiiii
; %bb.0:
	s_load_dwordx4 s[8:11], s[4:5], 0x34
	s_load_dwordx2 s[0:1], s[4:5], 0x10
	s_load_dwordx2 s[2:3], s[4:5], 0x20
	v_and_b32_e32 v1, 63, v0
	s_mov_b32 s15, 0x20000
	s_waitcnt lgkmcnt(0)
	s_mul_i32 s20, s6, s8
	s_ashr_i32 s21, s20, 31
	s_lshl_b64 s[12:13], s[20:21], 2
	s_add_u32 s12, s2, s12
	s_addc_u32 s2, s3, s13
	s_and_b32 s13, s2, 0xffff
	s_mul_hi_i32 s3, s10, s6
	s_mul_i32 s2, s10, s6
	s_lshl_b32 s14, s8, 2
	v_lshlrev_b32_e32 v2, 2, v1
	s_lshl_b64 s[2:3], s[2:3], 1
	buffer_load_dword v16, v2, s[12:15], 0 offen
	s_add_u32 s12, s0, s2
	s_addc_u32 s0, s1, s3
	s_lshl_b32 s14, s9, 1
	s_and_b32 s13, s0, 0xffff
	v_lshlrev_b32_e32 v2, 4, v0
	buffer_load_dwordx4 v[2:5], v2, s[12:15], 0 offen
	s_mov_b32 s21, 0
	s_cmp_lt_i32 s8, 1
	s_waitcnt vmcnt(1)
	s_barrier
	s_cbranch_scc1 .LBB192_11
; %bb.1:
	s_add_i32 s2, s9, 7
	s_load_dwordx4 s[16:19], s[4:5], 0x0
	s_load_dwordx2 s[10:11], s[4:5], 0x18
	s_ashr_i32 s3, s2, 31
	s_add_i32 s4, s9, 3
	s_waitcnt vmcnt(0)
	v_cvt_f32_f16_sdwa v7, v2 dst_sel:DWORD dst_unused:UNUSED_PAD src0_sel:WORD_1
	v_cvt_f32_f16_e32 v6, v2
	v_cvt_f32_f16_sdwa v9, v3 dst_sel:DWORD dst_unused:UNUSED_PAD src0_sel:WORD_1
	v_cvt_f32_f16_e32 v8, v3
	;; [unrolled: 2-line block ×4, first 2 shown]
	s_lshr_b32 s3, s3, 29
	s_ashr_i32 s5, s4, 31
	v_cmp_eq_u32_e32 vcc, 63, v1
	v_lshrrev_b32_e32 v1, 4, v0
	s_add_i32 s2, s2, s3
	s_lshr_b32 s5, s5, 30
	v_and_b32_e32 v19, 60, v1
	v_and_b32_e32 v1, 3, v0
	s_ashr_i32 s2, s2, 3
	s_add_i32 s4, s4, s5
	s_mov_b32 s22, s9
	v_lshlrev_b32_e32 v17, 3, v0
	s_lshl_b32 s14, s9, 2
	v_lshlrev_b32_e32 v18, 5, v0
	v_lshlrev_b32_e32 v20, 2, v1
	v_cmp_eq_u32_e64 s[0:1], 0, v0
	v_cmp_gt_u32_e64 s[2:3], s2, v0
	s_and_b32 s6, s4, -4
	s_mov_b32 s9, 0x2edbe6ff
	v_mov_b32_e32 v21, 0
	s_branch .LBB192_4
.LBB192_2:                              ;   in Loop: Header=BB192_4 Depth=1
	s_or_b64 exec, exec, s[12:13]
.LBB192_3:                              ;   in Loop: Header=BB192_4 Depth=1
	s_add_i32 s21, s21, 1
	s_cmp_eq_u32 s8, s21
	s_cbranch_scc1 .LBB192_11
.LBB192_4:                              ; =>This Inner Loop Header: Depth=1
	v_readlane_b32 s4, v16, s21
	s_cmp_lt_i32 s4, 0
	s_cbranch_scc1 .LBB192_3
; %bb.5:                                ;   in Loop: Header=BB192_4 Depth=1
	s_mul_i32 s4, s4, s22
	s_ashr_i32 s5, s4, 31
	s_lshl_b64 s[4:5], s[4:5], 2
	s_waitcnt lgkmcnt(0)
	s_add_u32 s12, s10, s4
	s_addc_u32 s4, s11, s5
	s_and_b32 s13, s4, 0xffff
	buffer_load_dwordx4 v[12:15], v18, s[12:15], 0 offen
	buffer_load_dwordx4 v[22:25], v18, s[12:15], 16 offen
	s_waitcnt vmcnt(1)
	v_pk_mul_f32 v[12:13], v[12:13], v[6:7]
	v_pk_mul_f32 v[14:15], v[14:15], v[8:9]
	s_waitcnt vmcnt(0)
	v_pk_mul_f32 v[0:1], v[22:23], v[2:3]
	v_max3_f32 v22, |v12|, s9, |v13|
	v_max3_f32 v22, v22, |v14|, |v15|
	v_pk_mul_f32 v[4:5], v[24:25], v[10:11]
	v_max3_f32 v22, v22, |v0|, |v1|
	v_max3_f32 v22, v22, |v4|, |v5|
	s_nop 1
	v_mov_b32_dpp v23, v22 quad_perm:[1,0,3,2] row_mask:0xf bank_mask:0xf
	v_cmp_gt_f32_e64 s[4:5], v22, v23
	v_cndmask_b32_e64 v22, v23, v22, s[4:5]
	s_nop 1
	v_mov_b32_dpp v23, v22 quad_perm:[2,3,0,1] row_mask:0xf bank_mask:0xf
	v_cmp_gt_f32_e64 s[4:5], v22, v23
	v_cndmask_b32_e64 v22, v23, v22, s[4:5]
	s_nop 1
	v_mov_b32_dpp v23, v22 row_half_mirror row_mask:0xf bank_mask:0xf
	v_cmp_gt_f32_e64 s[4:5], v22, v23
	v_cndmask_b32_e64 v22, v23, v22, s[4:5]
	s_nop 1
	v_mov_b32_dpp v23, v22 row_mirror row_mask:0xf bank_mask:0xf
	v_cmp_gt_f32_e64 s[4:5], v22, v23
	v_cndmask_b32_e64 v22, v23, v22, s[4:5]
	s_nop 1
	v_mov_b32_dpp v23, v22 row_bcast:15 row_mask:0xf bank_mask:0xf
	v_cmp_gt_f32_e64 s[4:5], v22, v23
	v_cndmask_b32_e64 v22, v23, v22, s[4:5]
	s_nop 1
	v_mov_b32_dpp v23, v22 row_bcast:31 row_mask:0xf bank_mask:0xf
	s_and_saveexec_b64 s[12:13], vcc
	s_cbranch_execz .LBB192_7
; %bb.6:                                ;   in Loop: Header=BB192_4 Depth=1
	v_cmp_gt_f32_e64 s[4:5], v22, v23
	v_cndmask_b32_e64 v22, v23, v22, s[4:5]
	ds_write_b32 v19, v22
.LBB192_7:                              ;   in Loop: Header=BB192_4 Depth=1
	s_or_b64 exec, exec, s[12:13]
	s_waitcnt lgkmcnt(0)
	s_barrier
	ds_read_b32 v22, v20
	s_waitcnt lgkmcnt(0)
	s_nop 0
	v_mov_b32_dpp v23, v22 quad_perm:[1,0,3,2] row_mask:0xf bank_mask:0xf
	v_cmp_gt_f32_e64 s[4:5], v22, v23
	v_cndmask_b32_e64 v22, v23, v22, s[4:5]
	s_nop 1
	v_mov_b32_dpp v23, v22 quad_perm:[2,3,0,1] row_mask:0xf bank_mask:0xf
	v_cmp_gt_f32_e64 s[4:5], v22, v23
	v_cndmask_b32_e64 v22, v23, v22, s[4:5]
	v_mul_f32_e32 v22, 0x3c010204, v22
	s_add_i32 s4, s20, s21
	s_and_saveexec_b64 s[12:13], s[0:1]
	s_cbranch_execz .LBB192_9
; %bb.8:                                ;   in Loop: Header=BB192_4 Depth=1
	s_ashr_i32 s5, s4, 31
	s_lshl_b64 s[24:25], s[4:5], 2
	s_add_u32 s24, s18, s24
	s_addc_u32 s25, s19, s25
	global_store_dword v21, v22, s[24:25]
.LBB192_9:                              ;   in Loop: Header=BB192_4 Depth=1
	s_or_b64 exec, exec, s[12:13]
	s_and_saveexec_b64 s[12:13], s[2:3]
	s_cbranch_execz .LBB192_2
; %bb.10:                               ;   in Loop: Header=BB192_4 Depth=1
	v_rcp_f32_e32 v22, v22
	s_mul_hi_i32 s5, s4, s22
	s_mul_i32 s4, s4, s22
	s_add_u32 s4, s16, s4
	v_mov_b32_e32 v23, v22
	;;#ASMSTART
	v_pk_mul_f32 v[12:13], v[12:13], v[22:23]
	;;#ASMEND
	v_cvt_i32_f32_e32 v24, v12
	v_cvt_i32_f32_sdwa v25, v13 dst_sel:BYTE_1 dst_unused:UNUSED_PAD src0_sel:DWORD
	;;#ASMSTART
	v_pk_mul_f32 v[12:13], v[14:15], v[22:23]
	;;#ASMEND
	;;#ASMSTART
	v_pk_mul_f32 v[0:1], v[0:1], v[22:23]
	;;#ASMEND
	v_cvt_i32_f32_e32 v12, v12
	v_cvt_i32_f32_sdwa v13, v13 dst_sel:BYTE_1 dst_unused:UNUSED_PAD src0_sel:DWORD
	v_cvt_i32_f32_e32 v14, v0
	v_cvt_i32_f32_sdwa v15, v1 dst_sel:BYTE_1 dst_unused:UNUSED_PAD src0_sel:DWORD
	;;#ASMSTART
	v_pk_mul_f32 v[0:1], v[4:5], v[22:23]
	;;#ASMEND
	v_cvt_i32_f32_e32 v4, v0
	v_cvt_i32_f32_sdwa v1, v1 dst_sel:BYTE_1 dst_unused:UNUSED_PAD src0_sel:DWORD
	v_or_b32_sdwa v0, v24, v25 dst_sel:DWORD dst_unused:UNUSED_PAD src0_sel:BYTE_0 src1_sel:DWORD
	v_or_b32_sdwa v5, v12, v13 dst_sel:WORD_1 dst_unused:UNUSED_PAD src0_sel:BYTE_0 src1_sel:DWORD
	s_addc_u32 s5, s17, s5
	v_or_b32_sdwa v0, v0, v5 dst_sel:DWORD dst_unused:UNUSED_PAD src0_sel:WORD_0 src1_sel:DWORD
	v_or_b32_sdwa v5, v14, v15 dst_sel:DWORD dst_unused:UNUSED_PAD src0_sel:BYTE_0 src1_sel:DWORD
	v_or_b32_sdwa v1, v4, v1 dst_sel:WORD_1 dst_unused:UNUSED_PAD src0_sel:BYTE_0 src1_sel:DWORD
	s_and_b32 s5, s5, 0xffff
	s_mov_b32 s7, s15
	v_or_b32_sdwa v1, v5, v1 dst_sel:DWORD dst_unused:UNUSED_PAD src0_sel:WORD_0 src1_sel:DWORD
	buffer_store_dwordx2 v[0:1], v17, s[4:7], 0 offen
	;;#ASMSTART
	s_nop 0
	;;#ASMEND
	s_branch .LBB192_2
.LBB192_11:
	s_endpgm
	.section	.rodata,"a",@progbits
	.p2align	6, 0x0
	.amdhsa_kernel _ZN5aiter43moe_smooth_per_token_scaled_quant_kernel_v1IDF16_aLi256ELi8ELb0ELb0ELi1024EEEvPT0_PfPT_S3_PiS6_iiiii
		.amdhsa_group_segment_fixed_size 16
		.amdhsa_private_segment_fixed_size 0
		.amdhsa_kernarg_size 68
		.amdhsa_user_sgpr_count 6
		.amdhsa_user_sgpr_private_segment_buffer 1
		.amdhsa_user_sgpr_dispatch_ptr 0
		.amdhsa_user_sgpr_queue_ptr 0
		.amdhsa_user_sgpr_kernarg_segment_ptr 1
		.amdhsa_user_sgpr_dispatch_id 0
		.amdhsa_user_sgpr_flat_scratch_init 0
		.amdhsa_user_sgpr_kernarg_preload_length 0
		.amdhsa_user_sgpr_kernarg_preload_offset 0
		.amdhsa_user_sgpr_private_segment_size 0
		.amdhsa_uses_dynamic_stack 0
		.amdhsa_system_sgpr_private_segment_wavefront_offset 0
		.amdhsa_system_sgpr_workgroup_id_x 1
		.amdhsa_system_sgpr_workgroup_id_y 0
		.amdhsa_system_sgpr_workgroup_id_z 0
		.amdhsa_system_sgpr_workgroup_info 0
		.amdhsa_system_vgpr_workitem_id 0
		.amdhsa_next_free_vgpr 26
		.amdhsa_next_free_sgpr 26
		.amdhsa_accum_offset 28
		.amdhsa_reserve_vcc 1
		.amdhsa_reserve_flat_scratch 0
		.amdhsa_float_round_mode_32 0
		.amdhsa_float_round_mode_16_64 0
		.amdhsa_float_denorm_mode_32 3
		.amdhsa_float_denorm_mode_16_64 3
		.amdhsa_dx10_clamp 1
		.amdhsa_ieee_mode 1
		.amdhsa_fp16_overflow 0
		.amdhsa_tg_split 0
		.amdhsa_exception_fp_ieee_invalid_op 0
		.amdhsa_exception_fp_denorm_src 0
		.amdhsa_exception_fp_ieee_div_zero 0
		.amdhsa_exception_fp_ieee_overflow 0
		.amdhsa_exception_fp_ieee_underflow 0
		.amdhsa_exception_fp_ieee_inexact 0
		.amdhsa_exception_int_div_zero 0
	.end_amdhsa_kernel
	.section	.text._ZN5aiter43moe_smooth_per_token_scaled_quant_kernel_v1IDF16_aLi256ELi8ELb0ELb0ELi1024EEEvPT0_PfPT_S3_PiS6_iiiii,"axG",@progbits,_ZN5aiter43moe_smooth_per_token_scaled_quant_kernel_v1IDF16_aLi256ELi8ELb0ELb0ELi1024EEEvPT0_PfPT_S3_PiS6_iiiii,comdat
.Lfunc_end192:
	.size	_ZN5aiter43moe_smooth_per_token_scaled_quant_kernel_v1IDF16_aLi256ELi8ELb0ELb0ELi1024EEEvPT0_PfPT_S3_PiS6_iiiii, .Lfunc_end192-_ZN5aiter43moe_smooth_per_token_scaled_quant_kernel_v1IDF16_aLi256ELi8ELb0ELb0ELi1024EEEvPT0_PfPT_S3_PiS6_iiiii
                                        ; -- End function
	.section	.AMDGPU.csdata,"",@progbits
; Kernel info:
; codeLenInByte = 984
; NumSgprs: 30
; NumVgprs: 26
; NumAgprs: 0
; TotalNumVgprs: 26
; ScratchSize: 0
; MemoryBound: 0
; FloatMode: 240
; IeeeMode: 1
; LDSByteSize: 16 bytes/workgroup (compile time only)
; SGPRBlocks: 3
; VGPRBlocks: 3
; NumSGPRsForWavesPerEU: 30
; NumVGPRsForWavesPerEU: 26
; AccumOffset: 28
; Occupancy: 8
; WaveLimiterHint : 0
; COMPUTE_PGM_RSRC2:SCRATCH_EN: 0
; COMPUTE_PGM_RSRC2:USER_SGPR: 6
; COMPUTE_PGM_RSRC2:TRAP_HANDLER: 0
; COMPUTE_PGM_RSRC2:TGID_X_EN: 1
; COMPUTE_PGM_RSRC2:TGID_Y_EN: 0
; COMPUTE_PGM_RSRC2:TGID_Z_EN: 0
; COMPUTE_PGM_RSRC2:TIDIG_COMP_CNT: 0
; COMPUTE_PGM_RSRC3_GFX90A:ACCUM_OFFSET: 6
; COMPUTE_PGM_RSRC3_GFX90A:TG_SPLIT: 0
	.section	.text._ZN5aiter43moe_smooth_per_token_scaled_quant_kernel_v1ItaLi256ELi8ELb0ELb0ELi1024EEEvPT0_PfPT_S3_PiS6_iiiii,"axG",@progbits,_ZN5aiter43moe_smooth_per_token_scaled_quant_kernel_v1ItaLi256ELi8ELb0ELb0ELi1024EEEvPT0_PfPT_S3_PiS6_iiiii,comdat
	.protected	_ZN5aiter43moe_smooth_per_token_scaled_quant_kernel_v1ItaLi256ELi8ELb0ELb0ELi1024EEEvPT0_PfPT_S3_PiS6_iiiii ; -- Begin function _ZN5aiter43moe_smooth_per_token_scaled_quant_kernel_v1ItaLi256ELi8ELb0ELb0ELi1024EEEvPT0_PfPT_S3_PiS6_iiiii
	.globl	_ZN5aiter43moe_smooth_per_token_scaled_quant_kernel_v1ItaLi256ELi8ELb0ELb0ELi1024EEEvPT0_PfPT_S3_PiS6_iiiii
	.p2align	8
	.type	_ZN5aiter43moe_smooth_per_token_scaled_quant_kernel_v1ItaLi256ELi8ELb0ELb0ELi1024EEEvPT0_PfPT_S3_PiS6_iiiii,@function
_ZN5aiter43moe_smooth_per_token_scaled_quant_kernel_v1ItaLi256ELi8ELb0ELb0ELi1024EEEvPT0_PfPT_S3_PiS6_iiiii: ; @_ZN5aiter43moe_smooth_per_token_scaled_quant_kernel_v1ItaLi256ELi8ELb0ELb0ELi1024EEEvPT0_PfPT_S3_PiS6_iiiii
; %bb.0:
	s_load_dwordx4 s[8:11], s[4:5], 0x34
	s_load_dwordx2 s[0:1], s[4:5], 0x10
	s_load_dwordx2 s[2:3], s[4:5], 0x20
	v_and_b32_e32 v1, 63, v0
	s_mov_b32 s15, 0x20000
	s_waitcnt lgkmcnt(0)
	s_mul_i32 s20, s6, s8
	s_ashr_i32 s21, s20, 31
	s_lshl_b64 s[12:13], s[20:21], 2
	s_add_u32 s12, s2, s12
	s_addc_u32 s2, s3, s13
	s_and_b32 s13, s2, 0xffff
	s_mul_hi_i32 s3, s10, s6
	s_mul_i32 s2, s10, s6
	s_lshl_b32 s14, s8, 2
	v_lshlrev_b32_e32 v2, 2, v1
	s_lshl_b64 s[2:3], s[2:3], 1
	buffer_load_dword v16, v2, s[12:15], 0 offen
	s_add_u32 s12, s0, s2
	s_addc_u32 s0, s1, s3
	s_lshl_b32 s14, s9, 1
	s_and_b32 s13, s0, 0xffff
	v_lshlrev_b32_e32 v2, 4, v0
	buffer_load_dwordx4 v[2:5], v2, s[12:15], 0 offen
	s_mov_b32 s21, 0
	s_cmp_lt_i32 s8, 1
	s_waitcnt vmcnt(1)
	s_barrier
	s_cbranch_scc1 .LBB193_11
; %bb.1:
	s_add_i32 s2, s9, 7
	s_load_dwordx4 s[16:19], s[4:5], 0x0
	s_load_dwordx2 s[10:11], s[4:5], 0x18
	s_ashr_i32 s3, s2, 31
	s_add_i32 s4, s9, 3
	s_waitcnt vmcnt(0)
	v_cvt_f32_u32_sdwa v7, v2 dst_sel:DWORD dst_unused:UNUSED_PAD src0_sel:WORD_1
	v_cvt_f32_u32_sdwa v6, v2 dst_sel:DWORD dst_unused:UNUSED_PAD src0_sel:WORD_0
	v_cvt_f32_u32_sdwa v9, v3 dst_sel:DWORD dst_unused:UNUSED_PAD src0_sel:WORD_1
	v_cvt_f32_u32_sdwa v8, v3 dst_sel:DWORD dst_unused:UNUSED_PAD src0_sel:WORD_0
	;; [unrolled: 2-line block ×4, first 2 shown]
	s_lshr_b32 s3, s3, 29
	s_ashr_i32 s5, s4, 31
	v_cmp_eq_u32_e32 vcc, 63, v1
	v_lshrrev_b32_e32 v1, 4, v0
	s_add_i32 s2, s2, s3
	s_lshr_b32 s5, s5, 30
	v_and_b32_e32 v19, 60, v1
	v_and_b32_e32 v1, 3, v0
	s_ashr_i32 s2, s2, 3
	s_add_i32 s4, s4, s5
	s_mov_b32 s22, s9
	v_lshlrev_b32_e32 v17, 3, v0
	s_lshl_b32 s14, s9, 2
	v_lshlrev_b32_e32 v18, 5, v0
	v_lshlrev_b32_e32 v20, 2, v1
	v_cmp_eq_u32_e64 s[0:1], 0, v0
	v_cmp_gt_u32_e64 s[2:3], s2, v0
	s_and_b32 s6, s4, -4
	s_mov_b32 s9, 0x2edbe6ff
	v_mov_b32_e32 v21, 0
	s_branch .LBB193_4
.LBB193_2:                              ;   in Loop: Header=BB193_4 Depth=1
	s_or_b64 exec, exec, s[12:13]
.LBB193_3:                              ;   in Loop: Header=BB193_4 Depth=1
	s_add_i32 s21, s21, 1
	s_cmp_eq_u32 s8, s21
	s_cbranch_scc1 .LBB193_11
.LBB193_4:                              ; =>This Inner Loop Header: Depth=1
	v_readlane_b32 s4, v16, s21
	s_cmp_lt_i32 s4, 0
	s_cbranch_scc1 .LBB193_3
; %bb.5:                                ;   in Loop: Header=BB193_4 Depth=1
	s_mul_i32 s4, s4, s22
	s_ashr_i32 s5, s4, 31
	s_lshl_b64 s[4:5], s[4:5], 2
	s_waitcnt lgkmcnt(0)
	s_add_u32 s12, s10, s4
	s_addc_u32 s4, s11, s5
	s_and_b32 s13, s4, 0xffff
	buffer_load_dwordx4 v[12:15], v18, s[12:15], 0 offen
	buffer_load_dwordx4 v[22:25], v18, s[12:15], 16 offen
	s_waitcnt vmcnt(1)
	v_pk_mul_f32 v[12:13], v[12:13], v[6:7]
	v_pk_mul_f32 v[14:15], v[14:15], v[8:9]
	s_waitcnt vmcnt(0)
	v_pk_mul_f32 v[0:1], v[22:23], v[2:3]
	v_max3_f32 v22, |v12|, s9, |v13|
	v_max3_f32 v22, v22, |v14|, |v15|
	v_pk_mul_f32 v[4:5], v[24:25], v[10:11]
	v_max3_f32 v22, v22, |v0|, |v1|
	v_max3_f32 v22, v22, |v4|, |v5|
	s_nop 1
	v_mov_b32_dpp v23, v22 quad_perm:[1,0,3,2] row_mask:0xf bank_mask:0xf
	v_cmp_gt_f32_e64 s[4:5], v22, v23
	v_cndmask_b32_e64 v22, v23, v22, s[4:5]
	s_nop 1
	v_mov_b32_dpp v23, v22 quad_perm:[2,3,0,1] row_mask:0xf bank_mask:0xf
	v_cmp_gt_f32_e64 s[4:5], v22, v23
	v_cndmask_b32_e64 v22, v23, v22, s[4:5]
	s_nop 1
	v_mov_b32_dpp v23, v22 row_half_mirror row_mask:0xf bank_mask:0xf
	v_cmp_gt_f32_e64 s[4:5], v22, v23
	v_cndmask_b32_e64 v22, v23, v22, s[4:5]
	s_nop 1
	v_mov_b32_dpp v23, v22 row_mirror row_mask:0xf bank_mask:0xf
	v_cmp_gt_f32_e64 s[4:5], v22, v23
	v_cndmask_b32_e64 v22, v23, v22, s[4:5]
	s_nop 1
	v_mov_b32_dpp v23, v22 row_bcast:15 row_mask:0xf bank_mask:0xf
	v_cmp_gt_f32_e64 s[4:5], v22, v23
	v_cndmask_b32_e64 v22, v23, v22, s[4:5]
	s_nop 1
	v_mov_b32_dpp v23, v22 row_bcast:31 row_mask:0xf bank_mask:0xf
	s_and_saveexec_b64 s[12:13], vcc
	s_cbranch_execz .LBB193_7
; %bb.6:                                ;   in Loop: Header=BB193_4 Depth=1
	v_cmp_gt_f32_e64 s[4:5], v22, v23
	v_cndmask_b32_e64 v22, v23, v22, s[4:5]
	ds_write_b32 v19, v22
.LBB193_7:                              ;   in Loop: Header=BB193_4 Depth=1
	s_or_b64 exec, exec, s[12:13]
	s_waitcnt lgkmcnt(0)
	s_barrier
	ds_read_b32 v22, v20
	s_waitcnt lgkmcnt(0)
	s_nop 0
	v_mov_b32_dpp v23, v22 quad_perm:[1,0,3,2] row_mask:0xf bank_mask:0xf
	v_cmp_gt_f32_e64 s[4:5], v22, v23
	v_cndmask_b32_e64 v22, v23, v22, s[4:5]
	s_nop 1
	v_mov_b32_dpp v23, v22 quad_perm:[2,3,0,1] row_mask:0xf bank_mask:0xf
	v_cmp_gt_f32_e64 s[4:5], v22, v23
	v_cndmask_b32_e64 v22, v23, v22, s[4:5]
	v_mul_f32_e32 v22, 0x3c010204, v22
	s_add_i32 s4, s20, s21
	s_and_saveexec_b64 s[12:13], s[0:1]
	s_cbranch_execz .LBB193_9
; %bb.8:                                ;   in Loop: Header=BB193_4 Depth=1
	s_ashr_i32 s5, s4, 31
	s_lshl_b64 s[24:25], s[4:5], 2
	s_add_u32 s24, s18, s24
	s_addc_u32 s25, s19, s25
	global_store_dword v21, v22, s[24:25]
.LBB193_9:                              ;   in Loop: Header=BB193_4 Depth=1
	s_or_b64 exec, exec, s[12:13]
	s_and_saveexec_b64 s[12:13], s[2:3]
	s_cbranch_execz .LBB193_2
; %bb.10:                               ;   in Loop: Header=BB193_4 Depth=1
	v_rcp_f32_e32 v22, v22
	s_mul_hi_i32 s5, s4, s22
	s_mul_i32 s4, s4, s22
	s_add_u32 s4, s16, s4
	v_mov_b32_e32 v23, v22
	;;#ASMSTART
	v_pk_mul_f32 v[12:13], v[12:13], v[22:23]
	;;#ASMEND
	v_cvt_i32_f32_e32 v24, v12
	v_cvt_i32_f32_sdwa v25, v13 dst_sel:BYTE_1 dst_unused:UNUSED_PAD src0_sel:DWORD
	;;#ASMSTART
	v_pk_mul_f32 v[12:13], v[14:15], v[22:23]
	;;#ASMEND
	;;#ASMSTART
	v_pk_mul_f32 v[0:1], v[0:1], v[22:23]
	;;#ASMEND
	v_cvt_i32_f32_e32 v12, v12
	v_cvt_i32_f32_sdwa v13, v13 dst_sel:BYTE_1 dst_unused:UNUSED_PAD src0_sel:DWORD
	v_cvt_i32_f32_e32 v14, v0
	v_cvt_i32_f32_sdwa v15, v1 dst_sel:BYTE_1 dst_unused:UNUSED_PAD src0_sel:DWORD
	;;#ASMSTART
	v_pk_mul_f32 v[0:1], v[4:5], v[22:23]
	;;#ASMEND
	v_cvt_i32_f32_e32 v4, v0
	v_cvt_i32_f32_sdwa v1, v1 dst_sel:BYTE_1 dst_unused:UNUSED_PAD src0_sel:DWORD
	v_or_b32_sdwa v0, v24, v25 dst_sel:DWORD dst_unused:UNUSED_PAD src0_sel:BYTE_0 src1_sel:DWORD
	v_or_b32_sdwa v5, v12, v13 dst_sel:WORD_1 dst_unused:UNUSED_PAD src0_sel:BYTE_0 src1_sel:DWORD
	s_addc_u32 s5, s17, s5
	v_or_b32_sdwa v0, v0, v5 dst_sel:DWORD dst_unused:UNUSED_PAD src0_sel:WORD_0 src1_sel:DWORD
	v_or_b32_sdwa v5, v14, v15 dst_sel:DWORD dst_unused:UNUSED_PAD src0_sel:BYTE_0 src1_sel:DWORD
	v_or_b32_sdwa v1, v4, v1 dst_sel:WORD_1 dst_unused:UNUSED_PAD src0_sel:BYTE_0 src1_sel:DWORD
	s_and_b32 s5, s5, 0xffff
	s_mov_b32 s7, s15
	v_or_b32_sdwa v1, v5, v1 dst_sel:DWORD dst_unused:UNUSED_PAD src0_sel:WORD_0 src1_sel:DWORD
	buffer_store_dwordx2 v[0:1], v17, s[4:7], 0 offen
	;;#ASMSTART
	s_nop 0
	;;#ASMEND
	s_branch .LBB193_2
.LBB193_11:
	s_endpgm
	.section	.rodata,"a",@progbits
	.p2align	6, 0x0
	.amdhsa_kernel _ZN5aiter43moe_smooth_per_token_scaled_quant_kernel_v1ItaLi256ELi8ELb0ELb0ELi1024EEEvPT0_PfPT_S3_PiS6_iiiii
		.amdhsa_group_segment_fixed_size 16
		.amdhsa_private_segment_fixed_size 0
		.amdhsa_kernarg_size 68
		.amdhsa_user_sgpr_count 6
		.amdhsa_user_sgpr_private_segment_buffer 1
		.amdhsa_user_sgpr_dispatch_ptr 0
		.amdhsa_user_sgpr_queue_ptr 0
		.amdhsa_user_sgpr_kernarg_segment_ptr 1
		.amdhsa_user_sgpr_dispatch_id 0
		.amdhsa_user_sgpr_flat_scratch_init 0
		.amdhsa_user_sgpr_kernarg_preload_length 0
		.amdhsa_user_sgpr_kernarg_preload_offset 0
		.amdhsa_user_sgpr_private_segment_size 0
		.amdhsa_uses_dynamic_stack 0
		.amdhsa_system_sgpr_private_segment_wavefront_offset 0
		.amdhsa_system_sgpr_workgroup_id_x 1
		.amdhsa_system_sgpr_workgroup_id_y 0
		.amdhsa_system_sgpr_workgroup_id_z 0
		.amdhsa_system_sgpr_workgroup_info 0
		.amdhsa_system_vgpr_workitem_id 0
		.amdhsa_next_free_vgpr 26
		.amdhsa_next_free_sgpr 26
		.amdhsa_accum_offset 28
		.amdhsa_reserve_vcc 1
		.amdhsa_reserve_flat_scratch 0
		.amdhsa_float_round_mode_32 0
		.amdhsa_float_round_mode_16_64 0
		.amdhsa_float_denorm_mode_32 3
		.amdhsa_float_denorm_mode_16_64 3
		.amdhsa_dx10_clamp 1
		.amdhsa_ieee_mode 1
		.amdhsa_fp16_overflow 0
		.amdhsa_tg_split 0
		.amdhsa_exception_fp_ieee_invalid_op 0
		.amdhsa_exception_fp_denorm_src 0
		.amdhsa_exception_fp_ieee_div_zero 0
		.amdhsa_exception_fp_ieee_overflow 0
		.amdhsa_exception_fp_ieee_underflow 0
		.amdhsa_exception_fp_ieee_inexact 0
		.amdhsa_exception_int_div_zero 0
	.end_amdhsa_kernel
	.section	.text._ZN5aiter43moe_smooth_per_token_scaled_quant_kernel_v1ItaLi256ELi8ELb0ELb0ELi1024EEEvPT0_PfPT_S3_PiS6_iiiii,"axG",@progbits,_ZN5aiter43moe_smooth_per_token_scaled_quant_kernel_v1ItaLi256ELi8ELb0ELb0ELi1024EEEvPT0_PfPT_S3_PiS6_iiiii,comdat
.Lfunc_end193:
	.size	_ZN5aiter43moe_smooth_per_token_scaled_quant_kernel_v1ItaLi256ELi8ELb0ELb0ELi1024EEEvPT0_PfPT_S3_PiS6_iiiii, .Lfunc_end193-_ZN5aiter43moe_smooth_per_token_scaled_quant_kernel_v1ItaLi256ELi8ELb0ELb0ELi1024EEEvPT0_PfPT_S3_PiS6_iiiii
                                        ; -- End function
	.section	.AMDGPU.csdata,"",@progbits
; Kernel info:
; codeLenInByte = 1000
; NumSgprs: 30
; NumVgprs: 26
; NumAgprs: 0
; TotalNumVgprs: 26
; ScratchSize: 0
; MemoryBound: 0
; FloatMode: 240
; IeeeMode: 1
; LDSByteSize: 16 bytes/workgroup (compile time only)
; SGPRBlocks: 3
; VGPRBlocks: 3
; NumSGPRsForWavesPerEU: 30
; NumVGPRsForWavesPerEU: 26
; AccumOffset: 28
; Occupancy: 8
; WaveLimiterHint : 0
; COMPUTE_PGM_RSRC2:SCRATCH_EN: 0
; COMPUTE_PGM_RSRC2:USER_SGPR: 6
; COMPUTE_PGM_RSRC2:TRAP_HANDLER: 0
; COMPUTE_PGM_RSRC2:TGID_X_EN: 1
; COMPUTE_PGM_RSRC2:TGID_Y_EN: 0
; COMPUTE_PGM_RSRC2:TGID_Z_EN: 0
; COMPUTE_PGM_RSRC2:TIDIG_COMP_CNT: 0
; COMPUTE_PGM_RSRC3_GFX90A:ACCUM_OFFSET: 6
; COMPUTE_PGM_RSRC3_GFX90A:TG_SPLIT: 0
	.section	.text._ZN5aiter43moe_smooth_per_token_scaled_quant_kernel_v1IDF16_aLi256ELi16ELb1ELb1ELi1024EEEvPT0_PfPT_S3_PiS6_iiiii,"axG",@progbits,_ZN5aiter43moe_smooth_per_token_scaled_quant_kernel_v1IDF16_aLi256ELi16ELb1ELb1ELi1024EEEvPT0_PfPT_S3_PiS6_iiiii,comdat
	.protected	_ZN5aiter43moe_smooth_per_token_scaled_quant_kernel_v1IDF16_aLi256ELi16ELb1ELb1ELi1024EEEvPT0_PfPT_S3_PiS6_iiiii ; -- Begin function _ZN5aiter43moe_smooth_per_token_scaled_quant_kernel_v1IDF16_aLi256ELi16ELb1ELb1ELi1024EEEvPT0_PfPT_S3_PiS6_iiiii
	.globl	_ZN5aiter43moe_smooth_per_token_scaled_quant_kernel_v1IDF16_aLi256ELi16ELb1ELb1ELi1024EEEvPT0_PfPT_S3_PiS6_iiiii
	.p2align	8
	.type	_ZN5aiter43moe_smooth_per_token_scaled_quant_kernel_v1IDF16_aLi256ELi16ELb1ELb1ELi1024EEEvPT0_PfPT_S3_PiS6_iiiii,@function
_ZN5aiter43moe_smooth_per_token_scaled_quant_kernel_v1IDF16_aLi256ELi16ELb1ELb1ELi1024EEEvPT0_PfPT_S3_PiS6_iiiii: ; @_ZN5aiter43moe_smooth_per_token_scaled_quant_kernel_v1IDF16_aLi256ELi16ELb1ELb1ELi1024EEEvPT0_PfPT_S3_PiS6_iiiii
; %bb.0:
	s_load_dword s7, s[4:5], 0x40
	s_load_dwordx8 s[8:15], s[4:5], 0x20
	s_load_dwordx2 s[16:17], s[4:5], 0x10
	v_and_b32_e32 v1, 0x3c0, v0
	v_lshlrev_b32_e32 v1, 2, v1
	v_lshlrev_b32_e32 v2, 2, v0
	s_waitcnt lgkmcnt(0)
	s_mov_b32 s0, s10
	v_readfirstlane_b32 s10, v1
	v_add_u32_e32 v3, 0x400, v1
	s_lshl_b32 s2, s7, 2
	s_and_b32 s1, s11, 0xffff
	s_mov_b32 s3, 0x20000
	;;#ASMSTART
	s_mov_b32 m0 s10
	buffer_load_dword v2, s[0:3], 0 offen offset:0 lds
	
	;;#ASMEND
	v_readfirstlane_b32 s10, v3
	v_add_u32_e32 v3, 0x400, v2
	;;#ASMSTART
	s_mov_b32 m0 s10
	buffer_load_dword v3, s[0:3], 0 offen offset:0 lds
	
	;;#ASMEND
	v_add_u32_e32 v3, 0x800, v1
	v_readfirstlane_b32 s10, v3
	v_add_u32_e32 v3, 0x800, v2
	;;#ASMSTART
	s_mov_b32 m0 s10
	buffer_load_dword v3, s[0:3], 0 offen offset:0 lds
	
	;;#ASMEND
	v_add_u32_e32 v1, 0xc00, v1
	v_readfirstlane_b32 s10, v1
	v_add_u32_e32 v1, 0xc00, v2
	;;#ASMSTART
	s_mov_b32 m0 s10
	buffer_load_dword v1, s[0:3], 0 offen offset:0 lds
	
	;;#ASMEND
	s_mul_i32 s0, s6, s13
	s_ashr_i32 s1, s0, 31
	s_lshl_b64 s[0:1], s[0:1], 2
	s_add_u32 s0, s8, s0
	v_and_b32_e32 v1, 63, v0
	s_addc_u32 s1, s9, s1
	s_lshl_b32 s2, s13, 2
	s_and_b32 s1, s1, 0xffff
	v_lshlrev_b32_e32 v2, 2, v1
	buffer_load_dword v32, v2, s[0:3], 0 offen
	s_mul_hi_i32 s1, s15, s6
	s_mul_i32 s0, s15, s6
	s_lshl_b64 s[0:1], s[0:1], 1
	s_add_u32 s0, s16, s0
	s_addc_u32 s1, s17, s1
	s_lshl_b32 s2, s14, 1
	s_and_b32 s1, s1, 0xffff
	v_lshlrev_b32_e32 v10, 5, v0
	buffer_load_dwordx4 v[6:9], v10, s[0:3], 0 offen
	buffer_load_dwordx4 v[2:5], v10, s[0:3], 16 offen
	v_cmp_gt_i32_e32 vcc, s13, v1
	s_waitcnt vmcnt(2)
	s_barrier
	v_cmp_gt_i32_e64 s[2:3], s7, v32
	v_cmp_lt_i32_e64 s[0:1], -1, v32
	s_and_b64 s[2:3], vcc, s[2:3]
	s_and_b64 s[2:3], s[2:3], s[0:1]
	s_and_saveexec_b64 s[0:1], s[2:3]
	s_cbranch_execz .LBB194_2
; %bb.1:
	v_lshlrev_b32_e32 v10, 2, v32
	ds_read_b32 v32, v10
.LBB194_2:
	s_or_b64 exec, exec, s[0:1]
	s_cmp_lt_i32 s13, 1
	s_cbranch_scc1 .LBB194_13
; %bb.3:
	s_add_i32 s2, s14, 15
	s_load_dwordx4 s[8:11], s[4:5], 0x0
	s_load_dwordx2 s[24:25], s[4:5], 0x18
	s_ashr_i32 s3, s2, 31
	s_add_i32 s4, s14, 3
	s_waitcnt vmcnt(1)
	v_cvt_f32_f16_sdwa v11, v6 dst_sel:DWORD dst_unused:UNUSED_PAD src0_sel:WORD_1
	v_cvt_f32_f16_e32 v10, v6
	v_cvt_f32_f16_sdwa v13, v7 dst_sel:DWORD dst_unused:UNUSED_PAD src0_sel:WORD_1
	v_cvt_f32_f16_e32 v12, v7
	;; [unrolled: 2-line block ×4, first 2 shown]
	s_waitcnt vmcnt(0)
	v_cvt_f32_f16_sdwa v9, v2 dst_sel:DWORD dst_unused:UNUSED_PAD src0_sel:WORD_1
	v_cvt_f32_f16_e32 v8, v2
	v_cvt_f32_f16_sdwa v17, v3 dst_sel:DWORD dst_unused:UNUSED_PAD src0_sel:WORD_1
	v_cvt_f32_f16_e32 v16, v3
	;; [unrolled: 2-line block ×4, first 2 shown]
	s_lshr_b32 s3, s3, 28
	s_ashr_i32 s5, s4, 31
	v_cmp_eq_u32_e32 vcc, 63, v1
	v_lshrrev_b32_e32 v1, 4, v0
	v_mov_b32_e32 v4, 0x1000
	s_add_i32 s2, s2, s3
	s_lshr_b32 s5, s5, 30
	v_and_or_b32 v35, v1, 60, v4
	v_and_b32_e32 v1, 3, v0
	s_ashr_i32 s2, s2, 4
	s_add_i32 s4, s4, s5
	v_lshlrev_b32_e32 v33, 4, v0
	s_lshl_b32 s18, s14, 2
	v_lshlrev_b32_e32 v34, 6, v0
	v_lshl_or_b32 v36, v1, 2, v4
	s_mov_b32 s15, 0
	v_cmp_eq_u32_e64 s[0:1], 0, v0
	v_cmp_gt_u32_e64 s[2:3], s2, v0
	s_and_b32 s22, s4, -4
	s_mov_b32 s19, 0x20000
	s_mov_b32 s26, 0x2edbe6ff
	v_mov_b32_e32 v37, 0
	s_branch .LBB194_6
.LBB194_4:                              ;   in Loop: Header=BB194_6 Depth=1
	s_or_b64 exec, exec, s[4:5]
.LBB194_5:                              ;   in Loop: Header=BB194_6 Depth=1
	s_add_i32 s15, s15, 1
	s_add_i32 s6, s6, s12
	s_cmp_eq_u32 s13, s15
	s_cbranch_scc1 .LBB194_13
.LBB194_6:                              ; =>This Inner Loop Header: Depth=1
	s_waitcnt lgkmcnt(0)
	v_readlane_b32 s4, v32, s15
	s_cmp_lt_i32 s4, 0
	s_cbranch_scc1 .LBB194_5
; %bb.7:                                ;   in Loop: Header=BB194_6 Depth=1
	s_mul_i32 s4, s4, s14
	s_ashr_i32 s5, s4, 31
	s_lshl_b64 s[4:5], s[4:5], 2
	s_add_u32 s16, s24, s4
	s_addc_u32 s4, s25, s5
	s_and_b32 s17, s4, 0xffff
	buffer_load_dwordx4 v[20:23], v34, s[16:19], 0 offen
	buffer_load_dwordx4 v[24:27], v34, s[16:19], 16 offen
	;; [unrolled: 1-line block ×4, first 2 shown]
	s_waitcnt vmcnt(3)
	v_pk_mul_f32 v[28:29], v[20:21], v[10:11]
	v_pk_mul_f32 v[30:31], v[22:23], v[12:13]
	s_waitcnt vmcnt(1)
	v_pk_mul_f32 v[20:21], v[38:39], v[8:9]
	v_max3_f32 v38, |v28|, s26, |v29|
	v_pk_mul_f32 v[24:25], v[24:25], v[6:7]
	v_max3_f32 v38, v38, |v30|, |v31|
	v_pk_mul_f32 v[26:27], v[26:27], v[14:15]
	v_max3_f32 v38, v38, |v24|, |v25|
	v_max3_f32 v38, v38, |v26|, |v27|
	v_pk_mul_f32 v[22:23], v[40:41], v[16:17]
	v_max3_f32 v38, v38, |v20|, |v21|
	s_waitcnt vmcnt(0)
	v_pk_mul_f32 v[0:1], v[42:43], v[2:3]
	v_max3_f32 v38, v38, |v22|, |v23|
	v_pk_mul_f32 v[4:5], v[44:45], v[18:19]
	v_max3_f32 v38, v38, |v0|, |v1|
	v_max3_f32 v38, v38, |v4|, |v5|
	s_nop 1
	v_mov_b32_dpp v39, v38 quad_perm:[1,0,3,2] row_mask:0xf bank_mask:0xf
	v_cmp_gt_f32_e64 s[4:5], v38, v39
	v_cndmask_b32_e64 v38, v39, v38, s[4:5]
	s_nop 1
	v_mov_b32_dpp v39, v38 quad_perm:[2,3,0,1] row_mask:0xf bank_mask:0xf
	v_cmp_gt_f32_e64 s[4:5], v38, v39
	v_cndmask_b32_e64 v38, v39, v38, s[4:5]
	s_nop 1
	v_mov_b32_dpp v39, v38 row_half_mirror row_mask:0xf bank_mask:0xf
	v_cmp_gt_f32_e64 s[4:5], v38, v39
	v_cndmask_b32_e64 v38, v39, v38, s[4:5]
	s_nop 1
	v_mov_b32_dpp v39, v38 row_mirror row_mask:0xf bank_mask:0xf
	v_cmp_gt_f32_e64 s[4:5], v38, v39
	v_cndmask_b32_e64 v38, v39, v38, s[4:5]
	s_nop 1
	v_mov_b32_dpp v39, v38 row_bcast:15 row_mask:0xf bank_mask:0xf
	v_cmp_gt_f32_e64 s[4:5], v38, v39
	v_cndmask_b32_e64 v38, v39, v38, s[4:5]
	s_nop 1
	v_mov_b32_dpp v39, v38 row_bcast:31 row_mask:0xf bank_mask:0xf
	s_and_saveexec_b64 s[16:17], vcc
	s_cbranch_execz .LBB194_9
; %bb.8:                                ;   in Loop: Header=BB194_6 Depth=1
	v_cmp_gt_f32_e64 s[4:5], v38, v39
	v_cndmask_b32_e64 v38, v39, v38, s[4:5]
	ds_write_b32 v35, v38
.LBB194_9:                              ;   in Loop: Header=BB194_6 Depth=1
	s_or_b64 exec, exec, s[16:17]
	s_waitcnt lgkmcnt(0)
	s_barrier
	ds_read_b32 v38, v36
	s_waitcnt lgkmcnt(0)
	s_nop 0
	v_mov_b32_dpp v39, v38 quad_perm:[1,0,3,2] row_mask:0xf bank_mask:0xf
	v_cmp_gt_f32_e64 s[4:5], v38, v39
	v_cndmask_b32_e64 v38, v39, v38, s[4:5]
	s_nop 1
	v_mov_b32_dpp v39, v38 quad_perm:[2,3,0,1] row_mask:0xf bank_mask:0xf
	v_cmp_gt_f32_e64 s[4:5], v38, v39
	v_cndmask_b32_e64 v38, v39, v38, s[4:5]
	v_mul_f32_e32 v38, 0x3c010204, v38
	s_and_saveexec_b64 s[4:5], s[0:1]
	s_cbranch_execz .LBB194_11
; %bb.10:                               ;   in Loop: Header=BB194_6 Depth=1
	s_ashr_i32 s7, s6, 31
	s_lshl_b64 s[16:17], s[6:7], 2
	s_add_u32 s16, s10, s16
	s_addc_u32 s17, s11, s17
	global_store_dword v37, v38, s[16:17]
.LBB194_11:                             ;   in Loop: Header=BB194_6 Depth=1
	s_or_b64 exec, exec, s[4:5]
	s_and_saveexec_b64 s[4:5], s[2:3]
	s_cbranch_execz .LBB194_4
; %bb.12:                               ;   in Loop: Header=BB194_6 Depth=1
	v_rcp_f32_e32 v38, v38
	s_mul_i32 s16, s6, s14
	s_mul_hi_i32 s7, s6, s14
	s_add_u32 s20, s8, s16
	v_mov_b32_e32 v39, v38
	;;#ASMSTART
	v_pk_mul_f32 v[28:29], v[28:29], v[38:39]
	;;#ASMEND
	v_cvt_i32_f32_e32 v40, v28
	v_cvt_i32_f32_sdwa v41, v29 dst_sel:BYTE_1 dst_unused:UNUSED_PAD src0_sel:DWORD
	;;#ASMSTART
	v_pk_mul_f32 v[28:29], v[30:31], v[38:39]
	;;#ASMEND
	;;#ASMSTART
	v_pk_mul_f32 v[24:25], v[24:25], v[38:39]
	;;#ASMEND
	v_cvt_i32_f32_e32 v28, v28
	v_cvt_i32_f32_sdwa v29, v29 dst_sel:BYTE_1 dst_unused:UNUSED_PAD src0_sel:DWORD
	v_cvt_i32_f32_e32 v30, v24
	v_cvt_i32_f32_sdwa v31, v25 dst_sel:BYTE_1 dst_unused:UNUSED_PAD src0_sel:DWORD
	;;#ASMSTART
	v_pk_mul_f32 v[24:25], v[26:27], v[38:39]
	;;#ASMEND
	;;#ASMSTART
	v_pk_mul_f32 v[20:21], v[20:21], v[38:39]
	;;#ASMEND
	v_cvt_i32_f32_e32 v24, v24
	v_cvt_i32_f32_sdwa v25, v25 dst_sel:BYTE_1 dst_unused:UNUSED_PAD src0_sel:DWORD
	;; [unrolled: 10-line block ×3, first 2 shown]
	v_cvt_i32_f32_e32 v42, v0
	v_cvt_i32_f32_sdwa v43, v1 dst_sel:BYTE_1 dst_unused:UNUSED_PAD src0_sel:DWORD
	;;#ASMSTART
	v_pk_mul_f32 v[0:1], v[4:5], v[38:39]
	;;#ASMEND
	v_cvt_i32_f32_e32 v0, v0
	v_cvt_i32_f32_sdwa v1, v1 dst_sel:BYTE_1 dst_unused:UNUSED_PAD src0_sel:DWORD
	v_or_b32_sdwa v4, v40, v41 dst_sel:DWORD dst_unused:UNUSED_PAD src0_sel:BYTE_0 src1_sel:DWORD
	v_or_b32_sdwa v5, v28, v29 dst_sel:WORD_1 dst_unused:UNUSED_PAD src0_sel:BYTE_0 src1_sel:DWORD
	v_or_b32_sdwa v20, v4, v5 dst_sel:DWORD dst_unused:UNUSED_PAD src0_sel:WORD_0 src1_sel:DWORD
	v_or_b32_sdwa v4, v30, v31 dst_sel:DWORD dst_unused:UNUSED_PAD src0_sel:BYTE_0 src1_sel:DWORD
	v_or_b32_sdwa v5, v24, v25 dst_sel:WORD_1 dst_unused:UNUSED_PAD src0_sel:BYTE_0 src1_sel:DWORD
	v_or_b32_sdwa v21, v4, v5 dst_sel:DWORD dst_unused:UNUSED_PAD src0_sel:WORD_0 src1_sel:DWORD
	v_or_b32_sdwa v4, v26, v27 dst_sel:DWORD dst_unused:UNUSED_PAD src0_sel:BYTE_0 src1_sel:DWORD
	v_or_b32_sdwa v5, v22, v23 dst_sel:WORD_1 dst_unused:UNUSED_PAD src0_sel:BYTE_0 src1_sel:DWORD
	s_addc_u32 s7, s9, s7
	v_or_b32_sdwa v22, v4, v5 dst_sel:DWORD dst_unused:UNUSED_PAD src0_sel:WORD_0 src1_sel:DWORD
	v_or_b32_sdwa v4, v42, v43 dst_sel:DWORD dst_unused:UNUSED_PAD src0_sel:BYTE_0 src1_sel:DWORD
	v_or_b32_sdwa v0, v0, v1 dst_sel:WORD_1 dst_unused:UNUSED_PAD src0_sel:BYTE_0 src1_sel:DWORD
	s_and_b32 s21, s7, 0xffff
	s_mov_b32 s23, s19
	v_or_b32_sdwa v23, v4, v0 dst_sel:DWORD dst_unused:UNUSED_PAD src0_sel:WORD_0 src1_sel:DWORD
	buffer_store_dwordx4 v[20:23], v33, s[20:23], 0 offen
	;;#ASMSTART
	s_nop 0
	;;#ASMEND
	s_branch .LBB194_4
.LBB194_13:
	s_endpgm
	.section	.rodata,"a",@progbits
	.p2align	6, 0x0
	.amdhsa_kernel _ZN5aiter43moe_smooth_per_token_scaled_quant_kernel_v1IDF16_aLi256ELi16ELb1ELb1ELi1024EEEvPT0_PfPT_S3_PiS6_iiiii
		.amdhsa_group_segment_fixed_size 4112
		.amdhsa_private_segment_fixed_size 0
		.amdhsa_kernarg_size 68
		.amdhsa_user_sgpr_count 6
		.amdhsa_user_sgpr_private_segment_buffer 1
		.amdhsa_user_sgpr_dispatch_ptr 0
		.amdhsa_user_sgpr_queue_ptr 0
		.amdhsa_user_sgpr_kernarg_segment_ptr 1
		.amdhsa_user_sgpr_dispatch_id 0
		.amdhsa_user_sgpr_flat_scratch_init 0
		.amdhsa_user_sgpr_kernarg_preload_length 0
		.amdhsa_user_sgpr_kernarg_preload_offset 0
		.amdhsa_user_sgpr_private_segment_size 0
		.amdhsa_uses_dynamic_stack 0
		.amdhsa_system_sgpr_private_segment_wavefront_offset 0
		.amdhsa_system_sgpr_workgroup_id_x 1
		.amdhsa_system_sgpr_workgroup_id_y 0
		.amdhsa_system_sgpr_workgroup_id_z 0
		.amdhsa_system_sgpr_workgroup_info 0
		.amdhsa_system_vgpr_workitem_id 0
		.amdhsa_next_free_vgpr 46
		.amdhsa_next_free_sgpr 27
		.amdhsa_accum_offset 48
		.amdhsa_reserve_vcc 1
		.amdhsa_reserve_flat_scratch 0
		.amdhsa_float_round_mode_32 0
		.amdhsa_float_round_mode_16_64 0
		.amdhsa_float_denorm_mode_32 3
		.amdhsa_float_denorm_mode_16_64 3
		.amdhsa_dx10_clamp 1
		.amdhsa_ieee_mode 1
		.amdhsa_fp16_overflow 0
		.amdhsa_tg_split 0
		.amdhsa_exception_fp_ieee_invalid_op 0
		.amdhsa_exception_fp_denorm_src 0
		.amdhsa_exception_fp_ieee_div_zero 0
		.amdhsa_exception_fp_ieee_overflow 0
		.amdhsa_exception_fp_ieee_underflow 0
		.amdhsa_exception_fp_ieee_inexact 0
		.amdhsa_exception_int_div_zero 0
	.end_amdhsa_kernel
	.section	.text._ZN5aiter43moe_smooth_per_token_scaled_quant_kernel_v1IDF16_aLi256ELi16ELb1ELb1ELi1024EEEvPT0_PfPT_S3_PiS6_iiiii,"axG",@progbits,_ZN5aiter43moe_smooth_per_token_scaled_quant_kernel_v1IDF16_aLi256ELi16ELb1ELb1ELi1024EEEvPT0_PfPT_S3_PiS6_iiiii,comdat
.Lfunc_end194:
	.size	_ZN5aiter43moe_smooth_per_token_scaled_quant_kernel_v1IDF16_aLi256ELi16ELb1ELb1ELi1024EEEvPT0_PfPT_S3_PiS6_iiiii, .Lfunc_end194-_ZN5aiter43moe_smooth_per_token_scaled_quant_kernel_v1IDF16_aLi256ELi16ELb1ELb1ELi1024EEEvPT0_PfPT_S3_PiS6_iiiii
                                        ; -- End function
	.section	.AMDGPU.csdata,"",@progbits
; Kernel info:
; codeLenInByte = 1488
; NumSgprs: 31
; NumVgprs: 46
; NumAgprs: 0
; TotalNumVgprs: 46
; ScratchSize: 0
; MemoryBound: 0
; FloatMode: 240
; IeeeMode: 1
; LDSByteSize: 4112 bytes/workgroup (compile time only)
; SGPRBlocks: 3
; VGPRBlocks: 5
; NumSGPRsForWavesPerEU: 31
; NumVGPRsForWavesPerEU: 46
; AccumOffset: 48
; Occupancy: 8
; WaveLimiterHint : 0
; COMPUTE_PGM_RSRC2:SCRATCH_EN: 0
; COMPUTE_PGM_RSRC2:USER_SGPR: 6
; COMPUTE_PGM_RSRC2:TRAP_HANDLER: 0
; COMPUTE_PGM_RSRC2:TGID_X_EN: 1
; COMPUTE_PGM_RSRC2:TGID_Y_EN: 0
; COMPUTE_PGM_RSRC2:TGID_Z_EN: 0
; COMPUTE_PGM_RSRC2:TIDIG_COMP_CNT: 0
; COMPUTE_PGM_RSRC3_GFX90A:ACCUM_OFFSET: 11
; COMPUTE_PGM_RSRC3_GFX90A:TG_SPLIT: 0
	.section	.text._ZN5aiter43moe_smooth_per_token_scaled_quant_kernel_v1ItaLi256ELi16ELb1ELb1ELi1024EEEvPT0_PfPT_S3_PiS6_iiiii,"axG",@progbits,_ZN5aiter43moe_smooth_per_token_scaled_quant_kernel_v1ItaLi256ELi16ELb1ELb1ELi1024EEEvPT0_PfPT_S3_PiS6_iiiii,comdat
	.protected	_ZN5aiter43moe_smooth_per_token_scaled_quant_kernel_v1ItaLi256ELi16ELb1ELb1ELi1024EEEvPT0_PfPT_S3_PiS6_iiiii ; -- Begin function _ZN5aiter43moe_smooth_per_token_scaled_quant_kernel_v1ItaLi256ELi16ELb1ELb1ELi1024EEEvPT0_PfPT_S3_PiS6_iiiii
	.globl	_ZN5aiter43moe_smooth_per_token_scaled_quant_kernel_v1ItaLi256ELi16ELb1ELb1ELi1024EEEvPT0_PfPT_S3_PiS6_iiiii
	.p2align	8
	.type	_ZN5aiter43moe_smooth_per_token_scaled_quant_kernel_v1ItaLi256ELi16ELb1ELb1ELi1024EEEvPT0_PfPT_S3_PiS6_iiiii,@function
_ZN5aiter43moe_smooth_per_token_scaled_quant_kernel_v1ItaLi256ELi16ELb1ELb1ELi1024EEEvPT0_PfPT_S3_PiS6_iiiii: ; @_ZN5aiter43moe_smooth_per_token_scaled_quant_kernel_v1ItaLi256ELi16ELb1ELb1ELi1024EEEvPT0_PfPT_S3_PiS6_iiiii
; %bb.0:
	s_load_dword s7, s[4:5], 0x40
	s_load_dwordx8 s[8:15], s[4:5], 0x20
	s_load_dwordx2 s[16:17], s[4:5], 0x10
	v_and_b32_e32 v1, 0x3c0, v0
	v_lshlrev_b32_e32 v1, 2, v1
	v_lshlrev_b32_e32 v2, 2, v0
	s_waitcnt lgkmcnt(0)
	s_mov_b32 s0, s10
	v_readfirstlane_b32 s10, v1
	v_add_u32_e32 v3, 0x400, v1
	s_lshl_b32 s2, s7, 2
	s_and_b32 s1, s11, 0xffff
	s_mov_b32 s3, 0x20000
	;;#ASMSTART
	s_mov_b32 m0 s10
	buffer_load_dword v2, s[0:3], 0 offen offset:0 lds
	
	;;#ASMEND
	v_readfirstlane_b32 s10, v3
	v_add_u32_e32 v3, 0x400, v2
	;;#ASMSTART
	s_mov_b32 m0 s10
	buffer_load_dword v3, s[0:3], 0 offen offset:0 lds
	
	;;#ASMEND
	v_add_u32_e32 v3, 0x800, v1
	v_readfirstlane_b32 s10, v3
	v_add_u32_e32 v3, 0x800, v2
	;;#ASMSTART
	s_mov_b32 m0 s10
	buffer_load_dword v3, s[0:3], 0 offen offset:0 lds
	
	;;#ASMEND
	v_add_u32_e32 v1, 0xc00, v1
	v_readfirstlane_b32 s10, v1
	v_add_u32_e32 v1, 0xc00, v2
	;;#ASMSTART
	s_mov_b32 m0 s10
	buffer_load_dword v1, s[0:3], 0 offen offset:0 lds
	
	;;#ASMEND
	s_mul_i32 s0, s6, s13
	s_ashr_i32 s1, s0, 31
	s_lshl_b64 s[0:1], s[0:1], 2
	s_add_u32 s0, s8, s0
	v_and_b32_e32 v1, 63, v0
	s_addc_u32 s1, s9, s1
	s_lshl_b32 s2, s13, 2
	s_and_b32 s1, s1, 0xffff
	v_lshlrev_b32_e32 v2, 2, v1
	buffer_load_dword v32, v2, s[0:3], 0 offen
	s_mul_hi_i32 s1, s15, s6
	s_mul_i32 s0, s15, s6
	s_lshl_b64 s[0:1], s[0:1], 1
	s_add_u32 s0, s16, s0
	s_addc_u32 s1, s17, s1
	s_lshl_b32 s2, s14, 1
	s_and_b32 s1, s1, 0xffff
	v_lshlrev_b32_e32 v10, 5, v0
	buffer_load_dwordx4 v[6:9], v10, s[0:3], 0 offen
	buffer_load_dwordx4 v[2:5], v10, s[0:3], 16 offen
	v_cmp_gt_i32_e32 vcc, s13, v1
	s_waitcnt vmcnt(2)
	s_barrier
	v_cmp_gt_i32_e64 s[2:3], s7, v32
	v_cmp_lt_i32_e64 s[0:1], -1, v32
	s_and_b64 s[2:3], vcc, s[2:3]
	s_and_b64 s[2:3], s[2:3], s[0:1]
	s_and_saveexec_b64 s[0:1], s[2:3]
	s_cbranch_execz .LBB195_2
; %bb.1:
	v_lshlrev_b32_e32 v10, 2, v32
	ds_read_b32 v32, v10
.LBB195_2:
	s_or_b64 exec, exec, s[0:1]
	s_cmp_lt_i32 s13, 1
	s_cbranch_scc1 .LBB195_13
; %bb.3:
	s_add_i32 s2, s14, 15
	s_load_dwordx4 s[8:11], s[4:5], 0x0
	s_load_dwordx2 s[24:25], s[4:5], 0x18
	s_ashr_i32 s3, s2, 31
	s_add_i32 s4, s14, 3
	s_waitcnt vmcnt(1)
	v_cvt_f32_u32_sdwa v11, v6 dst_sel:DWORD dst_unused:UNUSED_PAD src0_sel:WORD_1
	v_cvt_f32_u32_sdwa v10, v6 dst_sel:DWORD dst_unused:UNUSED_PAD src0_sel:WORD_0
	v_cvt_f32_u32_sdwa v13, v7 dst_sel:DWORD dst_unused:UNUSED_PAD src0_sel:WORD_1
	v_cvt_f32_u32_sdwa v12, v7 dst_sel:DWORD dst_unused:UNUSED_PAD src0_sel:WORD_0
	;; [unrolled: 2-line block ×4, first 2 shown]
	s_waitcnt vmcnt(0)
	v_cvt_f32_u32_sdwa v9, v2 dst_sel:DWORD dst_unused:UNUSED_PAD src0_sel:WORD_1
	v_cvt_f32_u32_sdwa v8, v2 dst_sel:DWORD dst_unused:UNUSED_PAD src0_sel:WORD_0
	v_cvt_f32_u32_sdwa v17, v3 dst_sel:DWORD dst_unused:UNUSED_PAD src0_sel:WORD_1
	v_cvt_f32_u32_sdwa v16, v3 dst_sel:DWORD dst_unused:UNUSED_PAD src0_sel:WORD_0
	;; [unrolled: 2-line block ×4, first 2 shown]
	s_lshr_b32 s3, s3, 28
	s_ashr_i32 s5, s4, 31
	v_cmp_eq_u32_e32 vcc, 63, v1
	v_lshrrev_b32_e32 v1, 4, v0
	v_mov_b32_e32 v4, 0x1000
	s_add_i32 s2, s2, s3
	s_lshr_b32 s5, s5, 30
	v_and_or_b32 v35, v1, 60, v4
	v_and_b32_e32 v1, 3, v0
	s_ashr_i32 s2, s2, 4
	s_add_i32 s4, s4, s5
	v_lshlrev_b32_e32 v33, 4, v0
	s_lshl_b32 s18, s14, 2
	v_lshlrev_b32_e32 v34, 6, v0
	v_lshl_or_b32 v36, v1, 2, v4
	s_mov_b32 s15, 0
	v_cmp_eq_u32_e64 s[0:1], 0, v0
	v_cmp_gt_u32_e64 s[2:3], s2, v0
	s_and_b32 s22, s4, -4
	s_mov_b32 s19, 0x20000
	s_mov_b32 s26, 0x2edbe6ff
	v_mov_b32_e32 v37, 0
	s_branch .LBB195_6
.LBB195_4:                              ;   in Loop: Header=BB195_6 Depth=1
	s_or_b64 exec, exec, s[4:5]
.LBB195_5:                              ;   in Loop: Header=BB195_6 Depth=1
	s_add_i32 s15, s15, 1
	s_add_i32 s6, s6, s12
	s_cmp_eq_u32 s13, s15
	s_cbranch_scc1 .LBB195_13
.LBB195_6:                              ; =>This Inner Loop Header: Depth=1
	s_waitcnt lgkmcnt(0)
	v_readlane_b32 s4, v32, s15
	s_cmp_lt_i32 s4, 0
	s_cbranch_scc1 .LBB195_5
; %bb.7:                                ;   in Loop: Header=BB195_6 Depth=1
	s_mul_i32 s4, s4, s14
	s_ashr_i32 s5, s4, 31
	s_lshl_b64 s[4:5], s[4:5], 2
	s_add_u32 s16, s24, s4
	s_addc_u32 s4, s25, s5
	s_and_b32 s17, s4, 0xffff
	buffer_load_dwordx4 v[20:23], v34, s[16:19], 0 offen
	buffer_load_dwordx4 v[24:27], v34, s[16:19], 16 offen
	;; [unrolled: 1-line block ×4, first 2 shown]
	s_waitcnt vmcnt(3)
	v_pk_mul_f32 v[28:29], v[20:21], v[10:11]
	v_pk_mul_f32 v[30:31], v[22:23], v[12:13]
	s_waitcnt vmcnt(1)
	v_pk_mul_f32 v[20:21], v[38:39], v[8:9]
	v_max3_f32 v38, |v28|, s26, |v29|
	v_pk_mul_f32 v[24:25], v[24:25], v[6:7]
	v_max3_f32 v38, v38, |v30|, |v31|
	v_pk_mul_f32 v[26:27], v[26:27], v[14:15]
	v_max3_f32 v38, v38, |v24|, |v25|
	v_max3_f32 v38, v38, |v26|, |v27|
	v_pk_mul_f32 v[22:23], v[40:41], v[16:17]
	v_max3_f32 v38, v38, |v20|, |v21|
	s_waitcnt vmcnt(0)
	v_pk_mul_f32 v[0:1], v[42:43], v[2:3]
	v_max3_f32 v38, v38, |v22|, |v23|
	v_pk_mul_f32 v[4:5], v[44:45], v[18:19]
	v_max3_f32 v38, v38, |v0|, |v1|
	v_max3_f32 v38, v38, |v4|, |v5|
	s_nop 1
	v_mov_b32_dpp v39, v38 quad_perm:[1,0,3,2] row_mask:0xf bank_mask:0xf
	v_cmp_gt_f32_e64 s[4:5], v38, v39
	v_cndmask_b32_e64 v38, v39, v38, s[4:5]
	s_nop 1
	v_mov_b32_dpp v39, v38 quad_perm:[2,3,0,1] row_mask:0xf bank_mask:0xf
	v_cmp_gt_f32_e64 s[4:5], v38, v39
	v_cndmask_b32_e64 v38, v39, v38, s[4:5]
	s_nop 1
	v_mov_b32_dpp v39, v38 row_half_mirror row_mask:0xf bank_mask:0xf
	v_cmp_gt_f32_e64 s[4:5], v38, v39
	v_cndmask_b32_e64 v38, v39, v38, s[4:5]
	s_nop 1
	v_mov_b32_dpp v39, v38 row_mirror row_mask:0xf bank_mask:0xf
	v_cmp_gt_f32_e64 s[4:5], v38, v39
	v_cndmask_b32_e64 v38, v39, v38, s[4:5]
	s_nop 1
	v_mov_b32_dpp v39, v38 row_bcast:15 row_mask:0xf bank_mask:0xf
	v_cmp_gt_f32_e64 s[4:5], v38, v39
	v_cndmask_b32_e64 v38, v39, v38, s[4:5]
	s_nop 1
	v_mov_b32_dpp v39, v38 row_bcast:31 row_mask:0xf bank_mask:0xf
	s_and_saveexec_b64 s[16:17], vcc
	s_cbranch_execz .LBB195_9
; %bb.8:                                ;   in Loop: Header=BB195_6 Depth=1
	v_cmp_gt_f32_e64 s[4:5], v38, v39
	v_cndmask_b32_e64 v38, v39, v38, s[4:5]
	ds_write_b32 v35, v38
.LBB195_9:                              ;   in Loop: Header=BB195_6 Depth=1
	s_or_b64 exec, exec, s[16:17]
	s_waitcnt lgkmcnt(0)
	s_barrier
	ds_read_b32 v38, v36
	s_waitcnt lgkmcnt(0)
	s_nop 0
	v_mov_b32_dpp v39, v38 quad_perm:[1,0,3,2] row_mask:0xf bank_mask:0xf
	v_cmp_gt_f32_e64 s[4:5], v38, v39
	v_cndmask_b32_e64 v38, v39, v38, s[4:5]
	s_nop 1
	v_mov_b32_dpp v39, v38 quad_perm:[2,3,0,1] row_mask:0xf bank_mask:0xf
	v_cmp_gt_f32_e64 s[4:5], v38, v39
	v_cndmask_b32_e64 v38, v39, v38, s[4:5]
	v_mul_f32_e32 v38, 0x3c010204, v38
	s_and_saveexec_b64 s[4:5], s[0:1]
	s_cbranch_execz .LBB195_11
; %bb.10:                               ;   in Loop: Header=BB195_6 Depth=1
	s_ashr_i32 s7, s6, 31
	s_lshl_b64 s[16:17], s[6:7], 2
	s_add_u32 s16, s10, s16
	s_addc_u32 s17, s11, s17
	global_store_dword v37, v38, s[16:17]
.LBB195_11:                             ;   in Loop: Header=BB195_6 Depth=1
	s_or_b64 exec, exec, s[4:5]
	s_and_saveexec_b64 s[4:5], s[2:3]
	s_cbranch_execz .LBB195_4
; %bb.12:                               ;   in Loop: Header=BB195_6 Depth=1
	v_rcp_f32_e32 v38, v38
	s_mul_i32 s16, s6, s14
	s_mul_hi_i32 s7, s6, s14
	s_add_u32 s20, s8, s16
	v_mov_b32_e32 v39, v38
	;;#ASMSTART
	v_pk_mul_f32 v[28:29], v[28:29], v[38:39]
	;;#ASMEND
	v_cvt_i32_f32_e32 v40, v28
	v_cvt_i32_f32_sdwa v41, v29 dst_sel:BYTE_1 dst_unused:UNUSED_PAD src0_sel:DWORD
	;;#ASMSTART
	v_pk_mul_f32 v[28:29], v[30:31], v[38:39]
	;;#ASMEND
	;;#ASMSTART
	v_pk_mul_f32 v[24:25], v[24:25], v[38:39]
	;;#ASMEND
	v_cvt_i32_f32_e32 v28, v28
	v_cvt_i32_f32_sdwa v29, v29 dst_sel:BYTE_1 dst_unused:UNUSED_PAD src0_sel:DWORD
	v_cvt_i32_f32_e32 v30, v24
	v_cvt_i32_f32_sdwa v31, v25 dst_sel:BYTE_1 dst_unused:UNUSED_PAD src0_sel:DWORD
	;;#ASMSTART
	v_pk_mul_f32 v[24:25], v[26:27], v[38:39]
	;;#ASMEND
	;;#ASMSTART
	v_pk_mul_f32 v[20:21], v[20:21], v[38:39]
	;;#ASMEND
	v_cvt_i32_f32_e32 v24, v24
	v_cvt_i32_f32_sdwa v25, v25 dst_sel:BYTE_1 dst_unused:UNUSED_PAD src0_sel:DWORD
	;; [unrolled: 10-line block ×3, first 2 shown]
	v_cvt_i32_f32_e32 v42, v0
	v_cvt_i32_f32_sdwa v43, v1 dst_sel:BYTE_1 dst_unused:UNUSED_PAD src0_sel:DWORD
	;;#ASMSTART
	v_pk_mul_f32 v[0:1], v[4:5], v[38:39]
	;;#ASMEND
	v_cvt_i32_f32_e32 v0, v0
	v_cvt_i32_f32_sdwa v1, v1 dst_sel:BYTE_1 dst_unused:UNUSED_PAD src0_sel:DWORD
	v_or_b32_sdwa v4, v40, v41 dst_sel:DWORD dst_unused:UNUSED_PAD src0_sel:BYTE_0 src1_sel:DWORD
	v_or_b32_sdwa v5, v28, v29 dst_sel:WORD_1 dst_unused:UNUSED_PAD src0_sel:BYTE_0 src1_sel:DWORD
	v_or_b32_sdwa v20, v4, v5 dst_sel:DWORD dst_unused:UNUSED_PAD src0_sel:WORD_0 src1_sel:DWORD
	v_or_b32_sdwa v4, v30, v31 dst_sel:DWORD dst_unused:UNUSED_PAD src0_sel:BYTE_0 src1_sel:DWORD
	v_or_b32_sdwa v5, v24, v25 dst_sel:WORD_1 dst_unused:UNUSED_PAD src0_sel:BYTE_0 src1_sel:DWORD
	v_or_b32_sdwa v21, v4, v5 dst_sel:DWORD dst_unused:UNUSED_PAD src0_sel:WORD_0 src1_sel:DWORD
	v_or_b32_sdwa v4, v26, v27 dst_sel:DWORD dst_unused:UNUSED_PAD src0_sel:BYTE_0 src1_sel:DWORD
	v_or_b32_sdwa v5, v22, v23 dst_sel:WORD_1 dst_unused:UNUSED_PAD src0_sel:BYTE_0 src1_sel:DWORD
	s_addc_u32 s7, s9, s7
	v_or_b32_sdwa v22, v4, v5 dst_sel:DWORD dst_unused:UNUSED_PAD src0_sel:WORD_0 src1_sel:DWORD
	v_or_b32_sdwa v4, v42, v43 dst_sel:DWORD dst_unused:UNUSED_PAD src0_sel:BYTE_0 src1_sel:DWORD
	v_or_b32_sdwa v0, v0, v1 dst_sel:WORD_1 dst_unused:UNUSED_PAD src0_sel:BYTE_0 src1_sel:DWORD
	s_and_b32 s21, s7, 0xffff
	s_mov_b32 s23, s19
	v_or_b32_sdwa v23, v4, v0 dst_sel:DWORD dst_unused:UNUSED_PAD src0_sel:WORD_0 src1_sel:DWORD
	buffer_store_dwordx4 v[20:23], v33, s[20:23], 0 offen
	;;#ASMSTART
	s_nop 0
	;;#ASMEND
	s_branch .LBB195_4
.LBB195_13:
	s_endpgm
	.section	.rodata,"a",@progbits
	.p2align	6, 0x0
	.amdhsa_kernel _ZN5aiter43moe_smooth_per_token_scaled_quant_kernel_v1ItaLi256ELi16ELb1ELb1ELi1024EEEvPT0_PfPT_S3_PiS6_iiiii
		.amdhsa_group_segment_fixed_size 4112
		.amdhsa_private_segment_fixed_size 0
		.amdhsa_kernarg_size 68
		.amdhsa_user_sgpr_count 6
		.amdhsa_user_sgpr_private_segment_buffer 1
		.amdhsa_user_sgpr_dispatch_ptr 0
		.amdhsa_user_sgpr_queue_ptr 0
		.amdhsa_user_sgpr_kernarg_segment_ptr 1
		.amdhsa_user_sgpr_dispatch_id 0
		.amdhsa_user_sgpr_flat_scratch_init 0
		.amdhsa_user_sgpr_kernarg_preload_length 0
		.amdhsa_user_sgpr_kernarg_preload_offset 0
		.amdhsa_user_sgpr_private_segment_size 0
		.amdhsa_uses_dynamic_stack 0
		.amdhsa_system_sgpr_private_segment_wavefront_offset 0
		.amdhsa_system_sgpr_workgroup_id_x 1
		.amdhsa_system_sgpr_workgroup_id_y 0
		.amdhsa_system_sgpr_workgroup_id_z 0
		.amdhsa_system_sgpr_workgroup_info 0
		.amdhsa_system_vgpr_workitem_id 0
		.amdhsa_next_free_vgpr 46
		.amdhsa_next_free_sgpr 27
		.amdhsa_accum_offset 48
		.amdhsa_reserve_vcc 1
		.amdhsa_reserve_flat_scratch 0
		.amdhsa_float_round_mode_32 0
		.amdhsa_float_round_mode_16_64 0
		.amdhsa_float_denorm_mode_32 3
		.amdhsa_float_denorm_mode_16_64 3
		.amdhsa_dx10_clamp 1
		.amdhsa_ieee_mode 1
		.amdhsa_fp16_overflow 0
		.amdhsa_tg_split 0
		.amdhsa_exception_fp_ieee_invalid_op 0
		.amdhsa_exception_fp_denorm_src 0
		.amdhsa_exception_fp_ieee_div_zero 0
		.amdhsa_exception_fp_ieee_overflow 0
		.amdhsa_exception_fp_ieee_underflow 0
		.amdhsa_exception_fp_ieee_inexact 0
		.amdhsa_exception_int_div_zero 0
	.end_amdhsa_kernel
	.section	.text._ZN5aiter43moe_smooth_per_token_scaled_quant_kernel_v1ItaLi256ELi16ELb1ELb1ELi1024EEEvPT0_PfPT_S3_PiS6_iiiii,"axG",@progbits,_ZN5aiter43moe_smooth_per_token_scaled_quant_kernel_v1ItaLi256ELi16ELb1ELb1ELi1024EEEvPT0_PfPT_S3_PiS6_iiiii,comdat
.Lfunc_end195:
	.size	_ZN5aiter43moe_smooth_per_token_scaled_quant_kernel_v1ItaLi256ELi16ELb1ELb1ELi1024EEEvPT0_PfPT_S3_PiS6_iiiii, .Lfunc_end195-_ZN5aiter43moe_smooth_per_token_scaled_quant_kernel_v1ItaLi256ELi16ELb1ELb1ELi1024EEEvPT0_PfPT_S3_PiS6_iiiii
                                        ; -- End function
	.section	.AMDGPU.csdata,"",@progbits
; Kernel info:
; codeLenInByte = 1520
; NumSgprs: 31
; NumVgprs: 46
; NumAgprs: 0
; TotalNumVgprs: 46
; ScratchSize: 0
; MemoryBound: 0
; FloatMode: 240
; IeeeMode: 1
; LDSByteSize: 4112 bytes/workgroup (compile time only)
; SGPRBlocks: 3
; VGPRBlocks: 5
; NumSGPRsForWavesPerEU: 31
; NumVGPRsForWavesPerEU: 46
; AccumOffset: 48
; Occupancy: 8
; WaveLimiterHint : 0
; COMPUTE_PGM_RSRC2:SCRATCH_EN: 0
; COMPUTE_PGM_RSRC2:USER_SGPR: 6
; COMPUTE_PGM_RSRC2:TRAP_HANDLER: 0
; COMPUTE_PGM_RSRC2:TGID_X_EN: 1
; COMPUTE_PGM_RSRC2:TGID_Y_EN: 0
; COMPUTE_PGM_RSRC2:TGID_Z_EN: 0
; COMPUTE_PGM_RSRC2:TIDIG_COMP_CNT: 0
; COMPUTE_PGM_RSRC3_GFX90A:ACCUM_OFFSET: 11
; COMPUTE_PGM_RSRC3_GFX90A:TG_SPLIT: 0
	.section	.text._ZN5aiter43moe_smooth_per_token_scaled_quant_kernel_v1IDF16_aLi256ELi16ELb1ELb0ELi1024EEEvPT0_PfPT_S3_PiS6_iiiii,"axG",@progbits,_ZN5aiter43moe_smooth_per_token_scaled_quant_kernel_v1IDF16_aLi256ELi16ELb1ELb0ELi1024EEEvPT0_PfPT_S3_PiS6_iiiii,comdat
	.protected	_ZN5aiter43moe_smooth_per_token_scaled_quant_kernel_v1IDF16_aLi256ELi16ELb1ELb0ELi1024EEEvPT0_PfPT_S3_PiS6_iiiii ; -- Begin function _ZN5aiter43moe_smooth_per_token_scaled_quant_kernel_v1IDF16_aLi256ELi16ELb1ELb0ELi1024EEEvPT0_PfPT_S3_PiS6_iiiii
	.globl	_ZN5aiter43moe_smooth_per_token_scaled_quant_kernel_v1IDF16_aLi256ELi16ELb1ELb0ELi1024EEEvPT0_PfPT_S3_PiS6_iiiii
	.p2align	8
	.type	_ZN5aiter43moe_smooth_per_token_scaled_quant_kernel_v1IDF16_aLi256ELi16ELb1ELb0ELi1024EEEvPT0_PfPT_S3_PiS6_iiiii,@function
_ZN5aiter43moe_smooth_per_token_scaled_quant_kernel_v1IDF16_aLi256ELi16ELb1ELb0ELi1024EEEvPT0_PfPT_S3_PiS6_iiiii: ; @_ZN5aiter43moe_smooth_per_token_scaled_quant_kernel_v1IDF16_aLi256ELi16ELb1ELb0ELi1024EEEvPT0_PfPT_S3_PiS6_iiiii
; %bb.0:
	s_load_dwordx4 s[8:11], s[4:5], 0x30
	s_load_dwordx2 s[0:1], s[4:5], 0x10
	s_load_dwordx2 s[2:3], s[4:5], 0x20
	v_and_b32_e32 v1, 63, v0
	s_mov_b32 s15, 0x20000
	s_waitcnt lgkmcnt(0)
	s_mul_i32 s12, s6, s9
	s_ashr_i32 s13, s12, 31
	s_lshl_b64 s[12:13], s[12:13], 2
	s_add_u32 s12, s2, s12
	s_addc_u32 s2, s3, s13
	s_and_b32 s13, s2, 0xffff
	s_mul_hi_i32 s3, s11, s6
	s_mul_i32 s2, s11, s6
	s_lshl_b32 s14, s9, 2
	v_lshlrev_b32_e32 v2, 2, v1
	s_lshl_b64 s[2:3], s[2:3], 1
	buffer_load_dword v32, v2, s[12:15], 0 offen
	s_add_u32 s12, s0, s2
	s_addc_u32 s0, s1, s3
	s_lshl_b32 s14, s10, 1
	s_and_b32 s13, s0, 0xffff
	v_lshlrev_b32_e32 v10, 5, v0
	buffer_load_dwordx4 v[6:9], v10, s[12:15], 0 offen
	buffer_load_dwordx4 v[2:5], v10, s[12:15], 16 offen
	s_mov_b32 s11, 0
	s_cmp_lt_i32 s9, 1
	s_waitcnt vmcnt(2)
	s_barrier
	s_cbranch_scc1 .LBB196_11
; %bb.1:
	s_add_i32 s2, s10, 15
	s_load_dwordx4 s[16:19], s[4:5], 0x0
	s_load_dwordx2 s[24:25], s[4:5], 0x18
	s_ashr_i32 s3, s2, 31
	s_add_i32 s4, s10, 3
	s_waitcnt vmcnt(1)
	v_cvt_f32_f16_sdwa v11, v6 dst_sel:DWORD dst_unused:UNUSED_PAD src0_sel:WORD_1
	v_cvt_f32_f16_e32 v10, v6
	v_cvt_f32_f16_sdwa v13, v7 dst_sel:DWORD dst_unused:UNUSED_PAD src0_sel:WORD_1
	v_cvt_f32_f16_e32 v12, v7
	;; [unrolled: 2-line block ×4, first 2 shown]
	s_waitcnt vmcnt(0)
	v_cvt_f32_f16_sdwa v9, v2 dst_sel:DWORD dst_unused:UNUSED_PAD src0_sel:WORD_1
	v_cvt_f32_f16_e32 v8, v2
	v_cvt_f32_f16_sdwa v17, v3 dst_sel:DWORD dst_unused:UNUSED_PAD src0_sel:WORD_1
	v_cvt_f32_f16_e32 v16, v3
	;; [unrolled: 2-line block ×4, first 2 shown]
	s_lshr_b32 s3, s3, 28
	s_ashr_i32 s5, s4, 31
	v_cmp_eq_u32_e32 vcc, 63, v1
	v_lshrrev_b32_e32 v1, 4, v0
	s_add_i32 s2, s2, s3
	s_lshr_b32 s5, s5, 30
	v_and_b32_e32 v35, 60, v1
	v_and_b32_e32 v1, 3, v0
	s_ashr_i32 s2, s2, 4
	s_add_i32 s4, s4, s5
	v_lshlrev_b32_e32 v33, 4, v0
	s_lshl_b32 s14, s10, 2
	v_lshlrev_b32_e32 v34, 6, v0
	v_lshlrev_b32_e32 v36, 2, v1
	v_cmp_eq_u32_e64 s[0:1], 0, v0
	v_cmp_gt_u32_e64 s[2:3], s2, v0
	s_and_b32 s22, s4, -4
	s_mov_b32 s26, 0x2edbe6ff
	v_mov_b32_e32 v37, 0
	s_branch .LBB196_4
.LBB196_2:                              ;   in Loop: Header=BB196_4 Depth=1
	s_or_b64 exec, exec, s[4:5]
.LBB196_3:                              ;   in Loop: Header=BB196_4 Depth=1
	s_add_i32 s11, s11, 1
	s_add_i32 s6, s6, s8
	s_cmp_eq_u32 s9, s11
	s_cbranch_scc1 .LBB196_11
.LBB196_4:                              ; =>This Inner Loop Header: Depth=1
	v_readlane_b32 s4, v32, s11
	s_cmp_lt_i32 s4, 0
	s_cbranch_scc1 .LBB196_3
; %bb.5:                                ;   in Loop: Header=BB196_4 Depth=1
	s_mul_i32 s4, s4, s10
	s_ashr_i32 s5, s4, 31
	s_lshl_b64 s[4:5], s[4:5], 2
	s_waitcnt lgkmcnt(0)
	s_add_u32 s12, s24, s4
	s_addc_u32 s4, s25, s5
	s_and_b32 s13, s4, 0xffff
	buffer_load_dwordx4 v[20:23], v34, s[12:15], 0 offen
	buffer_load_dwordx4 v[24:27], v34, s[12:15], 16 offen
	;; [unrolled: 1-line block ×4, first 2 shown]
	s_waitcnt vmcnt(3)
	v_pk_mul_f32 v[28:29], v[20:21], v[10:11]
	v_pk_mul_f32 v[30:31], v[22:23], v[12:13]
	s_waitcnt vmcnt(1)
	v_pk_mul_f32 v[20:21], v[38:39], v[8:9]
	v_max3_f32 v38, |v28|, s26, |v29|
	v_pk_mul_f32 v[24:25], v[24:25], v[6:7]
	v_max3_f32 v38, v38, |v30|, |v31|
	v_pk_mul_f32 v[26:27], v[26:27], v[14:15]
	v_max3_f32 v38, v38, |v24|, |v25|
	v_max3_f32 v38, v38, |v26|, |v27|
	v_pk_mul_f32 v[22:23], v[40:41], v[16:17]
	v_max3_f32 v38, v38, |v20|, |v21|
	s_waitcnt vmcnt(0)
	v_pk_mul_f32 v[0:1], v[42:43], v[2:3]
	v_max3_f32 v38, v38, |v22|, |v23|
	v_pk_mul_f32 v[4:5], v[44:45], v[18:19]
	v_max3_f32 v38, v38, |v0|, |v1|
	v_max3_f32 v38, v38, |v4|, |v5|
	s_nop 1
	v_mov_b32_dpp v39, v38 quad_perm:[1,0,3,2] row_mask:0xf bank_mask:0xf
	v_cmp_gt_f32_e64 s[4:5], v38, v39
	v_cndmask_b32_e64 v38, v39, v38, s[4:5]
	s_nop 1
	v_mov_b32_dpp v39, v38 quad_perm:[2,3,0,1] row_mask:0xf bank_mask:0xf
	v_cmp_gt_f32_e64 s[4:5], v38, v39
	v_cndmask_b32_e64 v38, v39, v38, s[4:5]
	s_nop 1
	v_mov_b32_dpp v39, v38 row_half_mirror row_mask:0xf bank_mask:0xf
	v_cmp_gt_f32_e64 s[4:5], v38, v39
	v_cndmask_b32_e64 v38, v39, v38, s[4:5]
	s_nop 1
	v_mov_b32_dpp v39, v38 row_mirror row_mask:0xf bank_mask:0xf
	v_cmp_gt_f32_e64 s[4:5], v38, v39
	v_cndmask_b32_e64 v38, v39, v38, s[4:5]
	s_nop 1
	v_mov_b32_dpp v39, v38 row_bcast:15 row_mask:0xf bank_mask:0xf
	v_cmp_gt_f32_e64 s[4:5], v38, v39
	v_cndmask_b32_e64 v38, v39, v38, s[4:5]
	s_nop 1
	v_mov_b32_dpp v39, v38 row_bcast:31 row_mask:0xf bank_mask:0xf
	s_and_saveexec_b64 s[12:13], vcc
	s_cbranch_execz .LBB196_7
; %bb.6:                                ;   in Loop: Header=BB196_4 Depth=1
	v_cmp_gt_f32_e64 s[4:5], v38, v39
	v_cndmask_b32_e64 v38, v39, v38, s[4:5]
	ds_write_b32 v35, v38
.LBB196_7:                              ;   in Loop: Header=BB196_4 Depth=1
	s_or_b64 exec, exec, s[12:13]
	s_waitcnt lgkmcnt(0)
	s_barrier
	ds_read_b32 v38, v36
	s_waitcnt lgkmcnt(0)
	s_nop 0
	v_mov_b32_dpp v39, v38 quad_perm:[1,0,3,2] row_mask:0xf bank_mask:0xf
	v_cmp_gt_f32_e64 s[4:5], v38, v39
	v_cndmask_b32_e64 v38, v39, v38, s[4:5]
	s_nop 1
	v_mov_b32_dpp v39, v38 quad_perm:[2,3,0,1] row_mask:0xf bank_mask:0xf
	v_cmp_gt_f32_e64 s[4:5], v38, v39
	v_cndmask_b32_e64 v38, v39, v38, s[4:5]
	v_mul_f32_e32 v38, 0x3c010204, v38
	s_and_saveexec_b64 s[4:5], s[0:1]
	s_cbranch_execz .LBB196_9
; %bb.8:                                ;   in Loop: Header=BB196_4 Depth=1
	s_ashr_i32 s7, s6, 31
	s_lshl_b64 s[12:13], s[6:7], 2
	s_add_u32 s12, s18, s12
	s_addc_u32 s13, s19, s13
	global_store_dword v37, v38, s[12:13]
.LBB196_9:                              ;   in Loop: Header=BB196_4 Depth=1
	s_or_b64 exec, exec, s[4:5]
	s_and_saveexec_b64 s[4:5], s[2:3]
	s_cbranch_execz .LBB196_2
; %bb.10:                               ;   in Loop: Header=BB196_4 Depth=1
	v_rcp_f32_e32 v38, v38
	s_mul_i32 s12, s6, s10
	s_mul_hi_i32 s7, s6, s10
	s_add_u32 s20, s16, s12
	v_mov_b32_e32 v39, v38
	;;#ASMSTART
	v_pk_mul_f32 v[28:29], v[28:29], v[38:39]
	;;#ASMEND
	v_cvt_i32_f32_e32 v40, v28
	v_cvt_i32_f32_sdwa v41, v29 dst_sel:BYTE_1 dst_unused:UNUSED_PAD src0_sel:DWORD
	;;#ASMSTART
	v_pk_mul_f32 v[28:29], v[30:31], v[38:39]
	;;#ASMEND
	;;#ASMSTART
	v_pk_mul_f32 v[24:25], v[24:25], v[38:39]
	;;#ASMEND
	v_cvt_i32_f32_e32 v28, v28
	v_cvt_i32_f32_sdwa v29, v29 dst_sel:BYTE_1 dst_unused:UNUSED_PAD src0_sel:DWORD
	v_cvt_i32_f32_e32 v30, v24
	v_cvt_i32_f32_sdwa v31, v25 dst_sel:BYTE_1 dst_unused:UNUSED_PAD src0_sel:DWORD
	;;#ASMSTART
	v_pk_mul_f32 v[24:25], v[26:27], v[38:39]
	;;#ASMEND
	;;#ASMSTART
	v_pk_mul_f32 v[20:21], v[20:21], v[38:39]
	;;#ASMEND
	v_cvt_i32_f32_e32 v24, v24
	v_cvt_i32_f32_sdwa v25, v25 dst_sel:BYTE_1 dst_unused:UNUSED_PAD src0_sel:DWORD
	;; [unrolled: 10-line block ×3, first 2 shown]
	v_cvt_i32_f32_e32 v42, v0
	v_cvt_i32_f32_sdwa v43, v1 dst_sel:BYTE_1 dst_unused:UNUSED_PAD src0_sel:DWORD
	;;#ASMSTART
	v_pk_mul_f32 v[0:1], v[4:5], v[38:39]
	;;#ASMEND
	v_cvt_i32_f32_e32 v0, v0
	v_cvt_i32_f32_sdwa v1, v1 dst_sel:BYTE_1 dst_unused:UNUSED_PAD src0_sel:DWORD
	v_or_b32_sdwa v4, v40, v41 dst_sel:DWORD dst_unused:UNUSED_PAD src0_sel:BYTE_0 src1_sel:DWORD
	v_or_b32_sdwa v5, v28, v29 dst_sel:WORD_1 dst_unused:UNUSED_PAD src0_sel:BYTE_0 src1_sel:DWORD
	v_or_b32_sdwa v20, v4, v5 dst_sel:DWORD dst_unused:UNUSED_PAD src0_sel:WORD_0 src1_sel:DWORD
	v_or_b32_sdwa v4, v30, v31 dst_sel:DWORD dst_unused:UNUSED_PAD src0_sel:BYTE_0 src1_sel:DWORD
	v_or_b32_sdwa v5, v24, v25 dst_sel:WORD_1 dst_unused:UNUSED_PAD src0_sel:BYTE_0 src1_sel:DWORD
	v_or_b32_sdwa v21, v4, v5 dst_sel:DWORD dst_unused:UNUSED_PAD src0_sel:WORD_0 src1_sel:DWORD
	v_or_b32_sdwa v4, v26, v27 dst_sel:DWORD dst_unused:UNUSED_PAD src0_sel:BYTE_0 src1_sel:DWORD
	v_or_b32_sdwa v5, v22, v23 dst_sel:WORD_1 dst_unused:UNUSED_PAD src0_sel:BYTE_0 src1_sel:DWORD
	s_addc_u32 s7, s17, s7
	v_or_b32_sdwa v22, v4, v5 dst_sel:DWORD dst_unused:UNUSED_PAD src0_sel:WORD_0 src1_sel:DWORD
	v_or_b32_sdwa v4, v42, v43 dst_sel:DWORD dst_unused:UNUSED_PAD src0_sel:BYTE_0 src1_sel:DWORD
	v_or_b32_sdwa v0, v0, v1 dst_sel:WORD_1 dst_unused:UNUSED_PAD src0_sel:BYTE_0 src1_sel:DWORD
	s_and_b32 s21, s7, 0xffff
	s_mov_b32 s23, s15
	v_or_b32_sdwa v23, v4, v0 dst_sel:DWORD dst_unused:UNUSED_PAD src0_sel:WORD_0 src1_sel:DWORD
	buffer_store_dwordx4 v[20:23], v33, s[20:23], 0 offen
	;;#ASMSTART
	s_nop 0
	;;#ASMEND
	s_branch .LBB196_2
.LBB196_11:
	s_endpgm
	.section	.rodata,"a",@progbits
	.p2align	6, 0x0
	.amdhsa_kernel _ZN5aiter43moe_smooth_per_token_scaled_quant_kernel_v1IDF16_aLi256ELi16ELb1ELb0ELi1024EEEvPT0_PfPT_S3_PiS6_iiiii
		.amdhsa_group_segment_fixed_size 16
		.amdhsa_private_segment_fixed_size 0
		.amdhsa_kernarg_size 68
		.amdhsa_user_sgpr_count 6
		.amdhsa_user_sgpr_private_segment_buffer 1
		.amdhsa_user_sgpr_dispatch_ptr 0
		.amdhsa_user_sgpr_queue_ptr 0
		.amdhsa_user_sgpr_kernarg_segment_ptr 1
		.amdhsa_user_sgpr_dispatch_id 0
		.amdhsa_user_sgpr_flat_scratch_init 0
		.amdhsa_user_sgpr_kernarg_preload_length 0
		.amdhsa_user_sgpr_kernarg_preload_offset 0
		.amdhsa_user_sgpr_private_segment_size 0
		.amdhsa_uses_dynamic_stack 0
		.amdhsa_system_sgpr_private_segment_wavefront_offset 0
		.amdhsa_system_sgpr_workgroup_id_x 1
		.amdhsa_system_sgpr_workgroup_id_y 0
		.amdhsa_system_sgpr_workgroup_id_z 0
		.amdhsa_system_sgpr_workgroup_info 0
		.amdhsa_system_vgpr_workitem_id 0
		.amdhsa_next_free_vgpr 46
		.amdhsa_next_free_sgpr 27
		.amdhsa_accum_offset 48
		.amdhsa_reserve_vcc 1
		.amdhsa_reserve_flat_scratch 0
		.amdhsa_float_round_mode_32 0
		.amdhsa_float_round_mode_16_64 0
		.amdhsa_float_denorm_mode_32 3
		.amdhsa_float_denorm_mode_16_64 3
		.amdhsa_dx10_clamp 1
		.amdhsa_ieee_mode 1
		.amdhsa_fp16_overflow 0
		.amdhsa_tg_split 0
		.amdhsa_exception_fp_ieee_invalid_op 0
		.amdhsa_exception_fp_denorm_src 0
		.amdhsa_exception_fp_ieee_div_zero 0
		.amdhsa_exception_fp_ieee_overflow 0
		.amdhsa_exception_fp_ieee_underflow 0
		.amdhsa_exception_fp_ieee_inexact 0
		.amdhsa_exception_int_div_zero 0
	.end_amdhsa_kernel
	.section	.text._ZN5aiter43moe_smooth_per_token_scaled_quant_kernel_v1IDF16_aLi256ELi16ELb1ELb0ELi1024EEEvPT0_PfPT_S3_PiS6_iiiii,"axG",@progbits,_ZN5aiter43moe_smooth_per_token_scaled_quant_kernel_v1IDF16_aLi256ELi16ELb1ELb0ELi1024EEEvPT0_PfPT_S3_PiS6_iiiii,comdat
.Lfunc_end196:
	.size	_ZN5aiter43moe_smooth_per_token_scaled_quant_kernel_v1IDF16_aLi256ELi16ELb1ELb0ELi1024EEEvPT0_PfPT_S3_PiS6_iiiii, .Lfunc_end196-_ZN5aiter43moe_smooth_per_token_scaled_quant_kernel_v1IDF16_aLi256ELi16ELb1ELb0ELi1024EEEvPT0_PfPT_S3_PiS6_iiiii
                                        ; -- End function
	.section	.AMDGPU.csdata,"",@progbits
; Kernel info:
; codeLenInByte = 1252
; NumSgprs: 31
; NumVgprs: 46
; NumAgprs: 0
; TotalNumVgprs: 46
; ScratchSize: 0
; MemoryBound: 0
; FloatMode: 240
; IeeeMode: 1
; LDSByteSize: 16 bytes/workgroup (compile time only)
; SGPRBlocks: 3
; VGPRBlocks: 5
; NumSGPRsForWavesPerEU: 31
; NumVGPRsForWavesPerEU: 46
; AccumOffset: 48
; Occupancy: 8
; WaveLimiterHint : 0
; COMPUTE_PGM_RSRC2:SCRATCH_EN: 0
; COMPUTE_PGM_RSRC2:USER_SGPR: 6
; COMPUTE_PGM_RSRC2:TRAP_HANDLER: 0
; COMPUTE_PGM_RSRC2:TGID_X_EN: 1
; COMPUTE_PGM_RSRC2:TGID_Y_EN: 0
; COMPUTE_PGM_RSRC2:TGID_Z_EN: 0
; COMPUTE_PGM_RSRC2:TIDIG_COMP_CNT: 0
; COMPUTE_PGM_RSRC3_GFX90A:ACCUM_OFFSET: 11
; COMPUTE_PGM_RSRC3_GFX90A:TG_SPLIT: 0
	.section	.text._ZN5aiter43moe_smooth_per_token_scaled_quant_kernel_v1ItaLi256ELi16ELb1ELb0ELi1024EEEvPT0_PfPT_S3_PiS6_iiiii,"axG",@progbits,_ZN5aiter43moe_smooth_per_token_scaled_quant_kernel_v1ItaLi256ELi16ELb1ELb0ELi1024EEEvPT0_PfPT_S3_PiS6_iiiii,comdat
	.protected	_ZN5aiter43moe_smooth_per_token_scaled_quant_kernel_v1ItaLi256ELi16ELb1ELb0ELi1024EEEvPT0_PfPT_S3_PiS6_iiiii ; -- Begin function _ZN5aiter43moe_smooth_per_token_scaled_quant_kernel_v1ItaLi256ELi16ELb1ELb0ELi1024EEEvPT0_PfPT_S3_PiS6_iiiii
	.globl	_ZN5aiter43moe_smooth_per_token_scaled_quant_kernel_v1ItaLi256ELi16ELb1ELb0ELi1024EEEvPT0_PfPT_S3_PiS6_iiiii
	.p2align	8
	.type	_ZN5aiter43moe_smooth_per_token_scaled_quant_kernel_v1ItaLi256ELi16ELb1ELb0ELi1024EEEvPT0_PfPT_S3_PiS6_iiiii,@function
_ZN5aiter43moe_smooth_per_token_scaled_quant_kernel_v1ItaLi256ELi16ELb1ELb0ELi1024EEEvPT0_PfPT_S3_PiS6_iiiii: ; @_ZN5aiter43moe_smooth_per_token_scaled_quant_kernel_v1ItaLi256ELi16ELb1ELb0ELi1024EEEvPT0_PfPT_S3_PiS6_iiiii
; %bb.0:
	s_load_dwordx4 s[8:11], s[4:5], 0x30
	s_load_dwordx2 s[0:1], s[4:5], 0x10
	s_load_dwordx2 s[2:3], s[4:5], 0x20
	v_and_b32_e32 v1, 63, v0
	s_mov_b32 s15, 0x20000
	s_waitcnt lgkmcnt(0)
	s_mul_i32 s12, s6, s9
	s_ashr_i32 s13, s12, 31
	s_lshl_b64 s[12:13], s[12:13], 2
	s_add_u32 s12, s2, s12
	s_addc_u32 s2, s3, s13
	s_and_b32 s13, s2, 0xffff
	s_mul_hi_i32 s3, s11, s6
	s_mul_i32 s2, s11, s6
	s_lshl_b32 s14, s9, 2
	v_lshlrev_b32_e32 v2, 2, v1
	s_lshl_b64 s[2:3], s[2:3], 1
	buffer_load_dword v32, v2, s[12:15], 0 offen
	s_add_u32 s12, s0, s2
	s_addc_u32 s0, s1, s3
	s_lshl_b32 s14, s10, 1
	s_and_b32 s13, s0, 0xffff
	v_lshlrev_b32_e32 v10, 5, v0
	buffer_load_dwordx4 v[6:9], v10, s[12:15], 0 offen
	buffer_load_dwordx4 v[2:5], v10, s[12:15], 16 offen
	s_mov_b32 s11, 0
	s_cmp_lt_i32 s9, 1
	s_waitcnt vmcnt(2)
	s_barrier
	s_cbranch_scc1 .LBB197_11
; %bb.1:
	s_add_i32 s2, s10, 15
	s_load_dwordx4 s[16:19], s[4:5], 0x0
	s_load_dwordx2 s[24:25], s[4:5], 0x18
	s_ashr_i32 s3, s2, 31
	s_add_i32 s4, s10, 3
	s_waitcnt vmcnt(1)
	v_cvt_f32_u32_sdwa v11, v6 dst_sel:DWORD dst_unused:UNUSED_PAD src0_sel:WORD_1
	v_cvt_f32_u32_sdwa v10, v6 dst_sel:DWORD dst_unused:UNUSED_PAD src0_sel:WORD_0
	v_cvt_f32_u32_sdwa v13, v7 dst_sel:DWORD dst_unused:UNUSED_PAD src0_sel:WORD_1
	v_cvt_f32_u32_sdwa v12, v7 dst_sel:DWORD dst_unused:UNUSED_PAD src0_sel:WORD_0
	;; [unrolled: 2-line block ×4, first 2 shown]
	s_waitcnt vmcnt(0)
	v_cvt_f32_u32_sdwa v9, v2 dst_sel:DWORD dst_unused:UNUSED_PAD src0_sel:WORD_1
	v_cvt_f32_u32_sdwa v8, v2 dst_sel:DWORD dst_unused:UNUSED_PAD src0_sel:WORD_0
	v_cvt_f32_u32_sdwa v17, v3 dst_sel:DWORD dst_unused:UNUSED_PAD src0_sel:WORD_1
	v_cvt_f32_u32_sdwa v16, v3 dst_sel:DWORD dst_unused:UNUSED_PAD src0_sel:WORD_0
	;; [unrolled: 2-line block ×4, first 2 shown]
	s_lshr_b32 s3, s3, 28
	s_ashr_i32 s5, s4, 31
	v_cmp_eq_u32_e32 vcc, 63, v1
	v_lshrrev_b32_e32 v1, 4, v0
	s_add_i32 s2, s2, s3
	s_lshr_b32 s5, s5, 30
	v_and_b32_e32 v35, 60, v1
	v_and_b32_e32 v1, 3, v0
	s_ashr_i32 s2, s2, 4
	s_add_i32 s4, s4, s5
	v_lshlrev_b32_e32 v33, 4, v0
	s_lshl_b32 s14, s10, 2
	v_lshlrev_b32_e32 v34, 6, v0
	v_lshlrev_b32_e32 v36, 2, v1
	v_cmp_eq_u32_e64 s[0:1], 0, v0
	v_cmp_gt_u32_e64 s[2:3], s2, v0
	s_and_b32 s22, s4, -4
	s_mov_b32 s26, 0x2edbe6ff
	v_mov_b32_e32 v37, 0
	s_branch .LBB197_4
.LBB197_2:                              ;   in Loop: Header=BB197_4 Depth=1
	s_or_b64 exec, exec, s[4:5]
.LBB197_3:                              ;   in Loop: Header=BB197_4 Depth=1
	s_add_i32 s11, s11, 1
	s_add_i32 s6, s6, s8
	s_cmp_eq_u32 s9, s11
	s_cbranch_scc1 .LBB197_11
.LBB197_4:                              ; =>This Inner Loop Header: Depth=1
	v_readlane_b32 s4, v32, s11
	s_cmp_lt_i32 s4, 0
	s_cbranch_scc1 .LBB197_3
; %bb.5:                                ;   in Loop: Header=BB197_4 Depth=1
	s_mul_i32 s4, s4, s10
	s_ashr_i32 s5, s4, 31
	s_lshl_b64 s[4:5], s[4:5], 2
	s_waitcnt lgkmcnt(0)
	s_add_u32 s12, s24, s4
	s_addc_u32 s4, s25, s5
	s_and_b32 s13, s4, 0xffff
	buffer_load_dwordx4 v[20:23], v34, s[12:15], 0 offen
	buffer_load_dwordx4 v[24:27], v34, s[12:15], 16 offen
	;; [unrolled: 1-line block ×4, first 2 shown]
	s_waitcnt vmcnt(3)
	v_pk_mul_f32 v[28:29], v[20:21], v[10:11]
	v_pk_mul_f32 v[30:31], v[22:23], v[12:13]
	s_waitcnt vmcnt(1)
	v_pk_mul_f32 v[20:21], v[38:39], v[8:9]
	v_max3_f32 v38, |v28|, s26, |v29|
	v_pk_mul_f32 v[24:25], v[24:25], v[6:7]
	v_max3_f32 v38, v38, |v30|, |v31|
	v_pk_mul_f32 v[26:27], v[26:27], v[14:15]
	v_max3_f32 v38, v38, |v24|, |v25|
	v_max3_f32 v38, v38, |v26|, |v27|
	v_pk_mul_f32 v[22:23], v[40:41], v[16:17]
	v_max3_f32 v38, v38, |v20|, |v21|
	s_waitcnt vmcnt(0)
	v_pk_mul_f32 v[0:1], v[42:43], v[2:3]
	v_max3_f32 v38, v38, |v22|, |v23|
	v_pk_mul_f32 v[4:5], v[44:45], v[18:19]
	v_max3_f32 v38, v38, |v0|, |v1|
	v_max3_f32 v38, v38, |v4|, |v5|
	s_nop 1
	v_mov_b32_dpp v39, v38 quad_perm:[1,0,3,2] row_mask:0xf bank_mask:0xf
	v_cmp_gt_f32_e64 s[4:5], v38, v39
	v_cndmask_b32_e64 v38, v39, v38, s[4:5]
	s_nop 1
	v_mov_b32_dpp v39, v38 quad_perm:[2,3,0,1] row_mask:0xf bank_mask:0xf
	v_cmp_gt_f32_e64 s[4:5], v38, v39
	v_cndmask_b32_e64 v38, v39, v38, s[4:5]
	s_nop 1
	v_mov_b32_dpp v39, v38 row_half_mirror row_mask:0xf bank_mask:0xf
	v_cmp_gt_f32_e64 s[4:5], v38, v39
	v_cndmask_b32_e64 v38, v39, v38, s[4:5]
	s_nop 1
	v_mov_b32_dpp v39, v38 row_mirror row_mask:0xf bank_mask:0xf
	v_cmp_gt_f32_e64 s[4:5], v38, v39
	v_cndmask_b32_e64 v38, v39, v38, s[4:5]
	s_nop 1
	v_mov_b32_dpp v39, v38 row_bcast:15 row_mask:0xf bank_mask:0xf
	v_cmp_gt_f32_e64 s[4:5], v38, v39
	v_cndmask_b32_e64 v38, v39, v38, s[4:5]
	s_nop 1
	v_mov_b32_dpp v39, v38 row_bcast:31 row_mask:0xf bank_mask:0xf
	s_and_saveexec_b64 s[12:13], vcc
	s_cbranch_execz .LBB197_7
; %bb.6:                                ;   in Loop: Header=BB197_4 Depth=1
	v_cmp_gt_f32_e64 s[4:5], v38, v39
	v_cndmask_b32_e64 v38, v39, v38, s[4:5]
	ds_write_b32 v35, v38
.LBB197_7:                              ;   in Loop: Header=BB197_4 Depth=1
	s_or_b64 exec, exec, s[12:13]
	s_waitcnt lgkmcnt(0)
	s_barrier
	ds_read_b32 v38, v36
	s_waitcnt lgkmcnt(0)
	s_nop 0
	v_mov_b32_dpp v39, v38 quad_perm:[1,0,3,2] row_mask:0xf bank_mask:0xf
	v_cmp_gt_f32_e64 s[4:5], v38, v39
	v_cndmask_b32_e64 v38, v39, v38, s[4:5]
	s_nop 1
	v_mov_b32_dpp v39, v38 quad_perm:[2,3,0,1] row_mask:0xf bank_mask:0xf
	v_cmp_gt_f32_e64 s[4:5], v38, v39
	v_cndmask_b32_e64 v38, v39, v38, s[4:5]
	v_mul_f32_e32 v38, 0x3c010204, v38
	s_and_saveexec_b64 s[4:5], s[0:1]
	s_cbranch_execz .LBB197_9
; %bb.8:                                ;   in Loop: Header=BB197_4 Depth=1
	s_ashr_i32 s7, s6, 31
	s_lshl_b64 s[12:13], s[6:7], 2
	s_add_u32 s12, s18, s12
	s_addc_u32 s13, s19, s13
	global_store_dword v37, v38, s[12:13]
.LBB197_9:                              ;   in Loop: Header=BB197_4 Depth=1
	s_or_b64 exec, exec, s[4:5]
	s_and_saveexec_b64 s[4:5], s[2:3]
	s_cbranch_execz .LBB197_2
; %bb.10:                               ;   in Loop: Header=BB197_4 Depth=1
	v_rcp_f32_e32 v38, v38
	s_mul_i32 s12, s6, s10
	s_mul_hi_i32 s7, s6, s10
	s_add_u32 s20, s16, s12
	v_mov_b32_e32 v39, v38
	;;#ASMSTART
	v_pk_mul_f32 v[28:29], v[28:29], v[38:39]
	;;#ASMEND
	v_cvt_i32_f32_e32 v40, v28
	v_cvt_i32_f32_sdwa v41, v29 dst_sel:BYTE_1 dst_unused:UNUSED_PAD src0_sel:DWORD
	;;#ASMSTART
	v_pk_mul_f32 v[28:29], v[30:31], v[38:39]
	;;#ASMEND
	;;#ASMSTART
	v_pk_mul_f32 v[24:25], v[24:25], v[38:39]
	;;#ASMEND
	v_cvt_i32_f32_e32 v28, v28
	v_cvt_i32_f32_sdwa v29, v29 dst_sel:BYTE_1 dst_unused:UNUSED_PAD src0_sel:DWORD
	v_cvt_i32_f32_e32 v30, v24
	v_cvt_i32_f32_sdwa v31, v25 dst_sel:BYTE_1 dst_unused:UNUSED_PAD src0_sel:DWORD
	;;#ASMSTART
	v_pk_mul_f32 v[24:25], v[26:27], v[38:39]
	;;#ASMEND
	;;#ASMSTART
	v_pk_mul_f32 v[20:21], v[20:21], v[38:39]
	;;#ASMEND
	v_cvt_i32_f32_e32 v24, v24
	v_cvt_i32_f32_sdwa v25, v25 dst_sel:BYTE_1 dst_unused:UNUSED_PAD src0_sel:DWORD
	;; [unrolled: 10-line block ×3, first 2 shown]
	v_cvt_i32_f32_e32 v42, v0
	v_cvt_i32_f32_sdwa v43, v1 dst_sel:BYTE_1 dst_unused:UNUSED_PAD src0_sel:DWORD
	;;#ASMSTART
	v_pk_mul_f32 v[0:1], v[4:5], v[38:39]
	;;#ASMEND
	v_cvt_i32_f32_e32 v0, v0
	v_cvt_i32_f32_sdwa v1, v1 dst_sel:BYTE_1 dst_unused:UNUSED_PAD src0_sel:DWORD
	v_or_b32_sdwa v4, v40, v41 dst_sel:DWORD dst_unused:UNUSED_PAD src0_sel:BYTE_0 src1_sel:DWORD
	v_or_b32_sdwa v5, v28, v29 dst_sel:WORD_1 dst_unused:UNUSED_PAD src0_sel:BYTE_0 src1_sel:DWORD
	v_or_b32_sdwa v20, v4, v5 dst_sel:DWORD dst_unused:UNUSED_PAD src0_sel:WORD_0 src1_sel:DWORD
	v_or_b32_sdwa v4, v30, v31 dst_sel:DWORD dst_unused:UNUSED_PAD src0_sel:BYTE_0 src1_sel:DWORD
	v_or_b32_sdwa v5, v24, v25 dst_sel:WORD_1 dst_unused:UNUSED_PAD src0_sel:BYTE_0 src1_sel:DWORD
	v_or_b32_sdwa v21, v4, v5 dst_sel:DWORD dst_unused:UNUSED_PAD src0_sel:WORD_0 src1_sel:DWORD
	v_or_b32_sdwa v4, v26, v27 dst_sel:DWORD dst_unused:UNUSED_PAD src0_sel:BYTE_0 src1_sel:DWORD
	v_or_b32_sdwa v5, v22, v23 dst_sel:WORD_1 dst_unused:UNUSED_PAD src0_sel:BYTE_0 src1_sel:DWORD
	s_addc_u32 s7, s17, s7
	v_or_b32_sdwa v22, v4, v5 dst_sel:DWORD dst_unused:UNUSED_PAD src0_sel:WORD_0 src1_sel:DWORD
	v_or_b32_sdwa v4, v42, v43 dst_sel:DWORD dst_unused:UNUSED_PAD src0_sel:BYTE_0 src1_sel:DWORD
	v_or_b32_sdwa v0, v0, v1 dst_sel:WORD_1 dst_unused:UNUSED_PAD src0_sel:BYTE_0 src1_sel:DWORD
	s_and_b32 s21, s7, 0xffff
	s_mov_b32 s23, s15
	v_or_b32_sdwa v23, v4, v0 dst_sel:DWORD dst_unused:UNUSED_PAD src0_sel:WORD_0 src1_sel:DWORD
	buffer_store_dwordx4 v[20:23], v33, s[20:23], 0 offen
	;;#ASMSTART
	s_nop 0
	;;#ASMEND
	s_branch .LBB197_2
.LBB197_11:
	s_endpgm
	.section	.rodata,"a",@progbits
	.p2align	6, 0x0
	.amdhsa_kernel _ZN5aiter43moe_smooth_per_token_scaled_quant_kernel_v1ItaLi256ELi16ELb1ELb0ELi1024EEEvPT0_PfPT_S3_PiS6_iiiii
		.amdhsa_group_segment_fixed_size 16
		.amdhsa_private_segment_fixed_size 0
		.amdhsa_kernarg_size 68
		.amdhsa_user_sgpr_count 6
		.amdhsa_user_sgpr_private_segment_buffer 1
		.amdhsa_user_sgpr_dispatch_ptr 0
		.amdhsa_user_sgpr_queue_ptr 0
		.amdhsa_user_sgpr_kernarg_segment_ptr 1
		.amdhsa_user_sgpr_dispatch_id 0
		.amdhsa_user_sgpr_flat_scratch_init 0
		.amdhsa_user_sgpr_kernarg_preload_length 0
		.amdhsa_user_sgpr_kernarg_preload_offset 0
		.amdhsa_user_sgpr_private_segment_size 0
		.amdhsa_uses_dynamic_stack 0
		.amdhsa_system_sgpr_private_segment_wavefront_offset 0
		.amdhsa_system_sgpr_workgroup_id_x 1
		.amdhsa_system_sgpr_workgroup_id_y 0
		.amdhsa_system_sgpr_workgroup_id_z 0
		.amdhsa_system_sgpr_workgroup_info 0
		.amdhsa_system_vgpr_workitem_id 0
		.amdhsa_next_free_vgpr 46
		.amdhsa_next_free_sgpr 27
		.amdhsa_accum_offset 48
		.amdhsa_reserve_vcc 1
		.amdhsa_reserve_flat_scratch 0
		.amdhsa_float_round_mode_32 0
		.amdhsa_float_round_mode_16_64 0
		.amdhsa_float_denorm_mode_32 3
		.amdhsa_float_denorm_mode_16_64 3
		.amdhsa_dx10_clamp 1
		.amdhsa_ieee_mode 1
		.amdhsa_fp16_overflow 0
		.amdhsa_tg_split 0
		.amdhsa_exception_fp_ieee_invalid_op 0
		.amdhsa_exception_fp_denorm_src 0
		.amdhsa_exception_fp_ieee_div_zero 0
		.amdhsa_exception_fp_ieee_overflow 0
		.amdhsa_exception_fp_ieee_underflow 0
		.amdhsa_exception_fp_ieee_inexact 0
		.amdhsa_exception_int_div_zero 0
	.end_amdhsa_kernel
	.section	.text._ZN5aiter43moe_smooth_per_token_scaled_quant_kernel_v1ItaLi256ELi16ELb1ELb0ELi1024EEEvPT0_PfPT_S3_PiS6_iiiii,"axG",@progbits,_ZN5aiter43moe_smooth_per_token_scaled_quant_kernel_v1ItaLi256ELi16ELb1ELb0ELi1024EEEvPT0_PfPT_S3_PiS6_iiiii,comdat
.Lfunc_end197:
	.size	_ZN5aiter43moe_smooth_per_token_scaled_quant_kernel_v1ItaLi256ELi16ELb1ELb0ELi1024EEEvPT0_PfPT_S3_PiS6_iiiii, .Lfunc_end197-_ZN5aiter43moe_smooth_per_token_scaled_quant_kernel_v1ItaLi256ELi16ELb1ELb0ELi1024EEEvPT0_PfPT_S3_PiS6_iiiii
                                        ; -- End function
	.section	.AMDGPU.csdata,"",@progbits
; Kernel info:
; codeLenInByte = 1284
; NumSgprs: 31
; NumVgprs: 46
; NumAgprs: 0
; TotalNumVgprs: 46
; ScratchSize: 0
; MemoryBound: 0
; FloatMode: 240
; IeeeMode: 1
; LDSByteSize: 16 bytes/workgroup (compile time only)
; SGPRBlocks: 3
; VGPRBlocks: 5
; NumSGPRsForWavesPerEU: 31
; NumVGPRsForWavesPerEU: 46
; AccumOffset: 48
; Occupancy: 8
; WaveLimiterHint : 0
; COMPUTE_PGM_RSRC2:SCRATCH_EN: 0
; COMPUTE_PGM_RSRC2:USER_SGPR: 6
; COMPUTE_PGM_RSRC2:TRAP_HANDLER: 0
; COMPUTE_PGM_RSRC2:TGID_X_EN: 1
; COMPUTE_PGM_RSRC2:TGID_Y_EN: 0
; COMPUTE_PGM_RSRC2:TGID_Z_EN: 0
; COMPUTE_PGM_RSRC2:TIDIG_COMP_CNT: 0
; COMPUTE_PGM_RSRC3_GFX90A:ACCUM_OFFSET: 11
; COMPUTE_PGM_RSRC3_GFX90A:TG_SPLIT: 0
	.section	.text._ZN5aiter43moe_smooth_per_token_scaled_quant_kernel_v1IDF16_aLi256ELi16ELb0ELb1ELi1024EEEvPT0_PfPT_S3_PiS6_iiiii,"axG",@progbits,_ZN5aiter43moe_smooth_per_token_scaled_quant_kernel_v1IDF16_aLi256ELi16ELb0ELb1ELi1024EEEvPT0_PfPT_S3_PiS6_iiiii,comdat
	.protected	_ZN5aiter43moe_smooth_per_token_scaled_quant_kernel_v1IDF16_aLi256ELi16ELb0ELb1ELi1024EEEvPT0_PfPT_S3_PiS6_iiiii ; -- Begin function _ZN5aiter43moe_smooth_per_token_scaled_quant_kernel_v1IDF16_aLi256ELi16ELb0ELb1ELi1024EEEvPT0_PfPT_S3_PiS6_iiiii
	.globl	_ZN5aiter43moe_smooth_per_token_scaled_quant_kernel_v1IDF16_aLi256ELi16ELb0ELb1ELi1024EEEvPT0_PfPT_S3_PiS6_iiiii
	.p2align	8
	.type	_ZN5aiter43moe_smooth_per_token_scaled_quant_kernel_v1IDF16_aLi256ELi16ELb0ELb1ELi1024EEEvPT0_PfPT_S3_PiS6_iiiii,@function
_ZN5aiter43moe_smooth_per_token_scaled_quant_kernel_v1IDF16_aLi256ELi16ELb0ELb1ELi1024EEEvPT0_PfPT_S3_PiS6_iiiii: ; @_ZN5aiter43moe_smooth_per_token_scaled_quant_kernel_v1IDF16_aLi256ELi16ELb0ELb1ELi1024EEEvPT0_PfPT_S3_PiS6_iiiii
; %bb.0:
	s_load_dwordx4 s[8:11], s[4:5], 0x34
	s_load_dwordx4 s[12:15], s[4:5], 0x20
	s_load_dwordx2 s[16:17], s[4:5], 0x10
	v_and_b32_e32 v1, 0x3c0, v0
	v_lshlrev_b32_e32 v1, 2, v1
	v_lshlrev_b32_e32 v2, 2, v0
	v_readfirstlane_b32 s7, v1
	v_add_u32_e32 v3, 0x400, v1
	s_waitcnt lgkmcnt(0)
	s_lshl_b32 s2, s11, 2
	s_and_b32 s1, s15, 0xffff
	s_mov_b32 s3, 0x20000
	s_mov_b32 s0, s14
	;;#ASMSTART
	s_mov_b32 m0 s7
	buffer_load_dword v2, s[0:3], 0 offen offset:0 lds
	
	;;#ASMEND
	v_readfirstlane_b32 s7, v3
	v_add_u32_e32 v3, 0x400, v2
	;;#ASMSTART
	s_mov_b32 m0 s7
	buffer_load_dword v3, s[0:3], 0 offen offset:0 lds
	
	;;#ASMEND
	v_add_u32_e32 v3, 0x800, v1
	s_mul_i32 s20, s6, s8
	v_readfirstlane_b32 s7, v3
	v_add_u32_e32 v3, 0x800, v2
	;;#ASMSTART
	s_mov_b32 m0 s7
	buffer_load_dword v3, s[0:3], 0 offen offset:0 lds
	
	;;#ASMEND
	v_add_u32_e32 v1, 0xc00, v1
	s_ashr_i32 s21, s20, 31
	v_readfirstlane_b32 s7, v1
	v_add_u32_e32 v1, 0xc00, v2
	;;#ASMSTART
	s_mov_b32 m0 s7
	buffer_load_dword v1, s[0:3], 0 offen offset:0 lds
	
	;;#ASMEND
	s_lshl_b64 s[0:1], s[20:21], 2
	s_add_u32 s0, s12, s0
	v_and_b32_e32 v1, 63, v0
	s_addc_u32 s1, s13, s1
	s_lshl_b32 s2, s8, 2
	s_and_b32 s1, s1, 0xffff
	v_lshlrev_b32_e32 v2, 2, v1
	buffer_load_dword v32, v2, s[0:3], 0 offen
	s_mul_hi_i32 s1, s10, s6
	s_mul_i32 s0, s10, s6
	s_lshl_b64 s[0:1], s[0:1], 1
	s_add_u32 s0, s16, s0
	s_addc_u32 s1, s17, s1
	s_lshl_b32 s2, s9, 1
	s_and_b32 s1, s1, 0xffff
	v_lshlrev_b32_e32 v10, 5, v0
	buffer_load_dwordx4 v[6:9], v10, s[0:3], 0 offen
	buffer_load_dwordx4 v[2:5], v10, s[0:3], 16 offen
	v_cmp_gt_i32_e32 vcc, s8, v1
	s_waitcnt vmcnt(2)
	s_barrier
	v_cmp_gt_i32_e64 s[2:3], s11, v32
	v_cmp_lt_i32_e64 s[0:1], -1, v32
	s_and_b64 s[2:3], vcc, s[2:3]
	s_and_b64 s[2:3], s[2:3], s[0:1]
	s_and_saveexec_b64 s[0:1], s[2:3]
	s_cbranch_execz .LBB198_2
; %bb.1:
	v_lshlrev_b32_e32 v10, 2, v32
	ds_read_b32 v32, v10
.LBB198_2:
	s_or_b64 exec, exec, s[0:1]
	s_cmp_lt_i32 s8, 1
	s_cbranch_scc1 .LBB198_13
; %bb.3:
	s_add_i32 s2, s9, 15
	s_load_dwordx4 s[12:15], s[4:5], 0x0
	s_load_dwordx2 s[10:11], s[4:5], 0x18
	s_ashr_i32 s3, s2, 31
	s_add_i32 s4, s9, 3
	s_waitcnt vmcnt(1)
	v_cvt_f32_f16_sdwa v11, v6 dst_sel:DWORD dst_unused:UNUSED_PAD src0_sel:WORD_1
	v_cvt_f32_f16_e32 v10, v6
	v_cvt_f32_f16_sdwa v13, v7 dst_sel:DWORD dst_unused:UNUSED_PAD src0_sel:WORD_1
	v_cvt_f32_f16_e32 v12, v7
	;; [unrolled: 2-line block ×4, first 2 shown]
	s_waitcnt vmcnt(0)
	v_cvt_f32_f16_sdwa v9, v2 dst_sel:DWORD dst_unused:UNUSED_PAD src0_sel:WORD_1
	v_cvt_f32_f16_e32 v8, v2
	v_cvt_f32_f16_sdwa v17, v3 dst_sel:DWORD dst_unused:UNUSED_PAD src0_sel:WORD_1
	v_cvt_f32_f16_e32 v16, v3
	;; [unrolled: 2-line block ×4, first 2 shown]
	s_lshr_b32 s3, s3, 28
	s_ashr_i32 s5, s4, 31
	v_cmp_eq_u32_e32 vcc, 63, v1
	v_lshrrev_b32_e32 v1, 4, v0
	v_mov_b32_e32 v4, 0x1000
	s_add_i32 s2, s2, s3
	s_lshr_b32 s5, s5, 30
	v_and_or_b32 v35, v1, 60, v4
	v_and_b32_e32 v1, 3, v0
	s_ashr_i32 s2, s2, 4
	s_add_i32 s4, s4, s5
	s_mov_b32 s21, s9
	v_lshlrev_b32_e32 v33, 4, v0
	s_lshl_b32 s6, s9, 2
	v_lshlrev_b32_e32 v34, 6, v0
	v_lshl_or_b32 v36, v1, 2, v4
	s_mov_b32 s22, 0
	v_cmp_eq_u32_e64 s[0:1], 0, v0
	v_cmp_gt_u32_e64 s[2:3], s2, v0
	s_and_b32 s18, s4, -4
	s_mov_b32 s7, 0x20000
	s_mov_b32 s9, 0x2edbe6ff
	v_mov_b32_e32 v37, 0
	s_branch .LBB198_6
.LBB198_4:                              ;   in Loop: Header=BB198_6 Depth=1
	s_or_b64 exec, exec, s[4:5]
.LBB198_5:                              ;   in Loop: Header=BB198_6 Depth=1
	s_add_i32 s22, s22, 1
	s_cmp_eq_u32 s8, s22
	s_cbranch_scc1 .LBB198_13
.LBB198_6:                              ; =>This Inner Loop Header: Depth=1
	s_waitcnt lgkmcnt(0)
	v_readlane_b32 s4, v32, s22
	s_cmp_lt_i32 s4, 0
	s_cbranch_scc1 .LBB198_5
; %bb.7:                                ;   in Loop: Header=BB198_6 Depth=1
	s_mul_i32 s4, s4, s21
	s_ashr_i32 s5, s4, 31
	s_lshl_b64 s[4:5], s[4:5], 2
	s_add_u32 s4, s10, s4
	s_addc_u32 s5, s11, s5
	s_and_b32 s5, s5, 0xffff
	buffer_load_dwordx4 v[20:23], v34, s[4:7], 0 offen
	buffer_load_dwordx4 v[24:27], v34, s[4:7], 16 offen
	;; [unrolled: 1-line block ×4, first 2 shown]
	s_waitcnt vmcnt(3)
	v_pk_mul_f32 v[28:29], v[20:21], v[10:11]
	v_pk_mul_f32 v[30:31], v[22:23], v[12:13]
	s_waitcnt vmcnt(1)
	v_pk_mul_f32 v[20:21], v[38:39], v[8:9]
	v_max3_f32 v38, |v28|, s9, |v29|
	v_pk_mul_f32 v[24:25], v[24:25], v[6:7]
	v_max3_f32 v38, v38, |v30|, |v31|
	v_pk_mul_f32 v[26:27], v[26:27], v[14:15]
	v_max3_f32 v38, v38, |v24|, |v25|
	v_max3_f32 v38, v38, |v26|, |v27|
	v_pk_mul_f32 v[22:23], v[40:41], v[16:17]
	v_max3_f32 v38, v38, |v20|, |v21|
	s_waitcnt vmcnt(0)
	v_pk_mul_f32 v[0:1], v[42:43], v[2:3]
	v_max3_f32 v38, v38, |v22|, |v23|
	v_pk_mul_f32 v[4:5], v[44:45], v[18:19]
	v_max3_f32 v38, v38, |v0|, |v1|
	v_max3_f32 v38, v38, |v4|, |v5|
	s_nop 1
	v_mov_b32_dpp v39, v38 quad_perm:[1,0,3,2] row_mask:0xf bank_mask:0xf
	v_cmp_gt_f32_e64 s[4:5], v38, v39
	v_cndmask_b32_e64 v38, v39, v38, s[4:5]
	s_nop 1
	v_mov_b32_dpp v39, v38 quad_perm:[2,3,0,1] row_mask:0xf bank_mask:0xf
	v_cmp_gt_f32_e64 s[4:5], v38, v39
	v_cndmask_b32_e64 v38, v39, v38, s[4:5]
	s_nop 1
	v_mov_b32_dpp v39, v38 row_half_mirror row_mask:0xf bank_mask:0xf
	v_cmp_gt_f32_e64 s[4:5], v38, v39
	v_cndmask_b32_e64 v38, v39, v38, s[4:5]
	s_nop 1
	v_mov_b32_dpp v39, v38 row_mirror row_mask:0xf bank_mask:0xf
	v_cmp_gt_f32_e64 s[4:5], v38, v39
	v_cndmask_b32_e64 v38, v39, v38, s[4:5]
	s_nop 1
	v_mov_b32_dpp v39, v38 row_bcast:15 row_mask:0xf bank_mask:0xf
	v_cmp_gt_f32_e64 s[4:5], v38, v39
	v_cndmask_b32_e64 v38, v39, v38, s[4:5]
	s_nop 1
	v_mov_b32_dpp v39, v38 row_bcast:31 row_mask:0xf bank_mask:0xf
	s_and_saveexec_b64 s[16:17], vcc
	s_cbranch_execz .LBB198_9
; %bb.8:                                ;   in Loop: Header=BB198_6 Depth=1
	v_cmp_gt_f32_e64 s[4:5], v38, v39
	v_cndmask_b32_e64 v38, v39, v38, s[4:5]
	ds_write_b32 v35, v38
.LBB198_9:                              ;   in Loop: Header=BB198_6 Depth=1
	s_or_b64 exec, exec, s[16:17]
	s_waitcnt lgkmcnt(0)
	s_barrier
	ds_read_b32 v38, v36
	s_add_i32 s16, s20, s22
	s_waitcnt lgkmcnt(0)
	v_mov_b32_dpp v39, v38 quad_perm:[1,0,3,2] row_mask:0xf bank_mask:0xf
	v_cmp_gt_f32_e64 s[4:5], v38, v39
	v_cndmask_b32_e64 v38, v39, v38, s[4:5]
	s_nop 1
	v_mov_b32_dpp v39, v38 quad_perm:[2,3,0,1] row_mask:0xf bank_mask:0xf
	v_cmp_gt_f32_e64 s[4:5], v38, v39
	v_cndmask_b32_e64 v38, v39, v38, s[4:5]
	v_mul_f32_e32 v38, 0x3c010204, v38
	s_and_saveexec_b64 s[4:5], s[0:1]
	s_cbranch_execz .LBB198_11
; %bb.10:                               ;   in Loop: Header=BB198_6 Depth=1
	s_ashr_i32 s17, s16, 31
	s_lshl_b64 s[24:25], s[16:17], 2
	s_add_u32 s24, s14, s24
	s_addc_u32 s25, s15, s25
	global_store_dword v37, v38, s[24:25]
.LBB198_11:                             ;   in Loop: Header=BB198_6 Depth=1
	s_or_b64 exec, exec, s[4:5]
	s_and_saveexec_b64 s[4:5], s[2:3]
	s_cbranch_execz .LBB198_4
; %bb.12:                               ;   in Loop: Header=BB198_6 Depth=1
	v_rcp_f32_e32 v38, v38
	s_mul_hi_i32 s17, s16, s21
	s_mul_i32 s16, s16, s21
	s_add_u32 s16, s12, s16
	v_mov_b32_e32 v39, v38
	;;#ASMSTART
	v_pk_mul_f32 v[28:29], v[28:29], v[38:39]
	;;#ASMEND
	v_cvt_i32_f32_e32 v40, v28
	v_cvt_i32_f32_sdwa v41, v29 dst_sel:BYTE_1 dst_unused:UNUSED_PAD src0_sel:DWORD
	;;#ASMSTART
	v_pk_mul_f32 v[28:29], v[30:31], v[38:39]
	;;#ASMEND
	;;#ASMSTART
	v_pk_mul_f32 v[24:25], v[24:25], v[38:39]
	;;#ASMEND
	v_cvt_i32_f32_e32 v28, v28
	v_cvt_i32_f32_sdwa v29, v29 dst_sel:BYTE_1 dst_unused:UNUSED_PAD src0_sel:DWORD
	v_cvt_i32_f32_e32 v30, v24
	v_cvt_i32_f32_sdwa v31, v25 dst_sel:BYTE_1 dst_unused:UNUSED_PAD src0_sel:DWORD
	;;#ASMSTART
	v_pk_mul_f32 v[24:25], v[26:27], v[38:39]
	;;#ASMEND
	;;#ASMSTART
	v_pk_mul_f32 v[20:21], v[20:21], v[38:39]
	;;#ASMEND
	v_cvt_i32_f32_e32 v24, v24
	v_cvt_i32_f32_sdwa v25, v25 dst_sel:BYTE_1 dst_unused:UNUSED_PAD src0_sel:DWORD
	;; [unrolled: 10-line block ×3, first 2 shown]
	v_cvt_i32_f32_e32 v42, v0
	v_cvt_i32_f32_sdwa v43, v1 dst_sel:BYTE_1 dst_unused:UNUSED_PAD src0_sel:DWORD
	;;#ASMSTART
	v_pk_mul_f32 v[0:1], v[4:5], v[38:39]
	;;#ASMEND
	v_cvt_i32_f32_e32 v0, v0
	v_cvt_i32_f32_sdwa v1, v1 dst_sel:BYTE_1 dst_unused:UNUSED_PAD src0_sel:DWORD
	v_or_b32_sdwa v4, v40, v41 dst_sel:DWORD dst_unused:UNUSED_PAD src0_sel:BYTE_0 src1_sel:DWORD
	v_or_b32_sdwa v5, v28, v29 dst_sel:WORD_1 dst_unused:UNUSED_PAD src0_sel:BYTE_0 src1_sel:DWORD
	v_or_b32_sdwa v20, v4, v5 dst_sel:DWORD dst_unused:UNUSED_PAD src0_sel:WORD_0 src1_sel:DWORD
	v_or_b32_sdwa v4, v30, v31 dst_sel:DWORD dst_unused:UNUSED_PAD src0_sel:BYTE_0 src1_sel:DWORD
	v_or_b32_sdwa v5, v24, v25 dst_sel:WORD_1 dst_unused:UNUSED_PAD src0_sel:BYTE_0 src1_sel:DWORD
	v_or_b32_sdwa v21, v4, v5 dst_sel:DWORD dst_unused:UNUSED_PAD src0_sel:WORD_0 src1_sel:DWORD
	v_or_b32_sdwa v4, v26, v27 dst_sel:DWORD dst_unused:UNUSED_PAD src0_sel:BYTE_0 src1_sel:DWORD
	v_or_b32_sdwa v5, v22, v23 dst_sel:WORD_1 dst_unused:UNUSED_PAD src0_sel:BYTE_0 src1_sel:DWORD
	s_addc_u32 s17, s13, s17
	v_or_b32_sdwa v22, v4, v5 dst_sel:DWORD dst_unused:UNUSED_PAD src0_sel:WORD_0 src1_sel:DWORD
	v_or_b32_sdwa v4, v42, v43 dst_sel:DWORD dst_unused:UNUSED_PAD src0_sel:BYTE_0 src1_sel:DWORD
	v_or_b32_sdwa v0, v0, v1 dst_sel:WORD_1 dst_unused:UNUSED_PAD src0_sel:BYTE_0 src1_sel:DWORD
	s_and_b32 s17, s17, 0xffff
	s_mov_b32 s19, s7
	v_or_b32_sdwa v23, v4, v0 dst_sel:DWORD dst_unused:UNUSED_PAD src0_sel:WORD_0 src1_sel:DWORD
	buffer_store_dwordx4 v[20:23], v33, s[16:19], 0 offen
	;;#ASMSTART
	s_nop 0
	;;#ASMEND
	s_branch .LBB198_4
.LBB198_13:
	s_endpgm
	.section	.rodata,"a",@progbits
	.p2align	6, 0x0
	.amdhsa_kernel _ZN5aiter43moe_smooth_per_token_scaled_quant_kernel_v1IDF16_aLi256ELi16ELb0ELb1ELi1024EEEvPT0_PfPT_S3_PiS6_iiiii
		.amdhsa_group_segment_fixed_size 4112
		.amdhsa_private_segment_fixed_size 0
		.amdhsa_kernarg_size 68
		.amdhsa_user_sgpr_count 6
		.amdhsa_user_sgpr_private_segment_buffer 1
		.amdhsa_user_sgpr_dispatch_ptr 0
		.amdhsa_user_sgpr_queue_ptr 0
		.amdhsa_user_sgpr_kernarg_segment_ptr 1
		.amdhsa_user_sgpr_dispatch_id 0
		.amdhsa_user_sgpr_flat_scratch_init 0
		.amdhsa_user_sgpr_kernarg_preload_length 0
		.amdhsa_user_sgpr_kernarg_preload_offset 0
		.amdhsa_user_sgpr_private_segment_size 0
		.amdhsa_uses_dynamic_stack 0
		.amdhsa_system_sgpr_private_segment_wavefront_offset 0
		.amdhsa_system_sgpr_workgroup_id_x 1
		.amdhsa_system_sgpr_workgroup_id_y 0
		.amdhsa_system_sgpr_workgroup_id_z 0
		.amdhsa_system_sgpr_workgroup_info 0
		.amdhsa_system_vgpr_workitem_id 0
		.amdhsa_next_free_vgpr 46
		.amdhsa_next_free_sgpr 26
		.amdhsa_accum_offset 48
		.amdhsa_reserve_vcc 1
		.amdhsa_reserve_flat_scratch 0
		.amdhsa_float_round_mode_32 0
		.amdhsa_float_round_mode_16_64 0
		.amdhsa_float_denorm_mode_32 3
		.amdhsa_float_denorm_mode_16_64 3
		.amdhsa_dx10_clamp 1
		.amdhsa_ieee_mode 1
		.amdhsa_fp16_overflow 0
		.amdhsa_tg_split 0
		.amdhsa_exception_fp_ieee_invalid_op 0
		.amdhsa_exception_fp_denorm_src 0
		.amdhsa_exception_fp_ieee_div_zero 0
		.amdhsa_exception_fp_ieee_overflow 0
		.amdhsa_exception_fp_ieee_underflow 0
		.amdhsa_exception_fp_ieee_inexact 0
		.amdhsa_exception_int_div_zero 0
	.end_amdhsa_kernel
	.section	.text._ZN5aiter43moe_smooth_per_token_scaled_quant_kernel_v1IDF16_aLi256ELi16ELb0ELb1ELi1024EEEvPT0_PfPT_S3_PiS6_iiiii,"axG",@progbits,_ZN5aiter43moe_smooth_per_token_scaled_quant_kernel_v1IDF16_aLi256ELi16ELb0ELb1ELi1024EEEvPT0_PfPT_S3_PiS6_iiiii,comdat
.Lfunc_end198:
	.size	_ZN5aiter43moe_smooth_per_token_scaled_quant_kernel_v1IDF16_aLi256ELi16ELb0ELb1ELi1024EEEvPT0_PfPT_S3_PiS6_iiiii, .Lfunc_end198-_ZN5aiter43moe_smooth_per_token_scaled_quant_kernel_v1IDF16_aLi256ELi16ELb0ELb1ELi1024EEEvPT0_PfPT_S3_PiS6_iiiii
                                        ; -- End function
	.section	.AMDGPU.csdata,"",@progbits
; Kernel info:
; codeLenInByte = 1488
; NumSgprs: 30
; NumVgprs: 46
; NumAgprs: 0
; TotalNumVgprs: 46
; ScratchSize: 0
; MemoryBound: 0
; FloatMode: 240
; IeeeMode: 1
; LDSByteSize: 4112 bytes/workgroup (compile time only)
; SGPRBlocks: 3
; VGPRBlocks: 5
; NumSGPRsForWavesPerEU: 30
; NumVGPRsForWavesPerEU: 46
; AccumOffset: 48
; Occupancy: 8
; WaveLimiterHint : 0
; COMPUTE_PGM_RSRC2:SCRATCH_EN: 0
; COMPUTE_PGM_RSRC2:USER_SGPR: 6
; COMPUTE_PGM_RSRC2:TRAP_HANDLER: 0
; COMPUTE_PGM_RSRC2:TGID_X_EN: 1
; COMPUTE_PGM_RSRC2:TGID_Y_EN: 0
; COMPUTE_PGM_RSRC2:TGID_Z_EN: 0
; COMPUTE_PGM_RSRC2:TIDIG_COMP_CNT: 0
; COMPUTE_PGM_RSRC3_GFX90A:ACCUM_OFFSET: 11
; COMPUTE_PGM_RSRC3_GFX90A:TG_SPLIT: 0
	.section	.text._ZN5aiter43moe_smooth_per_token_scaled_quant_kernel_v1ItaLi256ELi16ELb0ELb1ELi1024EEEvPT0_PfPT_S3_PiS6_iiiii,"axG",@progbits,_ZN5aiter43moe_smooth_per_token_scaled_quant_kernel_v1ItaLi256ELi16ELb0ELb1ELi1024EEEvPT0_PfPT_S3_PiS6_iiiii,comdat
	.protected	_ZN5aiter43moe_smooth_per_token_scaled_quant_kernel_v1ItaLi256ELi16ELb0ELb1ELi1024EEEvPT0_PfPT_S3_PiS6_iiiii ; -- Begin function _ZN5aiter43moe_smooth_per_token_scaled_quant_kernel_v1ItaLi256ELi16ELb0ELb1ELi1024EEEvPT0_PfPT_S3_PiS6_iiiii
	.globl	_ZN5aiter43moe_smooth_per_token_scaled_quant_kernel_v1ItaLi256ELi16ELb0ELb1ELi1024EEEvPT0_PfPT_S3_PiS6_iiiii
	.p2align	8
	.type	_ZN5aiter43moe_smooth_per_token_scaled_quant_kernel_v1ItaLi256ELi16ELb0ELb1ELi1024EEEvPT0_PfPT_S3_PiS6_iiiii,@function
_ZN5aiter43moe_smooth_per_token_scaled_quant_kernel_v1ItaLi256ELi16ELb0ELb1ELi1024EEEvPT0_PfPT_S3_PiS6_iiiii: ; @_ZN5aiter43moe_smooth_per_token_scaled_quant_kernel_v1ItaLi256ELi16ELb0ELb1ELi1024EEEvPT0_PfPT_S3_PiS6_iiiii
; %bb.0:
	s_load_dwordx4 s[8:11], s[4:5], 0x34
	s_load_dwordx4 s[12:15], s[4:5], 0x20
	s_load_dwordx2 s[16:17], s[4:5], 0x10
	v_and_b32_e32 v1, 0x3c0, v0
	v_lshlrev_b32_e32 v1, 2, v1
	v_lshlrev_b32_e32 v2, 2, v0
	v_readfirstlane_b32 s7, v1
	v_add_u32_e32 v3, 0x400, v1
	s_waitcnt lgkmcnt(0)
	s_lshl_b32 s2, s11, 2
	s_and_b32 s1, s15, 0xffff
	s_mov_b32 s3, 0x20000
	s_mov_b32 s0, s14
	;;#ASMSTART
	s_mov_b32 m0 s7
	buffer_load_dword v2, s[0:3], 0 offen offset:0 lds
	
	;;#ASMEND
	v_readfirstlane_b32 s7, v3
	v_add_u32_e32 v3, 0x400, v2
	;;#ASMSTART
	s_mov_b32 m0 s7
	buffer_load_dword v3, s[0:3], 0 offen offset:0 lds
	
	;;#ASMEND
	v_add_u32_e32 v3, 0x800, v1
	s_mul_i32 s20, s6, s8
	v_readfirstlane_b32 s7, v3
	v_add_u32_e32 v3, 0x800, v2
	;;#ASMSTART
	s_mov_b32 m0 s7
	buffer_load_dword v3, s[0:3], 0 offen offset:0 lds
	
	;;#ASMEND
	v_add_u32_e32 v1, 0xc00, v1
	s_ashr_i32 s21, s20, 31
	v_readfirstlane_b32 s7, v1
	v_add_u32_e32 v1, 0xc00, v2
	;;#ASMSTART
	s_mov_b32 m0 s7
	buffer_load_dword v1, s[0:3], 0 offen offset:0 lds
	
	;;#ASMEND
	s_lshl_b64 s[0:1], s[20:21], 2
	s_add_u32 s0, s12, s0
	v_and_b32_e32 v1, 63, v0
	s_addc_u32 s1, s13, s1
	s_lshl_b32 s2, s8, 2
	s_and_b32 s1, s1, 0xffff
	v_lshlrev_b32_e32 v2, 2, v1
	buffer_load_dword v32, v2, s[0:3], 0 offen
	s_mul_hi_i32 s1, s10, s6
	s_mul_i32 s0, s10, s6
	s_lshl_b64 s[0:1], s[0:1], 1
	s_add_u32 s0, s16, s0
	s_addc_u32 s1, s17, s1
	s_lshl_b32 s2, s9, 1
	s_and_b32 s1, s1, 0xffff
	v_lshlrev_b32_e32 v10, 5, v0
	buffer_load_dwordx4 v[6:9], v10, s[0:3], 0 offen
	buffer_load_dwordx4 v[2:5], v10, s[0:3], 16 offen
	v_cmp_gt_i32_e32 vcc, s8, v1
	s_waitcnt vmcnt(2)
	s_barrier
	v_cmp_gt_i32_e64 s[2:3], s11, v32
	v_cmp_lt_i32_e64 s[0:1], -1, v32
	s_and_b64 s[2:3], vcc, s[2:3]
	s_and_b64 s[2:3], s[2:3], s[0:1]
	s_and_saveexec_b64 s[0:1], s[2:3]
	s_cbranch_execz .LBB199_2
; %bb.1:
	v_lshlrev_b32_e32 v10, 2, v32
	ds_read_b32 v32, v10
.LBB199_2:
	s_or_b64 exec, exec, s[0:1]
	s_cmp_lt_i32 s8, 1
	s_cbranch_scc1 .LBB199_13
; %bb.3:
	s_add_i32 s2, s9, 15
	s_load_dwordx4 s[12:15], s[4:5], 0x0
	s_load_dwordx2 s[10:11], s[4:5], 0x18
	s_ashr_i32 s3, s2, 31
	s_add_i32 s4, s9, 3
	s_waitcnt vmcnt(1)
	v_cvt_f32_u32_sdwa v11, v6 dst_sel:DWORD dst_unused:UNUSED_PAD src0_sel:WORD_1
	v_cvt_f32_u32_sdwa v10, v6 dst_sel:DWORD dst_unused:UNUSED_PAD src0_sel:WORD_0
	v_cvt_f32_u32_sdwa v13, v7 dst_sel:DWORD dst_unused:UNUSED_PAD src0_sel:WORD_1
	v_cvt_f32_u32_sdwa v12, v7 dst_sel:DWORD dst_unused:UNUSED_PAD src0_sel:WORD_0
	;; [unrolled: 2-line block ×4, first 2 shown]
	s_waitcnt vmcnt(0)
	v_cvt_f32_u32_sdwa v9, v2 dst_sel:DWORD dst_unused:UNUSED_PAD src0_sel:WORD_1
	v_cvt_f32_u32_sdwa v8, v2 dst_sel:DWORD dst_unused:UNUSED_PAD src0_sel:WORD_0
	v_cvt_f32_u32_sdwa v17, v3 dst_sel:DWORD dst_unused:UNUSED_PAD src0_sel:WORD_1
	v_cvt_f32_u32_sdwa v16, v3 dst_sel:DWORD dst_unused:UNUSED_PAD src0_sel:WORD_0
	;; [unrolled: 2-line block ×4, first 2 shown]
	s_lshr_b32 s3, s3, 28
	s_ashr_i32 s5, s4, 31
	v_cmp_eq_u32_e32 vcc, 63, v1
	v_lshrrev_b32_e32 v1, 4, v0
	v_mov_b32_e32 v4, 0x1000
	s_add_i32 s2, s2, s3
	s_lshr_b32 s5, s5, 30
	v_and_or_b32 v35, v1, 60, v4
	v_and_b32_e32 v1, 3, v0
	s_ashr_i32 s2, s2, 4
	s_add_i32 s4, s4, s5
	s_mov_b32 s21, s9
	v_lshlrev_b32_e32 v33, 4, v0
	s_lshl_b32 s6, s9, 2
	v_lshlrev_b32_e32 v34, 6, v0
	v_lshl_or_b32 v36, v1, 2, v4
	s_mov_b32 s22, 0
	v_cmp_eq_u32_e64 s[0:1], 0, v0
	v_cmp_gt_u32_e64 s[2:3], s2, v0
	s_and_b32 s18, s4, -4
	s_mov_b32 s7, 0x20000
	s_mov_b32 s9, 0x2edbe6ff
	v_mov_b32_e32 v37, 0
	s_branch .LBB199_6
.LBB199_4:                              ;   in Loop: Header=BB199_6 Depth=1
	s_or_b64 exec, exec, s[4:5]
.LBB199_5:                              ;   in Loop: Header=BB199_6 Depth=1
	s_add_i32 s22, s22, 1
	s_cmp_eq_u32 s8, s22
	s_cbranch_scc1 .LBB199_13
.LBB199_6:                              ; =>This Inner Loop Header: Depth=1
	s_waitcnt lgkmcnt(0)
	v_readlane_b32 s4, v32, s22
	s_cmp_lt_i32 s4, 0
	s_cbranch_scc1 .LBB199_5
; %bb.7:                                ;   in Loop: Header=BB199_6 Depth=1
	s_mul_i32 s4, s4, s21
	s_ashr_i32 s5, s4, 31
	s_lshl_b64 s[4:5], s[4:5], 2
	s_add_u32 s4, s10, s4
	s_addc_u32 s5, s11, s5
	s_and_b32 s5, s5, 0xffff
	buffer_load_dwordx4 v[20:23], v34, s[4:7], 0 offen
	buffer_load_dwordx4 v[24:27], v34, s[4:7], 16 offen
	;; [unrolled: 1-line block ×4, first 2 shown]
	s_waitcnt vmcnt(3)
	v_pk_mul_f32 v[28:29], v[20:21], v[10:11]
	v_pk_mul_f32 v[30:31], v[22:23], v[12:13]
	s_waitcnt vmcnt(1)
	v_pk_mul_f32 v[20:21], v[38:39], v[8:9]
	v_max3_f32 v38, |v28|, s9, |v29|
	v_pk_mul_f32 v[24:25], v[24:25], v[6:7]
	v_max3_f32 v38, v38, |v30|, |v31|
	v_pk_mul_f32 v[26:27], v[26:27], v[14:15]
	v_max3_f32 v38, v38, |v24|, |v25|
	v_max3_f32 v38, v38, |v26|, |v27|
	v_pk_mul_f32 v[22:23], v[40:41], v[16:17]
	v_max3_f32 v38, v38, |v20|, |v21|
	s_waitcnt vmcnt(0)
	v_pk_mul_f32 v[0:1], v[42:43], v[2:3]
	v_max3_f32 v38, v38, |v22|, |v23|
	v_pk_mul_f32 v[4:5], v[44:45], v[18:19]
	v_max3_f32 v38, v38, |v0|, |v1|
	v_max3_f32 v38, v38, |v4|, |v5|
	s_nop 1
	v_mov_b32_dpp v39, v38 quad_perm:[1,0,3,2] row_mask:0xf bank_mask:0xf
	v_cmp_gt_f32_e64 s[4:5], v38, v39
	v_cndmask_b32_e64 v38, v39, v38, s[4:5]
	s_nop 1
	v_mov_b32_dpp v39, v38 quad_perm:[2,3,0,1] row_mask:0xf bank_mask:0xf
	v_cmp_gt_f32_e64 s[4:5], v38, v39
	v_cndmask_b32_e64 v38, v39, v38, s[4:5]
	s_nop 1
	v_mov_b32_dpp v39, v38 row_half_mirror row_mask:0xf bank_mask:0xf
	v_cmp_gt_f32_e64 s[4:5], v38, v39
	v_cndmask_b32_e64 v38, v39, v38, s[4:5]
	s_nop 1
	v_mov_b32_dpp v39, v38 row_mirror row_mask:0xf bank_mask:0xf
	v_cmp_gt_f32_e64 s[4:5], v38, v39
	v_cndmask_b32_e64 v38, v39, v38, s[4:5]
	s_nop 1
	v_mov_b32_dpp v39, v38 row_bcast:15 row_mask:0xf bank_mask:0xf
	v_cmp_gt_f32_e64 s[4:5], v38, v39
	v_cndmask_b32_e64 v38, v39, v38, s[4:5]
	s_nop 1
	v_mov_b32_dpp v39, v38 row_bcast:31 row_mask:0xf bank_mask:0xf
	s_and_saveexec_b64 s[16:17], vcc
	s_cbranch_execz .LBB199_9
; %bb.8:                                ;   in Loop: Header=BB199_6 Depth=1
	v_cmp_gt_f32_e64 s[4:5], v38, v39
	v_cndmask_b32_e64 v38, v39, v38, s[4:5]
	ds_write_b32 v35, v38
.LBB199_9:                              ;   in Loop: Header=BB199_6 Depth=1
	s_or_b64 exec, exec, s[16:17]
	s_waitcnt lgkmcnt(0)
	s_barrier
	ds_read_b32 v38, v36
	s_add_i32 s16, s20, s22
	s_waitcnt lgkmcnt(0)
	v_mov_b32_dpp v39, v38 quad_perm:[1,0,3,2] row_mask:0xf bank_mask:0xf
	v_cmp_gt_f32_e64 s[4:5], v38, v39
	v_cndmask_b32_e64 v38, v39, v38, s[4:5]
	s_nop 1
	v_mov_b32_dpp v39, v38 quad_perm:[2,3,0,1] row_mask:0xf bank_mask:0xf
	v_cmp_gt_f32_e64 s[4:5], v38, v39
	v_cndmask_b32_e64 v38, v39, v38, s[4:5]
	v_mul_f32_e32 v38, 0x3c010204, v38
	s_and_saveexec_b64 s[4:5], s[0:1]
	s_cbranch_execz .LBB199_11
; %bb.10:                               ;   in Loop: Header=BB199_6 Depth=1
	s_ashr_i32 s17, s16, 31
	s_lshl_b64 s[24:25], s[16:17], 2
	s_add_u32 s24, s14, s24
	s_addc_u32 s25, s15, s25
	global_store_dword v37, v38, s[24:25]
.LBB199_11:                             ;   in Loop: Header=BB199_6 Depth=1
	s_or_b64 exec, exec, s[4:5]
	s_and_saveexec_b64 s[4:5], s[2:3]
	s_cbranch_execz .LBB199_4
; %bb.12:                               ;   in Loop: Header=BB199_6 Depth=1
	v_rcp_f32_e32 v38, v38
	s_mul_hi_i32 s17, s16, s21
	s_mul_i32 s16, s16, s21
	s_add_u32 s16, s12, s16
	v_mov_b32_e32 v39, v38
	;;#ASMSTART
	v_pk_mul_f32 v[28:29], v[28:29], v[38:39]
	;;#ASMEND
	v_cvt_i32_f32_e32 v40, v28
	v_cvt_i32_f32_sdwa v41, v29 dst_sel:BYTE_1 dst_unused:UNUSED_PAD src0_sel:DWORD
	;;#ASMSTART
	v_pk_mul_f32 v[28:29], v[30:31], v[38:39]
	;;#ASMEND
	;;#ASMSTART
	v_pk_mul_f32 v[24:25], v[24:25], v[38:39]
	;;#ASMEND
	v_cvt_i32_f32_e32 v28, v28
	v_cvt_i32_f32_sdwa v29, v29 dst_sel:BYTE_1 dst_unused:UNUSED_PAD src0_sel:DWORD
	v_cvt_i32_f32_e32 v30, v24
	v_cvt_i32_f32_sdwa v31, v25 dst_sel:BYTE_1 dst_unused:UNUSED_PAD src0_sel:DWORD
	;;#ASMSTART
	v_pk_mul_f32 v[24:25], v[26:27], v[38:39]
	;;#ASMEND
	;;#ASMSTART
	v_pk_mul_f32 v[20:21], v[20:21], v[38:39]
	;;#ASMEND
	v_cvt_i32_f32_e32 v24, v24
	v_cvt_i32_f32_sdwa v25, v25 dst_sel:BYTE_1 dst_unused:UNUSED_PAD src0_sel:DWORD
	;; [unrolled: 10-line block ×3, first 2 shown]
	v_cvt_i32_f32_e32 v42, v0
	v_cvt_i32_f32_sdwa v43, v1 dst_sel:BYTE_1 dst_unused:UNUSED_PAD src0_sel:DWORD
	;;#ASMSTART
	v_pk_mul_f32 v[0:1], v[4:5], v[38:39]
	;;#ASMEND
	v_cvt_i32_f32_e32 v0, v0
	v_cvt_i32_f32_sdwa v1, v1 dst_sel:BYTE_1 dst_unused:UNUSED_PAD src0_sel:DWORD
	v_or_b32_sdwa v4, v40, v41 dst_sel:DWORD dst_unused:UNUSED_PAD src0_sel:BYTE_0 src1_sel:DWORD
	v_or_b32_sdwa v5, v28, v29 dst_sel:WORD_1 dst_unused:UNUSED_PAD src0_sel:BYTE_0 src1_sel:DWORD
	v_or_b32_sdwa v20, v4, v5 dst_sel:DWORD dst_unused:UNUSED_PAD src0_sel:WORD_0 src1_sel:DWORD
	v_or_b32_sdwa v4, v30, v31 dst_sel:DWORD dst_unused:UNUSED_PAD src0_sel:BYTE_0 src1_sel:DWORD
	v_or_b32_sdwa v5, v24, v25 dst_sel:WORD_1 dst_unused:UNUSED_PAD src0_sel:BYTE_0 src1_sel:DWORD
	v_or_b32_sdwa v21, v4, v5 dst_sel:DWORD dst_unused:UNUSED_PAD src0_sel:WORD_0 src1_sel:DWORD
	v_or_b32_sdwa v4, v26, v27 dst_sel:DWORD dst_unused:UNUSED_PAD src0_sel:BYTE_0 src1_sel:DWORD
	v_or_b32_sdwa v5, v22, v23 dst_sel:WORD_1 dst_unused:UNUSED_PAD src0_sel:BYTE_0 src1_sel:DWORD
	s_addc_u32 s17, s13, s17
	v_or_b32_sdwa v22, v4, v5 dst_sel:DWORD dst_unused:UNUSED_PAD src0_sel:WORD_0 src1_sel:DWORD
	v_or_b32_sdwa v4, v42, v43 dst_sel:DWORD dst_unused:UNUSED_PAD src0_sel:BYTE_0 src1_sel:DWORD
	v_or_b32_sdwa v0, v0, v1 dst_sel:WORD_1 dst_unused:UNUSED_PAD src0_sel:BYTE_0 src1_sel:DWORD
	s_and_b32 s17, s17, 0xffff
	s_mov_b32 s19, s7
	v_or_b32_sdwa v23, v4, v0 dst_sel:DWORD dst_unused:UNUSED_PAD src0_sel:WORD_0 src1_sel:DWORD
	buffer_store_dwordx4 v[20:23], v33, s[16:19], 0 offen
	;;#ASMSTART
	s_nop 0
	;;#ASMEND
	s_branch .LBB199_4
.LBB199_13:
	s_endpgm
	.section	.rodata,"a",@progbits
	.p2align	6, 0x0
	.amdhsa_kernel _ZN5aiter43moe_smooth_per_token_scaled_quant_kernel_v1ItaLi256ELi16ELb0ELb1ELi1024EEEvPT0_PfPT_S3_PiS6_iiiii
		.amdhsa_group_segment_fixed_size 4112
		.amdhsa_private_segment_fixed_size 0
		.amdhsa_kernarg_size 68
		.amdhsa_user_sgpr_count 6
		.amdhsa_user_sgpr_private_segment_buffer 1
		.amdhsa_user_sgpr_dispatch_ptr 0
		.amdhsa_user_sgpr_queue_ptr 0
		.amdhsa_user_sgpr_kernarg_segment_ptr 1
		.amdhsa_user_sgpr_dispatch_id 0
		.amdhsa_user_sgpr_flat_scratch_init 0
		.amdhsa_user_sgpr_kernarg_preload_length 0
		.amdhsa_user_sgpr_kernarg_preload_offset 0
		.amdhsa_user_sgpr_private_segment_size 0
		.amdhsa_uses_dynamic_stack 0
		.amdhsa_system_sgpr_private_segment_wavefront_offset 0
		.amdhsa_system_sgpr_workgroup_id_x 1
		.amdhsa_system_sgpr_workgroup_id_y 0
		.amdhsa_system_sgpr_workgroup_id_z 0
		.amdhsa_system_sgpr_workgroup_info 0
		.amdhsa_system_vgpr_workitem_id 0
		.amdhsa_next_free_vgpr 46
		.amdhsa_next_free_sgpr 26
		.amdhsa_accum_offset 48
		.amdhsa_reserve_vcc 1
		.amdhsa_reserve_flat_scratch 0
		.amdhsa_float_round_mode_32 0
		.amdhsa_float_round_mode_16_64 0
		.amdhsa_float_denorm_mode_32 3
		.amdhsa_float_denorm_mode_16_64 3
		.amdhsa_dx10_clamp 1
		.amdhsa_ieee_mode 1
		.amdhsa_fp16_overflow 0
		.amdhsa_tg_split 0
		.amdhsa_exception_fp_ieee_invalid_op 0
		.amdhsa_exception_fp_denorm_src 0
		.amdhsa_exception_fp_ieee_div_zero 0
		.amdhsa_exception_fp_ieee_overflow 0
		.amdhsa_exception_fp_ieee_underflow 0
		.amdhsa_exception_fp_ieee_inexact 0
		.amdhsa_exception_int_div_zero 0
	.end_amdhsa_kernel
	.section	.text._ZN5aiter43moe_smooth_per_token_scaled_quant_kernel_v1ItaLi256ELi16ELb0ELb1ELi1024EEEvPT0_PfPT_S3_PiS6_iiiii,"axG",@progbits,_ZN5aiter43moe_smooth_per_token_scaled_quant_kernel_v1ItaLi256ELi16ELb0ELb1ELi1024EEEvPT0_PfPT_S3_PiS6_iiiii,comdat
.Lfunc_end199:
	.size	_ZN5aiter43moe_smooth_per_token_scaled_quant_kernel_v1ItaLi256ELi16ELb0ELb1ELi1024EEEvPT0_PfPT_S3_PiS6_iiiii, .Lfunc_end199-_ZN5aiter43moe_smooth_per_token_scaled_quant_kernel_v1ItaLi256ELi16ELb0ELb1ELi1024EEEvPT0_PfPT_S3_PiS6_iiiii
                                        ; -- End function
	.section	.AMDGPU.csdata,"",@progbits
; Kernel info:
; codeLenInByte = 1520
; NumSgprs: 30
; NumVgprs: 46
; NumAgprs: 0
; TotalNumVgprs: 46
; ScratchSize: 0
; MemoryBound: 0
; FloatMode: 240
; IeeeMode: 1
; LDSByteSize: 4112 bytes/workgroup (compile time only)
; SGPRBlocks: 3
; VGPRBlocks: 5
; NumSGPRsForWavesPerEU: 30
; NumVGPRsForWavesPerEU: 46
; AccumOffset: 48
; Occupancy: 8
; WaveLimiterHint : 0
; COMPUTE_PGM_RSRC2:SCRATCH_EN: 0
; COMPUTE_PGM_RSRC2:USER_SGPR: 6
; COMPUTE_PGM_RSRC2:TRAP_HANDLER: 0
; COMPUTE_PGM_RSRC2:TGID_X_EN: 1
; COMPUTE_PGM_RSRC2:TGID_Y_EN: 0
; COMPUTE_PGM_RSRC2:TGID_Z_EN: 0
; COMPUTE_PGM_RSRC2:TIDIG_COMP_CNT: 0
; COMPUTE_PGM_RSRC3_GFX90A:ACCUM_OFFSET: 11
; COMPUTE_PGM_RSRC3_GFX90A:TG_SPLIT: 0
	.section	.text._ZN5aiter43moe_smooth_per_token_scaled_quant_kernel_v1IDF16_aLi256ELi16ELb0ELb0ELi1024EEEvPT0_PfPT_S3_PiS6_iiiii,"axG",@progbits,_ZN5aiter43moe_smooth_per_token_scaled_quant_kernel_v1IDF16_aLi256ELi16ELb0ELb0ELi1024EEEvPT0_PfPT_S3_PiS6_iiiii,comdat
	.protected	_ZN5aiter43moe_smooth_per_token_scaled_quant_kernel_v1IDF16_aLi256ELi16ELb0ELb0ELi1024EEEvPT0_PfPT_S3_PiS6_iiiii ; -- Begin function _ZN5aiter43moe_smooth_per_token_scaled_quant_kernel_v1IDF16_aLi256ELi16ELb0ELb0ELi1024EEEvPT0_PfPT_S3_PiS6_iiiii
	.globl	_ZN5aiter43moe_smooth_per_token_scaled_quant_kernel_v1IDF16_aLi256ELi16ELb0ELb0ELi1024EEEvPT0_PfPT_S3_PiS6_iiiii
	.p2align	8
	.type	_ZN5aiter43moe_smooth_per_token_scaled_quant_kernel_v1IDF16_aLi256ELi16ELb0ELb0ELi1024EEEvPT0_PfPT_S3_PiS6_iiiii,@function
_ZN5aiter43moe_smooth_per_token_scaled_quant_kernel_v1IDF16_aLi256ELi16ELb0ELb0ELi1024EEEvPT0_PfPT_S3_PiS6_iiiii: ; @_ZN5aiter43moe_smooth_per_token_scaled_quant_kernel_v1IDF16_aLi256ELi16ELb0ELb0ELi1024EEEvPT0_PfPT_S3_PiS6_iiiii
; %bb.0:
	s_load_dwordx4 s[8:11], s[4:5], 0x34
	s_load_dwordx2 s[0:1], s[4:5], 0x10
	s_load_dwordx2 s[2:3], s[4:5], 0x20
	v_and_b32_e32 v1, 63, v0
	s_mov_b32 s15, 0x20000
	s_waitcnt lgkmcnt(0)
	s_mul_i32 s20, s6, s8
	s_ashr_i32 s21, s20, 31
	s_lshl_b64 s[12:13], s[20:21], 2
	s_add_u32 s12, s2, s12
	s_addc_u32 s2, s3, s13
	s_and_b32 s13, s2, 0xffff
	s_mul_hi_i32 s3, s10, s6
	s_mul_i32 s2, s10, s6
	s_lshl_b32 s14, s8, 2
	v_lshlrev_b32_e32 v2, 2, v1
	s_lshl_b64 s[2:3], s[2:3], 1
	buffer_load_dword v32, v2, s[12:15], 0 offen
	s_add_u32 s12, s0, s2
	s_addc_u32 s0, s1, s3
	s_lshl_b32 s14, s9, 1
	s_and_b32 s13, s0, 0xffff
	v_lshlrev_b32_e32 v10, 5, v0
	buffer_load_dwordx4 v[6:9], v10, s[12:15], 0 offen
	buffer_load_dwordx4 v[2:5], v10, s[12:15], 16 offen
	s_mov_b32 s21, 0
	s_cmp_lt_i32 s8, 1
	s_waitcnt vmcnt(2)
	s_barrier
	s_cbranch_scc1 .LBB200_11
; %bb.1:
	s_add_i32 s2, s9, 15
	s_load_dwordx4 s[16:19], s[4:5], 0x0
	s_load_dwordx2 s[10:11], s[4:5], 0x18
	s_ashr_i32 s3, s2, 31
	s_add_i32 s4, s9, 3
	s_waitcnt vmcnt(1)
	v_cvt_f32_f16_sdwa v11, v6 dst_sel:DWORD dst_unused:UNUSED_PAD src0_sel:WORD_1
	v_cvt_f32_f16_e32 v10, v6
	v_cvt_f32_f16_sdwa v13, v7 dst_sel:DWORD dst_unused:UNUSED_PAD src0_sel:WORD_1
	v_cvt_f32_f16_e32 v12, v7
	;; [unrolled: 2-line block ×4, first 2 shown]
	s_waitcnt vmcnt(0)
	v_cvt_f32_f16_sdwa v9, v2 dst_sel:DWORD dst_unused:UNUSED_PAD src0_sel:WORD_1
	v_cvt_f32_f16_e32 v8, v2
	v_cvt_f32_f16_sdwa v17, v3 dst_sel:DWORD dst_unused:UNUSED_PAD src0_sel:WORD_1
	v_cvt_f32_f16_e32 v16, v3
	;; [unrolled: 2-line block ×4, first 2 shown]
	s_lshr_b32 s3, s3, 28
	s_ashr_i32 s5, s4, 31
	v_cmp_eq_u32_e32 vcc, 63, v1
	v_lshrrev_b32_e32 v1, 4, v0
	s_add_i32 s2, s2, s3
	s_lshr_b32 s5, s5, 30
	v_and_b32_e32 v35, 60, v1
	v_and_b32_e32 v1, 3, v0
	s_ashr_i32 s2, s2, 4
	s_add_i32 s4, s4, s5
	s_mov_b32 s22, s9
	v_lshlrev_b32_e32 v33, 4, v0
	s_lshl_b32 s14, s9, 2
	v_lshlrev_b32_e32 v34, 6, v0
	v_lshlrev_b32_e32 v36, 2, v1
	v_cmp_eq_u32_e64 s[0:1], 0, v0
	v_cmp_gt_u32_e64 s[2:3], s2, v0
	s_and_b32 s6, s4, -4
	s_mov_b32 s9, 0x2edbe6ff
	v_mov_b32_e32 v37, 0
	s_branch .LBB200_4
.LBB200_2:                              ;   in Loop: Header=BB200_4 Depth=1
	s_or_b64 exec, exec, s[12:13]
.LBB200_3:                              ;   in Loop: Header=BB200_4 Depth=1
	s_add_i32 s21, s21, 1
	s_cmp_eq_u32 s8, s21
	s_cbranch_scc1 .LBB200_11
.LBB200_4:                              ; =>This Inner Loop Header: Depth=1
	v_readlane_b32 s4, v32, s21
	s_cmp_lt_i32 s4, 0
	s_cbranch_scc1 .LBB200_3
; %bb.5:                                ;   in Loop: Header=BB200_4 Depth=1
	s_mul_i32 s4, s4, s22
	s_ashr_i32 s5, s4, 31
	s_lshl_b64 s[4:5], s[4:5], 2
	s_waitcnt lgkmcnt(0)
	s_add_u32 s12, s10, s4
	s_addc_u32 s4, s11, s5
	s_and_b32 s13, s4, 0xffff
	buffer_load_dwordx4 v[20:23], v34, s[12:15], 0 offen
	buffer_load_dwordx4 v[24:27], v34, s[12:15], 16 offen
	;; [unrolled: 1-line block ×4, first 2 shown]
	s_waitcnt vmcnt(3)
	v_pk_mul_f32 v[28:29], v[20:21], v[10:11]
	v_pk_mul_f32 v[30:31], v[22:23], v[12:13]
	s_waitcnt vmcnt(1)
	v_pk_mul_f32 v[20:21], v[38:39], v[8:9]
	v_max3_f32 v38, |v28|, s9, |v29|
	v_pk_mul_f32 v[24:25], v[24:25], v[6:7]
	v_max3_f32 v38, v38, |v30|, |v31|
	v_pk_mul_f32 v[26:27], v[26:27], v[14:15]
	v_max3_f32 v38, v38, |v24|, |v25|
	v_max3_f32 v38, v38, |v26|, |v27|
	v_pk_mul_f32 v[22:23], v[40:41], v[16:17]
	v_max3_f32 v38, v38, |v20|, |v21|
	s_waitcnt vmcnt(0)
	v_pk_mul_f32 v[0:1], v[42:43], v[2:3]
	v_max3_f32 v38, v38, |v22|, |v23|
	v_pk_mul_f32 v[4:5], v[44:45], v[18:19]
	v_max3_f32 v38, v38, |v0|, |v1|
	v_max3_f32 v38, v38, |v4|, |v5|
	s_nop 1
	v_mov_b32_dpp v39, v38 quad_perm:[1,0,3,2] row_mask:0xf bank_mask:0xf
	v_cmp_gt_f32_e64 s[4:5], v38, v39
	v_cndmask_b32_e64 v38, v39, v38, s[4:5]
	s_nop 1
	v_mov_b32_dpp v39, v38 quad_perm:[2,3,0,1] row_mask:0xf bank_mask:0xf
	v_cmp_gt_f32_e64 s[4:5], v38, v39
	v_cndmask_b32_e64 v38, v39, v38, s[4:5]
	s_nop 1
	v_mov_b32_dpp v39, v38 row_half_mirror row_mask:0xf bank_mask:0xf
	v_cmp_gt_f32_e64 s[4:5], v38, v39
	v_cndmask_b32_e64 v38, v39, v38, s[4:5]
	s_nop 1
	v_mov_b32_dpp v39, v38 row_mirror row_mask:0xf bank_mask:0xf
	v_cmp_gt_f32_e64 s[4:5], v38, v39
	v_cndmask_b32_e64 v38, v39, v38, s[4:5]
	s_nop 1
	v_mov_b32_dpp v39, v38 row_bcast:15 row_mask:0xf bank_mask:0xf
	v_cmp_gt_f32_e64 s[4:5], v38, v39
	v_cndmask_b32_e64 v38, v39, v38, s[4:5]
	s_nop 1
	v_mov_b32_dpp v39, v38 row_bcast:31 row_mask:0xf bank_mask:0xf
	s_and_saveexec_b64 s[12:13], vcc
	s_cbranch_execz .LBB200_7
; %bb.6:                                ;   in Loop: Header=BB200_4 Depth=1
	v_cmp_gt_f32_e64 s[4:5], v38, v39
	v_cndmask_b32_e64 v38, v39, v38, s[4:5]
	ds_write_b32 v35, v38
.LBB200_7:                              ;   in Loop: Header=BB200_4 Depth=1
	s_or_b64 exec, exec, s[12:13]
	s_waitcnt lgkmcnt(0)
	s_barrier
	ds_read_b32 v38, v36
	s_waitcnt lgkmcnt(0)
	s_nop 0
	v_mov_b32_dpp v39, v38 quad_perm:[1,0,3,2] row_mask:0xf bank_mask:0xf
	v_cmp_gt_f32_e64 s[4:5], v38, v39
	v_cndmask_b32_e64 v38, v39, v38, s[4:5]
	s_nop 1
	v_mov_b32_dpp v39, v38 quad_perm:[2,3,0,1] row_mask:0xf bank_mask:0xf
	v_cmp_gt_f32_e64 s[4:5], v38, v39
	v_cndmask_b32_e64 v38, v39, v38, s[4:5]
	v_mul_f32_e32 v38, 0x3c010204, v38
	s_add_i32 s4, s20, s21
	s_and_saveexec_b64 s[12:13], s[0:1]
	s_cbranch_execz .LBB200_9
; %bb.8:                                ;   in Loop: Header=BB200_4 Depth=1
	s_ashr_i32 s5, s4, 31
	s_lshl_b64 s[24:25], s[4:5], 2
	s_add_u32 s24, s18, s24
	s_addc_u32 s25, s19, s25
	global_store_dword v37, v38, s[24:25]
.LBB200_9:                              ;   in Loop: Header=BB200_4 Depth=1
	s_or_b64 exec, exec, s[12:13]
	s_and_saveexec_b64 s[12:13], s[2:3]
	s_cbranch_execz .LBB200_2
; %bb.10:                               ;   in Loop: Header=BB200_4 Depth=1
	v_rcp_f32_e32 v38, v38
	s_mul_hi_i32 s5, s4, s22
	s_mul_i32 s4, s4, s22
	s_add_u32 s4, s16, s4
	v_mov_b32_e32 v39, v38
	;;#ASMSTART
	v_pk_mul_f32 v[28:29], v[28:29], v[38:39]
	;;#ASMEND
	v_cvt_i32_f32_e32 v40, v28
	v_cvt_i32_f32_sdwa v41, v29 dst_sel:BYTE_1 dst_unused:UNUSED_PAD src0_sel:DWORD
	;;#ASMSTART
	v_pk_mul_f32 v[28:29], v[30:31], v[38:39]
	;;#ASMEND
	;;#ASMSTART
	v_pk_mul_f32 v[24:25], v[24:25], v[38:39]
	;;#ASMEND
	v_cvt_i32_f32_e32 v28, v28
	v_cvt_i32_f32_sdwa v29, v29 dst_sel:BYTE_1 dst_unused:UNUSED_PAD src0_sel:DWORD
	v_cvt_i32_f32_e32 v30, v24
	v_cvt_i32_f32_sdwa v31, v25 dst_sel:BYTE_1 dst_unused:UNUSED_PAD src0_sel:DWORD
	;;#ASMSTART
	v_pk_mul_f32 v[24:25], v[26:27], v[38:39]
	;;#ASMEND
	;;#ASMSTART
	v_pk_mul_f32 v[20:21], v[20:21], v[38:39]
	;;#ASMEND
	v_cvt_i32_f32_e32 v24, v24
	v_cvt_i32_f32_sdwa v25, v25 dst_sel:BYTE_1 dst_unused:UNUSED_PAD src0_sel:DWORD
	;; [unrolled: 10-line block ×3, first 2 shown]
	v_cvt_i32_f32_e32 v42, v0
	v_cvt_i32_f32_sdwa v43, v1 dst_sel:BYTE_1 dst_unused:UNUSED_PAD src0_sel:DWORD
	;;#ASMSTART
	v_pk_mul_f32 v[0:1], v[4:5], v[38:39]
	;;#ASMEND
	v_cvt_i32_f32_e32 v0, v0
	v_cvt_i32_f32_sdwa v1, v1 dst_sel:BYTE_1 dst_unused:UNUSED_PAD src0_sel:DWORD
	v_or_b32_sdwa v4, v40, v41 dst_sel:DWORD dst_unused:UNUSED_PAD src0_sel:BYTE_0 src1_sel:DWORD
	v_or_b32_sdwa v5, v28, v29 dst_sel:WORD_1 dst_unused:UNUSED_PAD src0_sel:BYTE_0 src1_sel:DWORD
	v_or_b32_sdwa v20, v4, v5 dst_sel:DWORD dst_unused:UNUSED_PAD src0_sel:WORD_0 src1_sel:DWORD
	v_or_b32_sdwa v4, v30, v31 dst_sel:DWORD dst_unused:UNUSED_PAD src0_sel:BYTE_0 src1_sel:DWORD
	v_or_b32_sdwa v5, v24, v25 dst_sel:WORD_1 dst_unused:UNUSED_PAD src0_sel:BYTE_0 src1_sel:DWORD
	v_or_b32_sdwa v21, v4, v5 dst_sel:DWORD dst_unused:UNUSED_PAD src0_sel:WORD_0 src1_sel:DWORD
	v_or_b32_sdwa v4, v26, v27 dst_sel:DWORD dst_unused:UNUSED_PAD src0_sel:BYTE_0 src1_sel:DWORD
	v_or_b32_sdwa v5, v22, v23 dst_sel:WORD_1 dst_unused:UNUSED_PAD src0_sel:BYTE_0 src1_sel:DWORD
	s_addc_u32 s5, s17, s5
	v_or_b32_sdwa v22, v4, v5 dst_sel:DWORD dst_unused:UNUSED_PAD src0_sel:WORD_0 src1_sel:DWORD
	v_or_b32_sdwa v4, v42, v43 dst_sel:DWORD dst_unused:UNUSED_PAD src0_sel:BYTE_0 src1_sel:DWORD
	v_or_b32_sdwa v0, v0, v1 dst_sel:WORD_1 dst_unused:UNUSED_PAD src0_sel:BYTE_0 src1_sel:DWORD
	s_and_b32 s5, s5, 0xffff
	s_mov_b32 s7, s15
	v_or_b32_sdwa v23, v4, v0 dst_sel:DWORD dst_unused:UNUSED_PAD src0_sel:WORD_0 src1_sel:DWORD
	buffer_store_dwordx4 v[20:23], v33, s[4:7], 0 offen
	;;#ASMSTART
	s_nop 0
	;;#ASMEND
	s_branch .LBB200_2
.LBB200_11:
	s_endpgm
	.section	.rodata,"a",@progbits
	.p2align	6, 0x0
	.amdhsa_kernel _ZN5aiter43moe_smooth_per_token_scaled_quant_kernel_v1IDF16_aLi256ELi16ELb0ELb0ELi1024EEEvPT0_PfPT_S3_PiS6_iiiii
		.amdhsa_group_segment_fixed_size 16
		.amdhsa_private_segment_fixed_size 0
		.amdhsa_kernarg_size 68
		.amdhsa_user_sgpr_count 6
		.amdhsa_user_sgpr_private_segment_buffer 1
		.amdhsa_user_sgpr_dispatch_ptr 0
		.amdhsa_user_sgpr_queue_ptr 0
		.amdhsa_user_sgpr_kernarg_segment_ptr 1
		.amdhsa_user_sgpr_dispatch_id 0
		.amdhsa_user_sgpr_flat_scratch_init 0
		.amdhsa_user_sgpr_kernarg_preload_length 0
		.amdhsa_user_sgpr_kernarg_preload_offset 0
		.amdhsa_user_sgpr_private_segment_size 0
		.amdhsa_uses_dynamic_stack 0
		.amdhsa_system_sgpr_private_segment_wavefront_offset 0
		.amdhsa_system_sgpr_workgroup_id_x 1
		.amdhsa_system_sgpr_workgroup_id_y 0
		.amdhsa_system_sgpr_workgroup_id_z 0
		.amdhsa_system_sgpr_workgroup_info 0
		.amdhsa_system_vgpr_workitem_id 0
		.amdhsa_next_free_vgpr 46
		.amdhsa_next_free_sgpr 26
		.amdhsa_accum_offset 48
		.amdhsa_reserve_vcc 1
		.amdhsa_reserve_flat_scratch 0
		.amdhsa_float_round_mode_32 0
		.amdhsa_float_round_mode_16_64 0
		.amdhsa_float_denorm_mode_32 3
		.amdhsa_float_denorm_mode_16_64 3
		.amdhsa_dx10_clamp 1
		.amdhsa_ieee_mode 1
		.amdhsa_fp16_overflow 0
		.amdhsa_tg_split 0
		.amdhsa_exception_fp_ieee_invalid_op 0
		.amdhsa_exception_fp_denorm_src 0
		.amdhsa_exception_fp_ieee_div_zero 0
		.amdhsa_exception_fp_ieee_overflow 0
		.amdhsa_exception_fp_ieee_underflow 0
		.amdhsa_exception_fp_ieee_inexact 0
		.amdhsa_exception_int_div_zero 0
	.end_amdhsa_kernel
	.section	.text._ZN5aiter43moe_smooth_per_token_scaled_quant_kernel_v1IDF16_aLi256ELi16ELb0ELb0ELi1024EEEvPT0_PfPT_S3_PiS6_iiiii,"axG",@progbits,_ZN5aiter43moe_smooth_per_token_scaled_quant_kernel_v1IDF16_aLi256ELi16ELb0ELb0ELi1024EEEvPT0_PfPT_S3_PiS6_iiiii,comdat
.Lfunc_end200:
	.size	_ZN5aiter43moe_smooth_per_token_scaled_quant_kernel_v1IDF16_aLi256ELi16ELb0ELb0ELi1024EEEvPT0_PfPT_S3_PiS6_iiiii, .Lfunc_end200-_ZN5aiter43moe_smooth_per_token_scaled_quant_kernel_v1IDF16_aLi256ELi16ELb0ELb0ELi1024EEEvPT0_PfPT_S3_PiS6_iiiii
                                        ; -- End function
	.section	.AMDGPU.csdata,"",@progbits
; Kernel info:
; codeLenInByte = 1256
; NumSgprs: 30
; NumVgprs: 46
; NumAgprs: 0
; TotalNumVgprs: 46
; ScratchSize: 0
; MemoryBound: 0
; FloatMode: 240
; IeeeMode: 1
; LDSByteSize: 16 bytes/workgroup (compile time only)
; SGPRBlocks: 3
; VGPRBlocks: 5
; NumSGPRsForWavesPerEU: 30
; NumVGPRsForWavesPerEU: 46
; AccumOffset: 48
; Occupancy: 8
; WaveLimiterHint : 0
; COMPUTE_PGM_RSRC2:SCRATCH_EN: 0
; COMPUTE_PGM_RSRC2:USER_SGPR: 6
; COMPUTE_PGM_RSRC2:TRAP_HANDLER: 0
; COMPUTE_PGM_RSRC2:TGID_X_EN: 1
; COMPUTE_PGM_RSRC2:TGID_Y_EN: 0
; COMPUTE_PGM_RSRC2:TGID_Z_EN: 0
; COMPUTE_PGM_RSRC2:TIDIG_COMP_CNT: 0
; COMPUTE_PGM_RSRC3_GFX90A:ACCUM_OFFSET: 11
; COMPUTE_PGM_RSRC3_GFX90A:TG_SPLIT: 0
	.section	.text._ZN5aiter43moe_smooth_per_token_scaled_quant_kernel_v1ItaLi256ELi16ELb0ELb0ELi1024EEEvPT0_PfPT_S3_PiS6_iiiii,"axG",@progbits,_ZN5aiter43moe_smooth_per_token_scaled_quant_kernel_v1ItaLi256ELi16ELb0ELb0ELi1024EEEvPT0_PfPT_S3_PiS6_iiiii,comdat
	.protected	_ZN5aiter43moe_smooth_per_token_scaled_quant_kernel_v1ItaLi256ELi16ELb0ELb0ELi1024EEEvPT0_PfPT_S3_PiS6_iiiii ; -- Begin function _ZN5aiter43moe_smooth_per_token_scaled_quant_kernel_v1ItaLi256ELi16ELb0ELb0ELi1024EEEvPT0_PfPT_S3_PiS6_iiiii
	.globl	_ZN5aiter43moe_smooth_per_token_scaled_quant_kernel_v1ItaLi256ELi16ELb0ELb0ELi1024EEEvPT0_PfPT_S3_PiS6_iiiii
	.p2align	8
	.type	_ZN5aiter43moe_smooth_per_token_scaled_quant_kernel_v1ItaLi256ELi16ELb0ELb0ELi1024EEEvPT0_PfPT_S3_PiS6_iiiii,@function
_ZN5aiter43moe_smooth_per_token_scaled_quant_kernel_v1ItaLi256ELi16ELb0ELb0ELi1024EEEvPT0_PfPT_S3_PiS6_iiiii: ; @_ZN5aiter43moe_smooth_per_token_scaled_quant_kernel_v1ItaLi256ELi16ELb0ELb0ELi1024EEEvPT0_PfPT_S3_PiS6_iiiii
; %bb.0:
	s_load_dwordx4 s[8:11], s[4:5], 0x34
	s_load_dwordx2 s[0:1], s[4:5], 0x10
	s_load_dwordx2 s[2:3], s[4:5], 0x20
	v_and_b32_e32 v1, 63, v0
	s_mov_b32 s15, 0x20000
	s_waitcnt lgkmcnt(0)
	s_mul_i32 s20, s6, s8
	s_ashr_i32 s21, s20, 31
	s_lshl_b64 s[12:13], s[20:21], 2
	s_add_u32 s12, s2, s12
	s_addc_u32 s2, s3, s13
	s_and_b32 s13, s2, 0xffff
	s_mul_hi_i32 s3, s10, s6
	s_mul_i32 s2, s10, s6
	s_lshl_b32 s14, s8, 2
	v_lshlrev_b32_e32 v2, 2, v1
	s_lshl_b64 s[2:3], s[2:3], 1
	buffer_load_dword v32, v2, s[12:15], 0 offen
	s_add_u32 s12, s0, s2
	s_addc_u32 s0, s1, s3
	s_lshl_b32 s14, s9, 1
	s_and_b32 s13, s0, 0xffff
	v_lshlrev_b32_e32 v10, 5, v0
	buffer_load_dwordx4 v[6:9], v10, s[12:15], 0 offen
	buffer_load_dwordx4 v[2:5], v10, s[12:15], 16 offen
	s_mov_b32 s21, 0
	s_cmp_lt_i32 s8, 1
	s_waitcnt vmcnt(2)
	s_barrier
	s_cbranch_scc1 .LBB201_11
; %bb.1:
	s_add_i32 s2, s9, 15
	s_load_dwordx4 s[16:19], s[4:5], 0x0
	s_load_dwordx2 s[10:11], s[4:5], 0x18
	s_ashr_i32 s3, s2, 31
	s_add_i32 s4, s9, 3
	s_waitcnt vmcnt(1)
	v_cvt_f32_u32_sdwa v11, v6 dst_sel:DWORD dst_unused:UNUSED_PAD src0_sel:WORD_1
	v_cvt_f32_u32_sdwa v10, v6 dst_sel:DWORD dst_unused:UNUSED_PAD src0_sel:WORD_0
	v_cvt_f32_u32_sdwa v13, v7 dst_sel:DWORD dst_unused:UNUSED_PAD src0_sel:WORD_1
	v_cvt_f32_u32_sdwa v12, v7 dst_sel:DWORD dst_unused:UNUSED_PAD src0_sel:WORD_0
	;; [unrolled: 2-line block ×4, first 2 shown]
	s_waitcnt vmcnt(0)
	v_cvt_f32_u32_sdwa v9, v2 dst_sel:DWORD dst_unused:UNUSED_PAD src0_sel:WORD_1
	v_cvt_f32_u32_sdwa v8, v2 dst_sel:DWORD dst_unused:UNUSED_PAD src0_sel:WORD_0
	v_cvt_f32_u32_sdwa v17, v3 dst_sel:DWORD dst_unused:UNUSED_PAD src0_sel:WORD_1
	v_cvt_f32_u32_sdwa v16, v3 dst_sel:DWORD dst_unused:UNUSED_PAD src0_sel:WORD_0
	;; [unrolled: 2-line block ×4, first 2 shown]
	s_lshr_b32 s3, s3, 28
	s_ashr_i32 s5, s4, 31
	v_cmp_eq_u32_e32 vcc, 63, v1
	v_lshrrev_b32_e32 v1, 4, v0
	s_add_i32 s2, s2, s3
	s_lshr_b32 s5, s5, 30
	v_and_b32_e32 v35, 60, v1
	v_and_b32_e32 v1, 3, v0
	s_ashr_i32 s2, s2, 4
	s_add_i32 s4, s4, s5
	s_mov_b32 s22, s9
	v_lshlrev_b32_e32 v33, 4, v0
	s_lshl_b32 s14, s9, 2
	v_lshlrev_b32_e32 v34, 6, v0
	v_lshlrev_b32_e32 v36, 2, v1
	v_cmp_eq_u32_e64 s[0:1], 0, v0
	v_cmp_gt_u32_e64 s[2:3], s2, v0
	s_and_b32 s6, s4, -4
	s_mov_b32 s9, 0x2edbe6ff
	v_mov_b32_e32 v37, 0
	s_branch .LBB201_4
.LBB201_2:                              ;   in Loop: Header=BB201_4 Depth=1
	s_or_b64 exec, exec, s[12:13]
.LBB201_3:                              ;   in Loop: Header=BB201_4 Depth=1
	s_add_i32 s21, s21, 1
	s_cmp_eq_u32 s8, s21
	s_cbranch_scc1 .LBB201_11
.LBB201_4:                              ; =>This Inner Loop Header: Depth=1
	v_readlane_b32 s4, v32, s21
	s_cmp_lt_i32 s4, 0
	s_cbranch_scc1 .LBB201_3
; %bb.5:                                ;   in Loop: Header=BB201_4 Depth=1
	s_mul_i32 s4, s4, s22
	s_ashr_i32 s5, s4, 31
	s_lshl_b64 s[4:5], s[4:5], 2
	s_waitcnt lgkmcnt(0)
	s_add_u32 s12, s10, s4
	s_addc_u32 s4, s11, s5
	s_and_b32 s13, s4, 0xffff
	buffer_load_dwordx4 v[20:23], v34, s[12:15], 0 offen
	buffer_load_dwordx4 v[24:27], v34, s[12:15], 16 offen
	;; [unrolled: 1-line block ×4, first 2 shown]
	s_waitcnt vmcnt(3)
	v_pk_mul_f32 v[28:29], v[20:21], v[10:11]
	v_pk_mul_f32 v[30:31], v[22:23], v[12:13]
	s_waitcnt vmcnt(1)
	v_pk_mul_f32 v[20:21], v[38:39], v[8:9]
	v_max3_f32 v38, |v28|, s9, |v29|
	v_pk_mul_f32 v[24:25], v[24:25], v[6:7]
	v_max3_f32 v38, v38, |v30|, |v31|
	v_pk_mul_f32 v[26:27], v[26:27], v[14:15]
	v_max3_f32 v38, v38, |v24|, |v25|
	v_max3_f32 v38, v38, |v26|, |v27|
	v_pk_mul_f32 v[22:23], v[40:41], v[16:17]
	v_max3_f32 v38, v38, |v20|, |v21|
	s_waitcnt vmcnt(0)
	v_pk_mul_f32 v[0:1], v[42:43], v[2:3]
	v_max3_f32 v38, v38, |v22|, |v23|
	v_pk_mul_f32 v[4:5], v[44:45], v[18:19]
	v_max3_f32 v38, v38, |v0|, |v1|
	v_max3_f32 v38, v38, |v4|, |v5|
	s_nop 1
	v_mov_b32_dpp v39, v38 quad_perm:[1,0,3,2] row_mask:0xf bank_mask:0xf
	v_cmp_gt_f32_e64 s[4:5], v38, v39
	v_cndmask_b32_e64 v38, v39, v38, s[4:5]
	s_nop 1
	v_mov_b32_dpp v39, v38 quad_perm:[2,3,0,1] row_mask:0xf bank_mask:0xf
	v_cmp_gt_f32_e64 s[4:5], v38, v39
	v_cndmask_b32_e64 v38, v39, v38, s[4:5]
	s_nop 1
	v_mov_b32_dpp v39, v38 row_half_mirror row_mask:0xf bank_mask:0xf
	v_cmp_gt_f32_e64 s[4:5], v38, v39
	v_cndmask_b32_e64 v38, v39, v38, s[4:5]
	s_nop 1
	v_mov_b32_dpp v39, v38 row_mirror row_mask:0xf bank_mask:0xf
	v_cmp_gt_f32_e64 s[4:5], v38, v39
	v_cndmask_b32_e64 v38, v39, v38, s[4:5]
	s_nop 1
	v_mov_b32_dpp v39, v38 row_bcast:15 row_mask:0xf bank_mask:0xf
	v_cmp_gt_f32_e64 s[4:5], v38, v39
	v_cndmask_b32_e64 v38, v39, v38, s[4:5]
	s_nop 1
	v_mov_b32_dpp v39, v38 row_bcast:31 row_mask:0xf bank_mask:0xf
	s_and_saveexec_b64 s[12:13], vcc
	s_cbranch_execz .LBB201_7
; %bb.6:                                ;   in Loop: Header=BB201_4 Depth=1
	v_cmp_gt_f32_e64 s[4:5], v38, v39
	v_cndmask_b32_e64 v38, v39, v38, s[4:5]
	ds_write_b32 v35, v38
.LBB201_7:                              ;   in Loop: Header=BB201_4 Depth=1
	s_or_b64 exec, exec, s[12:13]
	s_waitcnt lgkmcnt(0)
	s_barrier
	ds_read_b32 v38, v36
	s_waitcnt lgkmcnt(0)
	s_nop 0
	v_mov_b32_dpp v39, v38 quad_perm:[1,0,3,2] row_mask:0xf bank_mask:0xf
	v_cmp_gt_f32_e64 s[4:5], v38, v39
	v_cndmask_b32_e64 v38, v39, v38, s[4:5]
	s_nop 1
	v_mov_b32_dpp v39, v38 quad_perm:[2,3,0,1] row_mask:0xf bank_mask:0xf
	v_cmp_gt_f32_e64 s[4:5], v38, v39
	v_cndmask_b32_e64 v38, v39, v38, s[4:5]
	v_mul_f32_e32 v38, 0x3c010204, v38
	s_add_i32 s4, s20, s21
	s_and_saveexec_b64 s[12:13], s[0:1]
	s_cbranch_execz .LBB201_9
; %bb.8:                                ;   in Loop: Header=BB201_4 Depth=1
	s_ashr_i32 s5, s4, 31
	s_lshl_b64 s[24:25], s[4:5], 2
	s_add_u32 s24, s18, s24
	s_addc_u32 s25, s19, s25
	global_store_dword v37, v38, s[24:25]
.LBB201_9:                              ;   in Loop: Header=BB201_4 Depth=1
	s_or_b64 exec, exec, s[12:13]
	s_and_saveexec_b64 s[12:13], s[2:3]
	s_cbranch_execz .LBB201_2
; %bb.10:                               ;   in Loop: Header=BB201_4 Depth=1
	v_rcp_f32_e32 v38, v38
	s_mul_hi_i32 s5, s4, s22
	s_mul_i32 s4, s4, s22
	s_add_u32 s4, s16, s4
	v_mov_b32_e32 v39, v38
	;;#ASMSTART
	v_pk_mul_f32 v[28:29], v[28:29], v[38:39]
	;;#ASMEND
	v_cvt_i32_f32_e32 v40, v28
	v_cvt_i32_f32_sdwa v41, v29 dst_sel:BYTE_1 dst_unused:UNUSED_PAD src0_sel:DWORD
	;;#ASMSTART
	v_pk_mul_f32 v[28:29], v[30:31], v[38:39]
	;;#ASMEND
	;;#ASMSTART
	v_pk_mul_f32 v[24:25], v[24:25], v[38:39]
	;;#ASMEND
	v_cvt_i32_f32_e32 v28, v28
	v_cvt_i32_f32_sdwa v29, v29 dst_sel:BYTE_1 dst_unused:UNUSED_PAD src0_sel:DWORD
	v_cvt_i32_f32_e32 v30, v24
	v_cvt_i32_f32_sdwa v31, v25 dst_sel:BYTE_1 dst_unused:UNUSED_PAD src0_sel:DWORD
	;;#ASMSTART
	v_pk_mul_f32 v[24:25], v[26:27], v[38:39]
	;;#ASMEND
	;;#ASMSTART
	v_pk_mul_f32 v[20:21], v[20:21], v[38:39]
	;;#ASMEND
	v_cvt_i32_f32_e32 v24, v24
	v_cvt_i32_f32_sdwa v25, v25 dst_sel:BYTE_1 dst_unused:UNUSED_PAD src0_sel:DWORD
	;; [unrolled: 10-line block ×3, first 2 shown]
	v_cvt_i32_f32_e32 v42, v0
	v_cvt_i32_f32_sdwa v43, v1 dst_sel:BYTE_1 dst_unused:UNUSED_PAD src0_sel:DWORD
	;;#ASMSTART
	v_pk_mul_f32 v[0:1], v[4:5], v[38:39]
	;;#ASMEND
	v_cvt_i32_f32_e32 v0, v0
	v_cvt_i32_f32_sdwa v1, v1 dst_sel:BYTE_1 dst_unused:UNUSED_PAD src0_sel:DWORD
	v_or_b32_sdwa v4, v40, v41 dst_sel:DWORD dst_unused:UNUSED_PAD src0_sel:BYTE_0 src1_sel:DWORD
	v_or_b32_sdwa v5, v28, v29 dst_sel:WORD_1 dst_unused:UNUSED_PAD src0_sel:BYTE_0 src1_sel:DWORD
	v_or_b32_sdwa v20, v4, v5 dst_sel:DWORD dst_unused:UNUSED_PAD src0_sel:WORD_0 src1_sel:DWORD
	v_or_b32_sdwa v4, v30, v31 dst_sel:DWORD dst_unused:UNUSED_PAD src0_sel:BYTE_0 src1_sel:DWORD
	v_or_b32_sdwa v5, v24, v25 dst_sel:WORD_1 dst_unused:UNUSED_PAD src0_sel:BYTE_0 src1_sel:DWORD
	v_or_b32_sdwa v21, v4, v5 dst_sel:DWORD dst_unused:UNUSED_PAD src0_sel:WORD_0 src1_sel:DWORD
	v_or_b32_sdwa v4, v26, v27 dst_sel:DWORD dst_unused:UNUSED_PAD src0_sel:BYTE_0 src1_sel:DWORD
	v_or_b32_sdwa v5, v22, v23 dst_sel:WORD_1 dst_unused:UNUSED_PAD src0_sel:BYTE_0 src1_sel:DWORD
	s_addc_u32 s5, s17, s5
	v_or_b32_sdwa v22, v4, v5 dst_sel:DWORD dst_unused:UNUSED_PAD src0_sel:WORD_0 src1_sel:DWORD
	v_or_b32_sdwa v4, v42, v43 dst_sel:DWORD dst_unused:UNUSED_PAD src0_sel:BYTE_0 src1_sel:DWORD
	v_or_b32_sdwa v0, v0, v1 dst_sel:WORD_1 dst_unused:UNUSED_PAD src0_sel:BYTE_0 src1_sel:DWORD
	s_and_b32 s5, s5, 0xffff
	s_mov_b32 s7, s15
	v_or_b32_sdwa v23, v4, v0 dst_sel:DWORD dst_unused:UNUSED_PAD src0_sel:WORD_0 src1_sel:DWORD
	buffer_store_dwordx4 v[20:23], v33, s[4:7], 0 offen
	;;#ASMSTART
	s_nop 0
	;;#ASMEND
	s_branch .LBB201_2
.LBB201_11:
	s_endpgm
	.section	.rodata,"a",@progbits
	.p2align	6, 0x0
	.amdhsa_kernel _ZN5aiter43moe_smooth_per_token_scaled_quant_kernel_v1ItaLi256ELi16ELb0ELb0ELi1024EEEvPT0_PfPT_S3_PiS6_iiiii
		.amdhsa_group_segment_fixed_size 16
		.amdhsa_private_segment_fixed_size 0
		.amdhsa_kernarg_size 68
		.amdhsa_user_sgpr_count 6
		.amdhsa_user_sgpr_private_segment_buffer 1
		.amdhsa_user_sgpr_dispatch_ptr 0
		.amdhsa_user_sgpr_queue_ptr 0
		.amdhsa_user_sgpr_kernarg_segment_ptr 1
		.amdhsa_user_sgpr_dispatch_id 0
		.amdhsa_user_sgpr_flat_scratch_init 0
		.amdhsa_user_sgpr_kernarg_preload_length 0
		.amdhsa_user_sgpr_kernarg_preload_offset 0
		.amdhsa_user_sgpr_private_segment_size 0
		.amdhsa_uses_dynamic_stack 0
		.amdhsa_system_sgpr_private_segment_wavefront_offset 0
		.amdhsa_system_sgpr_workgroup_id_x 1
		.amdhsa_system_sgpr_workgroup_id_y 0
		.amdhsa_system_sgpr_workgroup_id_z 0
		.amdhsa_system_sgpr_workgroup_info 0
		.amdhsa_system_vgpr_workitem_id 0
		.amdhsa_next_free_vgpr 46
		.amdhsa_next_free_sgpr 26
		.amdhsa_accum_offset 48
		.amdhsa_reserve_vcc 1
		.amdhsa_reserve_flat_scratch 0
		.amdhsa_float_round_mode_32 0
		.amdhsa_float_round_mode_16_64 0
		.amdhsa_float_denorm_mode_32 3
		.amdhsa_float_denorm_mode_16_64 3
		.amdhsa_dx10_clamp 1
		.amdhsa_ieee_mode 1
		.amdhsa_fp16_overflow 0
		.amdhsa_tg_split 0
		.amdhsa_exception_fp_ieee_invalid_op 0
		.amdhsa_exception_fp_denorm_src 0
		.amdhsa_exception_fp_ieee_div_zero 0
		.amdhsa_exception_fp_ieee_overflow 0
		.amdhsa_exception_fp_ieee_underflow 0
		.amdhsa_exception_fp_ieee_inexact 0
		.amdhsa_exception_int_div_zero 0
	.end_amdhsa_kernel
	.section	.text._ZN5aiter43moe_smooth_per_token_scaled_quant_kernel_v1ItaLi256ELi16ELb0ELb0ELi1024EEEvPT0_PfPT_S3_PiS6_iiiii,"axG",@progbits,_ZN5aiter43moe_smooth_per_token_scaled_quant_kernel_v1ItaLi256ELi16ELb0ELb0ELi1024EEEvPT0_PfPT_S3_PiS6_iiiii,comdat
.Lfunc_end201:
	.size	_ZN5aiter43moe_smooth_per_token_scaled_quant_kernel_v1ItaLi256ELi16ELb0ELb0ELi1024EEEvPT0_PfPT_S3_PiS6_iiiii, .Lfunc_end201-_ZN5aiter43moe_smooth_per_token_scaled_quant_kernel_v1ItaLi256ELi16ELb0ELb0ELi1024EEEvPT0_PfPT_S3_PiS6_iiiii
                                        ; -- End function
	.section	.AMDGPU.csdata,"",@progbits
; Kernel info:
; codeLenInByte = 1288
; NumSgprs: 30
; NumVgprs: 46
; NumAgprs: 0
; TotalNumVgprs: 46
; ScratchSize: 0
; MemoryBound: 0
; FloatMode: 240
; IeeeMode: 1
; LDSByteSize: 16 bytes/workgroup (compile time only)
; SGPRBlocks: 3
; VGPRBlocks: 5
; NumSGPRsForWavesPerEU: 30
; NumVGPRsForWavesPerEU: 46
; AccumOffset: 48
; Occupancy: 8
; WaveLimiterHint : 0
; COMPUTE_PGM_RSRC2:SCRATCH_EN: 0
; COMPUTE_PGM_RSRC2:USER_SGPR: 6
; COMPUTE_PGM_RSRC2:TRAP_HANDLER: 0
; COMPUTE_PGM_RSRC2:TGID_X_EN: 1
; COMPUTE_PGM_RSRC2:TGID_Y_EN: 0
; COMPUTE_PGM_RSRC2:TGID_Z_EN: 0
; COMPUTE_PGM_RSRC2:TIDIG_COMP_CNT: 0
; COMPUTE_PGM_RSRC3_GFX90A:ACCUM_OFFSET: 11
; COMPUTE_PGM_RSRC3_GFX90A:TG_SPLIT: 0
	.section	.text._ZN5aiter43moe_smooth_per_token_scaled_quant_kernel_v1IDF16_aLi512ELi16ELb1ELb1ELi1024EEEvPT0_PfPT_S3_PiS6_iiiii,"axG",@progbits,_ZN5aiter43moe_smooth_per_token_scaled_quant_kernel_v1IDF16_aLi512ELi16ELb1ELb1ELi1024EEEvPT0_PfPT_S3_PiS6_iiiii,comdat
	.protected	_ZN5aiter43moe_smooth_per_token_scaled_quant_kernel_v1IDF16_aLi512ELi16ELb1ELb1ELi1024EEEvPT0_PfPT_S3_PiS6_iiiii ; -- Begin function _ZN5aiter43moe_smooth_per_token_scaled_quant_kernel_v1IDF16_aLi512ELi16ELb1ELb1ELi1024EEEvPT0_PfPT_S3_PiS6_iiiii
	.globl	_ZN5aiter43moe_smooth_per_token_scaled_quant_kernel_v1IDF16_aLi512ELi16ELb1ELb1ELi1024EEEvPT0_PfPT_S3_PiS6_iiiii
	.p2align	8
	.type	_ZN5aiter43moe_smooth_per_token_scaled_quant_kernel_v1IDF16_aLi512ELi16ELb1ELb1ELi1024EEEvPT0_PfPT_S3_PiS6_iiiii,@function
_ZN5aiter43moe_smooth_per_token_scaled_quant_kernel_v1IDF16_aLi512ELi16ELb1ELb1ELi1024EEEvPT0_PfPT_S3_PiS6_iiiii: ; @_ZN5aiter43moe_smooth_per_token_scaled_quant_kernel_v1IDF16_aLi512ELi16ELb1ELb1ELi1024EEEvPT0_PfPT_S3_PiS6_iiiii
; %bb.0:
	s_load_dword s7, s[4:5], 0x40
	s_load_dwordx8 s[8:15], s[4:5], 0x20
	s_load_dwordx2 s[16:17], s[4:5], 0x10
	v_and_b32_e32 v1, 0x3c0, v0
	v_lshlrev_b32_e32 v1, 2, v1
	s_waitcnt lgkmcnt(0)
	s_lshl_b32 s2, s7, 2
	s_and_b32 s1, s11, 0xffff
	s_mov_b32 s3, 0x20000
	s_mov_b32 s0, s10
	v_lshlrev_b32_e32 v2, 2, v0
	v_readfirstlane_b32 s10, v1
	;;#ASMSTART
	s_mov_b32 m0 s10
	buffer_load_dword v2, s[0:3], 0 offen offset:0 lds
	
	;;#ASMEND
	v_add_u32_e32 v1, 0x800, v1
	v_readfirstlane_b32 s10, v1
	v_add_u32_e32 v1, 0x800, v2
	;;#ASMSTART
	s_mov_b32 m0 s10
	buffer_load_dword v1, s[0:3], 0 offen offset:0 lds
	
	;;#ASMEND
	s_mul_i32 s0, s6, s13
	s_ashr_i32 s1, s0, 31
	s_lshl_b64 s[0:1], s[0:1], 2
	s_add_u32 s0, s8, s0
	v_and_b32_e32 v1, 63, v0
	s_addc_u32 s1, s9, s1
	s_lshl_b32 s2, s13, 2
	s_and_b32 s1, s1, 0xffff
	v_lshlrev_b32_e32 v2, 2, v1
	buffer_load_dword v32, v2, s[0:3], 0 offen
	s_mul_hi_i32 s1, s15, s6
	s_mul_i32 s0, s15, s6
	s_lshl_b64 s[0:1], s[0:1], 1
	s_add_u32 s0, s16, s0
	s_addc_u32 s1, s17, s1
	s_lshl_b32 s2, s14, 1
	s_and_b32 s1, s1, 0xffff
	v_lshlrev_b32_e32 v10, 5, v0
	buffer_load_dwordx4 v[6:9], v10, s[0:3], 0 offen
	buffer_load_dwordx4 v[2:5], v10, s[0:3], 16 offen
	v_cmp_gt_i32_e32 vcc, s13, v1
	s_waitcnt vmcnt(2)
	s_barrier
	v_cmp_gt_i32_e64 s[2:3], s7, v32
	v_cmp_lt_i32_e64 s[0:1], -1, v32
	s_and_b64 s[2:3], vcc, s[2:3]
	s_and_b64 s[2:3], s[2:3], s[0:1]
	s_and_saveexec_b64 s[0:1], s[2:3]
	s_cbranch_execz .LBB202_2
; %bb.1:
	v_lshlrev_b32_e32 v10, 2, v32
	ds_read_b32 v32, v10
.LBB202_2:
	s_or_b64 exec, exec, s[0:1]
	s_cmp_lt_i32 s13, 1
	s_cbranch_scc1 .LBB202_13
; %bb.3:
	s_add_i32 s2, s14, 15
	s_load_dwordx4 s[8:11], s[4:5], 0x0
	s_load_dwordx2 s[24:25], s[4:5], 0x18
	s_ashr_i32 s3, s2, 31
	s_add_i32 s4, s14, 3
	s_waitcnt vmcnt(1)
	v_cvt_f32_f16_sdwa v11, v6 dst_sel:DWORD dst_unused:UNUSED_PAD src0_sel:WORD_1
	v_cvt_f32_f16_e32 v10, v6
	v_cvt_f32_f16_sdwa v13, v7 dst_sel:DWORD dst_unused:UNUSED_PAD src0_sel:WORD_1
	v_cvt_f32_f16_e32 v12, v7
	;; [unrolled: 2-line block ×4, first 2 shown]
	s_waitcnt vmcnt(0)
	v_cvt_f32_f16_sdwa v9, v2 dst_sel:DWORD dst_unused:UNUSED_PAD src0_sel:WORD_1
	v_cvt_f32_f16_e32 v8, v2
	v_cvt_f32_f16_sdwa v17, v3 dst_sel:DWORD dst_unused:UNUSED_PAD src0_sel:WORD_1
	v_cvt_f32_f16_e32 v16, v3
	;; [unrolled: 2-line block ×4, first 2 shown]
	s_lshr_b32 s3, s3, 28
	s_ashr_i32 s5, s4, 31
	v_cmp_eq_u32_e32 vcc, 63, v1
	v_lshrrev_b32_e32 v1, 4, v0
	v_mov_b32_e32 v4, 0x1000
	s_add_i32 s2, s2, s3
	s_lshr_b32 s5, s5, 30
	v_and_or_b32 v35, v1, 60, v4
	v_and_b32_e32 v1, 7, v0
	s_ashr_i32 s2, s2, 4
	s_add_i32 s4, s4, s5
	v_lshlrev_b32_e32 v33, 4, v0
	s_lshl_b32 s18, s14, 2
	v_lshlrev_b32_e32 v34, 6, v0
	v_lshl_or_b32 v36, v1, 2, v4
	s_mov_b32 s15, 0
	v_cmp_eq_u32_e64 s[0:1], 0, v0
	v_cmp_gt_u32_e64 s[2:3], s2, v0
	s_and_b32 s22, s4, -4
	s_mov_b32 s19, 0x20000
	s_mov_b32 s26, 0x2edbe6ff
	v_mov_b32_e32 v37, 0
	s_branch .LBB202_6
.LBB202_4:                              ;   in Loop: Header=BB202_6 Depth=1
	s_or_b64 exec, exec, s[4:5]
.LBB202_5:                              ;   in Loop: Header=BB202_6 Depth=1
	s_add_i32 s15, s15, 1
	s_add_i32 s6, s6, s12
	s_cmp_eq_u32 s13, s15
	s_cbranch_scc1 .LBB202_13
.LBB202_6:                              ; =>This Inner Loop Header: Depth=1
	s_waitcnt lgkmcnt(0)
	v_readlane_b32 s4, v32, s15
	s_cmp_lt_i32 s4, 0
	s_cbranch_scc1 .LBB202_5
; %bb.7:                                ;   in Loop: Header=BB202_6 Depth=1
	s_mul_i32 s4, s4, s14
	s_ashr_i32 s5, s4, 31
	s_lshl_b64 s[4:5], s[4:5], 2
	s_add_u32 s16, s24, s4
	s_addc_u32 s4, s25, s5
	s_and_b32 s17, s4, 0xffff
	buffer_load_dwordx4 v[20:23], v34, s[16:19], 0 offen
	buffer_load_dwordx4 v[24:27], v34, s[16:19], 16 offen
	;; [unrolled: 1-line block ×4, first 2 shown]
	s_waitcnt vmcnt(3)
	v_pk_mul_f32 v[28:29], v[20:21], v[10:11]
	v_pk_mul_f32 v[30:31], v[22:23], v[12:13]
	s_waitcnt vmcnt(1)
	v_pk_mul_f32 v[20:21], v[38:39], v[8:9]
	v_max3_f32 v38, |v28|, s26, |v29|
	v_pk_mul_f32 v[24:25], v[24:25], v[6:7]
	v_max3_f32 v38, v38, |v30|, |v31|
	v_pk_mul_f32 v[26:27], v[26:27], v[14:15]
	v_max3_f32 v38, v38, |v24|, |v25|
	v_max3_f32 v38, v38, |v26|, |v27|
	v_pk_mul_f32 v[22:23], v[40:41], v[16:17]
	v_max3_f32 v38, v38, |v20|, |v21|
	s_waitcnt vmcnt(0)
	v_pk_mul_f32 v[0:1], v[42:43], v[2:3]
	v_max3_f32 v38, v38, |v22|, |v23|
	v_pk_mul_f32 v[4:5], v[44:45], v[18:19]
	v_max3_f32 v38, v38, |v0|, |v1|
	v_max3_f32 v38, v38, |v4|, |v5|
	s_nop 1
	v_mov_b32_dpp v39, v38 quad_perm:[1,0,3,2] row_mask:0xf bank_mask:0xf
	v_cmp_gt_f32_e64 s[4:5], v38, v39
	v_cndmask_b32_e64 v38, v39, v38, s[4:5]
	s_nop 1
	v_mov_b32_dpp v39, v38 quad_perm:[2,3,0,1] row_mask:0xf bank_mask:0xf
	v_cmp_gt_f32_e64 s[4:5], v38, v39
	v_cndmask_b32_e64 v38, v39, v38, s[4:5]
	s_nop 1
	v_mov_b32_dpp v39, v38 row_half_mirror row_mask:0xf bank_mask:0xf
	v_cmp_gt_f32_e64 s[4:5], v38, v39
	v_cndmask_b32_e64 v38, v39, v38, s[4:5]
	s_nop 1
	v_mov_b32_dpp v39, v38 row_mirror row_mask:0xf bank_mask:0xf
	v_cmp_gt_f32_e64 s[4:5], v38, v39
	v_cndmask_b32_e64 v38, v39, v38, s[4:5]
	s_nop 1
	v_mov_b32_dpp v39, v38 row_bcast:15 row_mask:0xf bank_mask:0xf
	v_cmp_gt_f32_e64 s[4:5], v38, v39
	v_cndmask_b32_e64 v38, v39, v38, s[4:5]
	s_nop 1
	v_mov_b32_dpp v39, v38 row_bcast:31 row_mask:0xf bank_mask:0xf
	s_and_saveexec_b64 s[16:17], vcc
	s_cbranch_execz .LBB202_9
; %bb.8:                                ;   in Loop: Header=BB202_6 Depth=1
	v_cmp_gt_f32_e64 s[4:5], v38, v39
	v_cndmask_b32_e64 v38, v39, v38, s[4:5]
	ds_write_b32 v35, v38
.LBB202_9:                              ;   in Loop: Header=BB202_6 Depth=1
	s_or_b64 exec, exec, s[16:17]
	s_waitcnt lgkmcnt(0)
	s_barrier
	ds_read_b32 v38, v36
	s_waitcnt lgkmcnt(0)
	s_nop 0
	v_mov_b32_dpp v39, v38 quad_perm:[1,0,3,2] row_mask:0xf bank_mask:0xf
	v_cmp_gt_f32_e64 s[4:5], v38, v39
	v_cndmask_b32_e64 v38, v39, v38, s[4:5]
	s_nop 1
	v_mov_b32_dpp v39, v38 quad_perm:[2,3,0,1] row_mask:0xf bank_mask:0xf
	v_cmp_gt_f32_e64 s[4:5], v38, v39
	v_cndmask_b32_e64 v38, v39, v38, s[4:5]
	s_nop 1
	v_mov_b32_dpp v39, v38 row_half_mirror row_mask:0xf bank_mask:0xf
	v_cmp_gt_f32_e64 s[4:5], v38, v39
	v_cndmask_b32_e64 v38, v39, v38, s[4:5]
	v_mul_f32_e32 v38, 0x3c010204, v38
	s_and_saveexec_b64 s[4:5], s[0:1]
	s_cbranch_execz .LBB202_11
; %bb.10:                               ;   in Loop: Header=BB202_6 Depth=1
	s_ashr_i32 s7, s6, 31
	s_lshl_b64 s[16:17], s[6:7], 2
	s_add_u32 s16, s10, s16
	s_addc_u32 s17, s11, s17
	global_store_dword v37, v38, s[16:17]
.LBB202_11:                             ;   in Loop: Header=BB202_6 Depth=1
	s_or_b64 exec, exec, s[4:5]
	s_and_saveexec_b64 s[4:5], s[2:3]
	s_cbranch_execz .LBB202_4
; %bb.12:                               ;   in Loop: Header=BB202_6 Depth=1
	v_rcp_f32_e32 v38, v38
	s_mul_i32 s16, s6, s14
	s_mul_hi_i32 s7, s6, s14
	s_add_u32 s20, s8, s16
	v_mov_b32_e32 v39, v38
	;;#ASMSTART
	v_pk_mul_f32 v[28:29], v[28:29], v[38:39]
	;;#ASMEND
	v_cvt_i32_f32_e32 v40, v28
	v_cvt_i32_f32_sdwa v41, v29 dst_sel:BYTE_1 dst_unused:UNUSED_PAD src0_sel:DWORD
	;;#ASMSTART
	v_pk_mul_f32 v[28:29], v[30:31], v[38:39]
	;;#ASMEND
	;;#ASMSTART
	v_pk_mul_f32 v[24:25], v[24:25], v[38:39]
	;;#ASMEND
	v_cvt_i32_f32_e32 v28, v28
	v_cvt_i32_f32_sdwa v29, v29 dst_sel:BYTE_1 dst_unused:UNUSED_PAD src0_sel:DWORD
	v_cvt_i32_f32_e32 v30, v24
	v_cvt_i32_f32_sdwa v31, v25 dst_sel:BYTE_1 dst_unused:UNUSED_PAD src0_sel:DWORD
	;;#ASMSTART
	v_pk_mul_f32 v[24:25], v[26:27], v[38:39]
	;;#ASMEND
	;;#ASMSTART
	v_pk_mul_f32 v[20:21], v[20:21], v[38:39]
	;;#ASMEND
	v_cvt_i32_f32_e32 v24, v24
	v_cvt_i32_f32_sdwa v25, v25 dst_sel:BYTE_1 dst_unused:UNUSED_PAD src0_sel:DWORD
	;; [unrolled: 10-line block ×3, first 2 shown]
	v_cvt_i32_f32_e32 v42, v0
	v_cvt_i32_f32_sdwa v43, v1 dst_sel:BYTE_1 dst_unused:UNUSED_PAD src0_sel:DWORD
	;;#ASMSTART
	v_pk_mul_f32 v[0:1], v[4:5], v[38:39]
	;;#ASMEND
	v_cvt_i32_f32_e32 v0, v0
	v_cvt_i32_f32_sdwa v1, v1 dst_sel:BYTE_1 dst_unused:UNUSED_PAD src0_sel:DWORD
	v_or_b32_sdwa v4, v40, v41 dst_sel:DWORD dst_unused:UNUSED_PAD src0_sel:BYTE_0 src1_sel:DWORD
	v_or_b32_sdwa v5, v28, v29 dst_sel:WORD_1 dst_unused:UNUSED_PAD src0_sel:BYTE_0 src1_sel:DWORD
	v_or_b32_sdwa v20, v4, v5 dst_sel:DWORD dst_unused:UNUSED_PAD src0_sel:WORD_0 src1_sel:DWORD
	v_or_b32_sdwa v4, v30, v31 dst_sel:DWORD dst_unused:UNUSED_PAD src0_sel:BYTE_0 src1_sel:DWORD
	v_or_b32_sdwa v5, v24, v25 dst_sel:WORD_1 dst_unused:UNUSED_PAD src0_sel:BYTE_0 src1_sel:DWORD
	v_or_b32_sdwa v21, v4, v5 dst_sel:DWORD dst_unused:UNUSED_PAD src0_sel:WORD_0 src1_sel:DWORD
	v_or_b32_sdwa v4, v26, v27 dst_sel:DWORD dst_unused:UNUSED_PAD src0_sel:BYTE_0 src1_sel:DWORD
	v_or_b32_sdwa v5, v22, v23 dst_sel:WORD_1 dst_unused:UNUSED_PAD src0_sel:BYTE_0 src1_sel:DWORD
	s_addc_u32 s7, s9, s7
	v_or_b32_sdwa v22, v4, v5 dst_sel:DWORD dst_unused:UNUSED_PAD src0_sel:WORD_0 src1_sel:DWORD
	v_or_b32_sdwa v4, v42, v43 dst_sel:DWORD dst_unused:UNUSED_PAD src0_sel:BYTE_0 src1_sel:DWORD
	v_or_b32_sdwa v0, v0, v1 dst_sel:WORD_1 dst_unused:UNUSED_PAD src0_sel:BYTE_0 src1_sel:DWORD
	s_and_b32 s21, s7, 0xffff
	s_mov_b32 s23, s19
	v_or_b32_sdwa v23, v4, v0 dst_sel:DWORD dst_unused:UNUSED_PAD src0_sel:WORD_0 src1_sel:DWORD
	buffer_store_dwordx4 v[20:23], v33, s[20:23], 0 offen
	;;#ASMSTART
	s_nop 0
	;;#ASMEND
	s_branch .LBB202_4
.LBB202_13:
	s_endpgm
	.section	.rodata,"a",@progbits
	.p2align	6, 0x0
	.amdhsa_kernel _ZN5aiter43moe_smooth_per_token_scaled_quant_kernel_v1IDF16_aLi512ELi16ELb1ELb1ELi1024EEEvPT0_PfPT_S3_PiS6_iiiii
		.amdhsa_group_segment_fixed_size 4128
		.amdhsa_private_segment_fixed_size 0
		.amdhsa_kernarg_size 68
		.amdhsa_user_sgpr_count 6
		.amdhsa_user_sgpr_private_segment_buffer 1
		.amdhsa_user_sgpr_dispatch_ptr 0
		.amdhsa_user_sgpr_queue_ptr 0
		.amdhsa_user_sgpr_kernarg_segment_ptr 1
		.amdhsa_user_sgpr_dispatch_id 0
		.amdhsa_user_sgpr_flat_scratch_init 0
		.amdhsa_user_sgpr_kernarg_preload_length 0
		.amdhsa_user_sgpr_kernarg_preload_offset 0
		.amdhsa_user_sgpr_private_segment_size 0
		.amdhsa_uses_dynamic_stack 0
		.amdhsa_system_sgpr_private_segment_wavefront_offset 0
		.amdhsa_system_sgpr_workgroup_id_x 1
		.amdhsa_system_sgpr_workgroup_id_y 0
		.amdhsa_system_sgpr_workgroup_id_z 0
		.amdhsa_system_sgpr_workgroup_info 0
		.amdhsa_system_vgpr_workitem_id 0
		.amdhsa_next_free_vgpr 46
		.amdhsa_next_free_sgpr 27
		.amdhsa_accum_offset 48
		.amdhsa_reserve_vcc 1
		.amdhsa_reserve_flat_scratch 0
		.amdhsa_float_round_mode_32 0
		.amdhsa_float_round_mode_16_64 0
		.amdhsa_float_denorm_mode_32 3
		.amdhsa_float_denorm_mode_16_64 3
		.amdhsa_dx10_clamp 1
		.amdhsa_ieee_mode 1
		.amdhsa_fp16_overflow 0
		.amdhsa_tg_split 0
		.amdhsa_exception_fp_ieee_invalid_op 0
		.amdhsa_exception_fp_denorm_src 0
		.amdhsa_exception_fp_ieee_div_zero 0
		.amdhsa_exception_fp_ieee_overflow 0
		.amdhsa_exception_fp_ieee_underflow 0
		.amdhsa_exception_fp_ieee_inexact 0
		.amdhsa_exception_int_div_zero 0
	.end_amdhsa_kernel
	.section	.text._ZN5aiter43moe_smooth_per_token_scaled_quant_kernel_v1IDF16_aLi512ELi16ELb1ELb1ELi1024EEEvPT0_PfPT_S3_PiS6_iiiii,"axG",@progbits,_ZN5aiter43moe_smooth_per_token_scaled_quant_kernel_v1IDF16_aLi512ELi16ELb1ELb1ELi1024EEEvPT0_PfPT_S3_PiS6_iiiii,comdat
.Lfunc_end202:
	.size	_ZN5aiter43moe_smooth_per_token_scaled_quant_kernel_v1IDF16_aLi512ELi16ELb1ELb1ELi1024EEEvPT0_PfPT_S3_PiS6_iiiii, .Lfunc_end202-_ZN5aiter43moe_smooth_per_token_scaled_quant_kernel_v1IDF16_aLi512ELi16ELb1ELb1ELi1024EEEvPT0_PfPT_S3_PiS6_iiiii
                                        ; -- End function
	.section	.AMDGPU.csdata,"",@progbits
; Kernel info:
; codeLenInByte = 1444
; NumSgprs: 31
; NumVgprs: 46
; NumAgprs: 0
; TotalNumVgprs: 46
; ScratchSize: 0
; MemoryBound: 0
; FloatMode: 240
; IeeeMode: 1
; LDSByteSize: 4128 bytes/workgroup (compile time only)
; SGPRBlocks: 3
; VGPRBlocks: 5
; NumSGPRsForWavesPerEU: 31
; NumVGPRsForWavesPerEU: 46
; AccumOffset: 48
; Occupancy: 8
; WaveLimiterHint : 0
; COMPUTE_PGM_RSRC2:SCRATCH_EN: 0
; COMPUTE_PGM_RSRC2:USER_SGPR: 6
; COMPUTE_PGM_RSRC2:TRAP_HANDLER: 0
; COMPUTE_PGM_RSRC2:TGID_X_EN: 1
; COMPUTE_PGM_RSRC2:TGID_Y_EN: 0
; COMPUTE_PGM_RSRC2:TGID_Z_EN: 0
; COMPUTE_PGM_RSRC2:TIDIG_COMP_CNT: 0
; COMPUTE_PGM_RSRC3_GFX90A:ACCUM_OFFSET: 11
; COMPUTE_PGM_RSRC3_GFX90A:TG_SPLIT: 0
	.section	.text._ZN5aiter43moe_smooth_per_token_scaled_quant_kernel_v1ItaLi512ELi16ELb1ELb1ELi1024EEEvPT0_PfPT_S3_PiS6_iiiii,"axG",@progbits,_ZN5aiter43moe_smooth_per_token_scaled_quant_kernel_v1ItaLi512ELi16ELb1ELb1ELi1024EEEvPT0_PfPT_S3_PiS6_iiiii,comdat
	.protected	_ZN5aiter43moe_smooth_per_token_scaled_quant_kernel_v1ItaLi512ELi16ELb1ELb1ELi1024EEEvPT0_PfPT_S3_PiS6_iiiii ; -- Begin function _ZN5aiter43moe_smooth_per_token_scaled_quant_kernel_v1ItaLi512ELi16ELb1ELb1ELi1024EEEvPT0_PfPT_S3_PiS6_iiiii
	.globl	_ZN5aiter43moe_smooth_per_token_scaled_quant_kernel_v1ItaLi512ELi16ELb1ELb1ELi1024EEEvPT0_PfPT_S3_PiS6_iiiii
	.p2align	8
	.type	_ZN5aiter43moe_smooth_per_token_scaled_quant_kernel_v1ItaLi512ELi16ELb1ELb1ELi1024EEEvPT0_PfPT_S3_PiS6_iiiii,@function
_ZN5aiter43moe_smooth_per_token_scaled_quant_kernel_v1ItaLi512ELi16ELb1ELb1ELi1024EEEvPT0_PfPT_S3_PiS6_iiiii: ; @_ZN5aiter43moe_smooth_per_token_scaled_quant_kernel_v1ItaLi512ELi16ELb1ELb1ELi1024EEEvPT0_PfPT_S3_PiS6_iiiii
; %bb.0:
	s_load_dword s7, s[4:5], 0x40
	s_load_dwordx8 s[8:15], s[4:5], 0x20
	s_load_dwordx2 s[16:17], s[4:5], 0x10
	v_and_b32_e32 v1, 0x3c0, v0
	v_lshlrev_b32_e32 v1, 2, v1
	s_waitcnt lgkmcnt(0)
	s_lshl_b32 s2, s7, 2
	s_and_b32 s1, s11, 0xffff
	s_mov_b32 s3, 0x20000
	s_mov_b32 s0, s10
	v_lshlrev_b32_e32 v2, 2, v0
	v_readfirstlane_b32 s10, v1
	;;#ASMSTART
	s_mov_b32 m0 s10
	buffer_load_dword v2, s[0:3], 0 offen offset:0 lds
	
	;;#ASMEND
	v_add_u32_e32 v1, 0x800, v1
	v_readfirstlane_b32 s10, v1
	v_add_u32_e32 v1, 0x800, v2
	;;#ASMSTART
	s_mov_b32 m0 s10
	buffer_load_dword v1, s[0:3], 0 offen offset:0 lds
	
	;;#ASMEND
	s_mul_i32 s0, s6, s13
	s_ashr_i32 s1, s0, 31
	s_lshl_b64 s[0:1], s[0:1], 2
	s_add_u32 s0, s8, s0
	v_and_b32_e32 v1, 63, v0
	s_addc_u32 s1, s9, s1
	s_lshl_b32 s2, s13, 2
	s_and_b32 s1, s1, 0xffff
	v_lshlrev_b32_e32 v2, 2, v1
	buffer_load_dword v32, v2, s[0:3], 0 offen
	s_mul_hi_i32 s1, s15, s6
	s_mul_i32 s0, s15, s6
	s_lshl_b64 s[0:1], s[0:1], 1
	s_add_u32 s0, s16, s0
	s_addc_u32 s1, s17, s1
	s_lshl_b32 s2, s14, 1
	s_and_b32 s1, s1, 0xffff
	v_lshlrev_b32_e32 v10, 5, v0
	buffer_load_dwordx4 v[6:9], v10, s[0:3], 0 offen
	buffer_load_dwordx4 v[2:5], v10, s[0:3], 16 offen
	v_cmp_gt_i32_e32 vcc, s13, v1
	s_waitcnt vmcnt(2)
	s_barrier
	v_cmp_gt_i32_e64 s[2:3], s7, v32
	v_cmp_lt_i32_e64 s[0:1], -1, v32
	s_and_b64 s[2:3], vcc, s[2:3]
	s_and_b64 s[2:3], s[2:3], s[0:1]
	s_and_saveexec_b64 s[0:1], s[2:3]
	s_cbranch_execz .LBB203_2
; %bb.1:
	v_lshlrev_b32_e32 v10, 2, v32
	ds_read_b32 v32, v10
.LBB203_2:
	s_or_b64 exec, exec, s[0:1]
	s_cmp_lt_i32 s13, 1
	s_cbranch_scc1 .LBB203_13
; %bb.3:
	s_add_i32 s2, s14, 15
	s_load_dwordx4 s[8:11], s[4:5], 0x0
	s_load_dwordx2 s[24:25], s[4:5], 0x18
	s_ashr_i32 s3, s2, 31
	s_add_i32 s4, s14, 3
	s_waitcnt vmcnt(1)
	v_cvt_f32_u32_sdwa v11, v6 dst_sel:DWORD dst_unused:UNUSED_PAD src0_sel:WORD_1
	v_cvt_f32_u32_sdwa v10, v6 dst_sel:DWORD dst_unused:UNUSED_PAD src0_sel:WORD_0
	v_cvt_f32_u32_sdwa v13, v7 dst_sel:DWORD dst_unused:UNUSED_PAD src0_sel:WORD_1
	v_cvt_f32_u32_sdwa v12, v7 dst_sel:DWORD dst_unused:UNUSED_PAD src0_sel:WORD_0
	;; [unrolled: 2-line block ×4, first 2 shown]
	s_waitcnt vmcnt(0)
	v_cvt_f32_u32_sdwa v9, v2 dst_sel:DWORD dst_unused:UNUSED_PAD src0_sel:WORD_1
	v_cvt_f32_u32_sdwa v8, v2 dst_sel:DWORD dst_unused:UNUSED_PAD src0_sel:WORD_0
	v_cvt_f32_u32_sdwa v17, v3 dst_sel:DWORD dst_unused:UNUSED_PAD src0_sel:WORD_1
	v_cvt_f32_u32_sdwa v16, v3 dst_sel:DWORD dst_unused:UNUSED_PAD src0_sel:WORD_0
	;; [unrolled: 2-line block ×4, first 2 shown]
	s_lshr_b32 s3, s3, 28
	s_ashr_i32 s5, s4, 31
	v_cmp_eq_u32_e32 vcc, 63, v1
	v_lshrrev_b32_e32 v1, 4, v0
	v_mov_b32_e32 v4, 0x1000
	s_add_i32 s2, s2, s3
	s_lshr_b32 s5, s5, 30
	v_and_or_b32 v35, v1, 60, v4
	v_and_b32_e32 v1, 7, v0
	s_ashr_i32 s2, s2, 4
	s_add_i32 s4, s4, s5
	v_lshlrev_b32_e32 v33, 4, v0
	s_lshl_b32 s18, s14, 2
	v_lshlrev_b32_e32 v34, 6, v0
	v_lshl_or_b32 v36, v1, 2, v4
	s_mov_b32 s15, 0
	v_cmp_eq_u32_e64 s[0:1], 0, v0
	v_cmp_gt_u32_e64 s[2:3], s2, v0
	s_and_b32 s22, s4, -4
	s_mov_b32 s19, 0x20000
	s_mov_b32 s26, 0x2edbe6ff
	v_mov_b32_e32 v37, 0
	s_branch .LBB203_6
.LBB203_4:                              ;   in Loop: Header=BB203_6 Depth=1
	s_or_b64 exec, exec, s[4:5]
.LBB203_5:                              ;   in Loop: Header=BB203_6 Depth=1
	s_add_i32 s15, s15, 1
	s_add_i32 s6, s6, s12
	s_cmp_eq_u32 s13, s15
	s_cbranch_scc1 .LBB203_13
.LBB203_6:                              ; =>This Inner Loop Header: Depth=1
	s_waitcnt lgkmcnt(0)
	v_readlane_b32 s4, v32, s15
	s_cmp_lt_i32 s4, 0
	s_cbranch_scc1 .LBB203_5
; %bb.7:                                ;   in Loop: Header=BB203_6 Depth=1
	s_mul_i32 s4, s4, s14
	s_ashr_i32 s5, s4, 31
	s_lshl_b64 s[4:5], s[4:5], 2
	s_add_u32 s16, s24, s4
	s_addc_u32 s4, s25, s5
	s_and_b32 s17, s4, 0xffff
	buffer_load_dwordx4 v[20:23], v34, s[16:19], 0 offen
	buffer_load_dwordx4 v[24:27], v34, s[16:19], 16 offen
	;; [unrolled: 1-line block ×4, first 2 shown]
	s_waitcnt vmcnt(3)
	v_pk_mul_f32 v[28:29], v[20:21], v[10:11]
	v_pk_mul_f32 v[30:31], v[22:23], v[12:13]
	s_waitcnt vmcnt(1)
	v_pk_mul_f32 v[20:21], v[38:39], v[8:9]
	v_max3_f32 v38, |v28|, s26, |v29|
	v_pk_mul_f32 v[24:25], v[24:25], v[6:7]
	v_max3_f32 v38, v38, |v30|, |v31|
	v_pk_mul_f32 v[26:27], v[26:27], v[14:15]
	v_max3_f32 v38, v38, |v24|, |v25|
	v_max3_f32 v38, v38, |v26|, |v27|
	v_pk_mul_f32 v[22:23], v[40:41], v[16:17]
	v_max3_f32 v38, v38, |v20|, |v21|
	s_waitcnt vmcnt(0)
	v_pk_mul_f32 v[0:1], v[42:43], v[2:3]
	v_max3_f32 v38, v38, |v22|, |v23|
	v_pk_mul_f32 v[4:5], v[44:45], v[18:19]
	v_max3_f32 v38, v38, |v0|, |v1|
	v_max3_f32 v38, v38, |v4|, |v5|
	s_nop 1
	v_mov_b32_dpp v39, v38 quad_perm:[1,0,3,2] row_mask:0xf bank_mask:0xf
	v_cmp_gt_f32_e64 s[4:5], v38, v39
	v_cndmask_b32_e64 v38, v39, v38, s[4:5]
	s_nop 1
	v_mov_b32_dpp v39, v38 quad_perm:[2,3,0,1] row_mask:0xf bank_mask:0xf
	v_cmp_gt_f32_e64 s[4:5], v38, v39
	v_cndmask_b32_e64 v38, v39, v38, s[4:5]
	s_nop 1
	v_mov_b32_dpp v39, v38 row_half_mirror row_mask:0xf bank_mask:0xf
	v_cmp_gt_f32_e64 s[4:5], v38, v39
	v_cndmask_b32_e64 v38, v39, v38, s[4:5]
	s_nop 1
	v_mov_b32_dpp v39, v38 row_mirror row_mask:0xf bank_mask:0xf
	v_cmp_gt_f32_e64 s[4:5], v38, v39
	v_cndmask_b32_e64 v38, v39, v38, s[4:5]
	s_nop 1
	v_mov_b32_dpp v39, v38 row_bcast:15 row_mask:0xf bank_mask:0xf
	v_cmp_gt_f32_e64 s[4:5], v38, v39
	v_cndmask_b32_e64 v38, v39, v38, s[4:5]
	s_nop 1
	v_mov_b32_dpp v39, v38 row_bcast:31 row_mask:0xf bank_mask:0xf
	s_and_saveexec_b64 s[16:17], vcc
	s_cbranch_execz .LBB203_9
; %bb.8:                                ;   in Loop: Header=BB203_6 Depth=1
	v_cmp_gt_f32_e64 s[4:5], v38, v39
	v_cndmask_b32_e64 v38, v39, v38, s[4:5]
	ds_write_b32 v35, v38
.LBB203_9:                              ;   in Loop: Header=BB203_6 Depth=1
	s_or_b64 exec, exec, s[16:17]
	s_waitcnt lgkmcnt(0)
	s_barrier
	ds_read_b32 v38, v36
	s_waitcnt lgkmcnt(0)
	s_nop 0
	v_mov_b32_dpp v39, v38 quad_perm:[1,0,3,2] row_mask:0xf bank_mask:0xf
	v_cmp_gt_f32_e64 s[4:5], v38, v39
	v_cndmask_b32_e64 v38, v39, v38, s[4:5]
	s_nop 1
	v_mov_b32_dpp v39, v38 quad_perm:[2,3,0,1] row_mask:0xf bank_mask:0xf
	v_cmp_gt_f32_e64 s[4:5], v38, v39
	v_cndmask_b32_e64 v38, v39, v38, s[4:5]
	s_nop 1
	v_mov_b32_dpp v39, v38 row_half_mirror row_mask:0xf bank_mask:0xf
	v_cmp_gt_f32_e64 s[4:5], v38, v39
	v_cndmask_b32_e64 v38, v39, v38, s[4:5]
	v_mul_f32_e32 v38, 0x3c010204, v38
	s_and_saveexec_b64 s[4:5], s[0:1]
	s_cbranch_execz .LBB203_11
; %bb.10:                               ;   in Loop: Header=BB203_6 Depth=1
	s_ashr_i32 s7, s6, 31
	s_lshl_b64 s[16:17], s[6:7], 2
	s_add_u32 s16, s10, s16
	s_addc_u32 s17, s11, s17
	global_store_dword v37, v38, s[16:17]
.LBB203_11:                             ;   in Loop: Header=BB203_6 Depth=1
	s_or_b64 exec, exec, s[4:5]
	s_and_saveexec_b64 s[4:5], s[2:3]
	s_cbranch_execz .LBB203_4
; %bb.12:                               ;   in Loop: Header=BB203_6 Depth=1
	v_rcp_f32_e32 v38, v38
	s_mul_i32 s16, s6, s14
	s_mul_hi_i32 s7, s6, s14
	s_add_u32 s20, s8, s16
	v_mov_b32_e32 v39, v38
	;;#ASMSTART
	v_pk_mul_f32 v[28:29], v[28:29], v[38:39]
	;;#ASMEND
	v_cvt_i32_f32_e32 v40, v28
	v_cvt_i32_f32_sdwa v41, v29 dst_sel:BYTE_1 dst_unused:UNUSED_PAD src0_sel:DWORD
	;;#ASMSTART
	v_pk_mul_f32 v[28:29], v[30:31], v[38:39]
	;;#ASMEND
	;;#ASMSTART
	v_pk_mul_f32 v[24:25], v[24:25], v[38:39]
	;;#ASMEND
	v_cvt_i32_f32_e32 v28, v28
	v_cvt_i32_f32_sdwa v29, v29 dst_sel:BYTE_1 dst_unused:UNUSED_PAD src0_sel:DWORD
	v_cvt_i32_f32_e32 v30, v24
	v_cvt_i32_f32_sdwa v31, v25 dst_sel:BYTE_1 dst_unused:UNUSED_PAD src0_sel:DWORD
	;;#ASMSTART
	v_pk_mul_f32 v[24:25], v[26:27], v[38:39]
	;;#ASMEND
	;;#ASMSTART
	v_pk_mul_f32 v[20:21], v[20:21], v[38:39]
	;;#ASMEND
	v_cvt_i32_f32_e32 v24, v24
	v_cvt_i32_f32_sdwa v25, v25 dst_sel:BYTE_1 dst_unused:UNUSED_PAD src0_sel:DWORD
	;; [unrolled: 10-line block ×3, first 2 shown]
	v_cvt_i32_f32_e32 v42, v0
	v_cvt_i32_f32_sdwa v43, v1 dst_sel:BYTE_1 dst_unused:UNUSED_PAD src0_sel:DWORD
	;;#ASMSTART
	v_pk_mul_f32 v[0:1], v[4:5], v[38:39]
	;;#ASMEND
	v_cvt_i32_f32_e32 v0, v0
	v_cvt_i32_f32_sdwa v1, v1 dst_sel:BYTE_1 dst_unused:UNUSED_PAD src0_sel:DWORD
	v_or_b32_sdwa v4, v40, v41 dst_sel:DWORD dst_unused:UNUSED_PAD src0_sel:BYTE_0 src1_sel:DWORD
	v_or_b32_sdwa v5, v28, v29 dst_sel:WORD_1 dst_unused:UNUSED_PAD src0_sel:BYTE_0 src1_sel:DWORD
	v_or_b32_sdwa v20, v4, v5 dst_sel:DWORD dst_unused:UNUSED_PAD src0_sel:WORD_0 src1_sel:DWORD
	v_or_b32_sdwa v4, v30, v31 dst_sel:DWORD dst_unused:UNUSED_PAD src0_sel:BYTE_0 src1_sel:DWORD
	v_or_b32_sdwa v5, v24, v25 dst_sel:WORD_1 dst_unused:UNUSED_PAD src0_sel:BYTE_0 src1_sel:DWORD
	v_or_b32_sdwa v21, v4, v5 dst_sel:DWORD dst_unused:UNUSED_PAD src0_sel:WORD_0 src1_sel:DWORD
	v_or_b32_sdwa v4, v26, v27 dst_sel:DWORD dst_unused:UNUSED_PAD src0_sel:BYTE_0 src1_sel:DWORD
	v_or_b32_sdwa v5, v22, v23 dst_sel:WORD_1 dst_unused:UNUSED_PAD src0_sel:BYTE_0 src1_sel:DWORD
	s_addc_u32 s7, s9, s7
	v_or_b32_sdwa v22, v4, v5 dst_sel:DWORD dst_unused:UNUSED_PAD src0_sel:WORD_0 src1_sel:DWORD
	v_or_b32_sdwa v4, v42, v43 dst_sel:DWORD dst_unused:UNUSED_PAD src0_sel:BYTE_0 src1_sel:DWORD
	v_or_b32_sdwa v0, v0, v1 dst_sel:WORD_1 dst_unused:UNUSED_PAD src0_sel:BYTE_0 src1_sel:DWORD
	s_and_b32 s21, s7, 0xffff
	s_mov_b32 s23, s19
	v_or_b32_sdwa v23, v4, v0 dst_sel:DWORD dst_unused:UNUSED_PAD src0_sel:WORD_0 src1_sel:DWORD
	buffer_store_dwordx4 v[20:23], v33, s[20:23], 0 offen
	;;#ASMSTART
	s_nop 0
	;;#ASMEND
	s_branch .LBB203_4
.LBB203_13:
	s_endpgm
	.section	.rodata,"a",@progbits
	.p2align	6, 0x0
	.amdhsa_kernel _ZN5aiter43moe_smooth_per_token_scaled_quant_kernel_v1ItaLi512ELi16ELb1ELb1ELi1024EEEvPT0_PfPT_S3_PiS6_iiiii
		.amdhsa_group_segment_fixed_size 4128
		.amdhsa_private_segment_fixed_size 0
		.amdhsa_kernarg_size 68
		.amdhsa_user_sgpr_count 6
		.amdhsa_user_sgpr_private_segment_buffer 1
		.amdhsa_user_sgpr_dispatch_ptr 0
		.amdhsa_user_sgpr_queue_ptr 0
		.amdhsa_user_sgpr_kernarg_segment_ptr 1
		.amdhsa_user_sgpr_dispatch_id 0
		.amdhsa_user_sgpr_flat_scratch_init 0
		.amdhsa_user_sgpr_kernarg_preload_length 0
		.amdhsa_user_sgpr_kernarg_preload_offset 0
		.amdhsa_user_sgpr_private_segment_size 0
		.amdhsa_uses_dynamic_stack 0
		.amdhsa_system_sgpr_private_segment_wavefront_offset 0
		.amdhsa_system_sgpr_workgroup_id_x 1
		.amdhsa_system_sgpr_workgroup_id_y 0
		.amdhsa_system_sgpr_workgroup_id_z 0
		.amdhsa_system_sgpr_workgroup_info 0
		.amdhsa_system_vgpr_workitem_id 0
		.amdhsa_next_free_vgpr 46
		.amdhsa_next_free_sgpr 27
		.amdhsa_accum_offset 48
		.amdhsa_reserve_vcc 1
		.amdhsa_reserve_flat_scratch 0
		.amdhsa_float_round_mode_32 0
		.amdhsa_float_round_mode_16_64 0
		.amdhsa_float_denorm_mode_32 3
		.amdhsa_float_denorm_mode_16_64 3
		.amdhsa_dx10_clamp 1
		.amdhsa_ieee_mode 1
		.amdhsa_fp16_overflow 0
		.amdhsa_tg_split 0
		.amdhsa_exception_fp_ieee_invalid_op 0
		.amdhsa_exception_fp_denorm_src 0
		.amdhsa_exception_fp_ieee_div_zero 0
		.amdhsa_exception_fp_ieee_overflow 0
		.amdhsa_exception_fp_ieee_underflow 0
		.amdhsa_exception_fp_ieee_inexact 0
		.amdhsa_exception_int_div_zero 0
	.end_amdhsa_kernel
	.section	.text._ZN5aiter43moe_smooth_per_token_scaled_quant_kernel_v1ItaLi512ELi16ELb1ELb1ELi1024EEEvPT0_PfPT_S3_PiS6_iiiii,"axG",@progbits,_ZN5aiter43moe_smooth_per_token_scaled_quant_kernel_v1ItaLi512ELi16ELb1ELb1ELi1024EEEvPT0_PfPT_S3_PiS6_iiiii,comdat
.Lfunc_end203:
	.size	_ZN5aiter43moe_smooth_per_token_scaled_quant_kernel_v1ItaLi512ELi16ELb1ELb1ELi1024EEEvPT0_PfPT_S3_PiS6_iiiii, .Lfunc_end203-_ZN5aiter43moe_smooth_per_token_scaled_quant_kernel_v1ItaLi512ELi16ELb1ELb1ELi1024EEEvPT0_PfPT_S3_PiS6_iiiii
                                        ; -- End function
	.section	.AMDGPU.csdata,"",@progbits
; Kernel info:
; codeLenInByte = 1476
; NumSgprs: 31
; NumVgprs: 46
; NumAgprs: 0
; TotalNumVgprs: 46
; ScratchSize: 0
; MemoryBound: 0
; FloatMode: 240
; IeeeMode: 1
; LDSByteSize: 4128 bytes/workgroup (compile time only)
; SGPRBlocks: 3
; VGPRBlocks: 5
; NumSGPRsForWavesPerEU: 31
; NumVGPRsForWavesPerEU: 46
; AccumOffset: 48
; Occupancy: 8
; WaveLimiterHint : 0
; COMPUTE_PGM_RSRC2:SCRATCH_EN: 0
; COMPUTE_PGM_RSRC2:USER_SGPR: 6
; COMPUTE_PGM_RSRC2:TRAP_HANDLER: 0
; COMPUTE_PGM_RSRC2:TGID_X_EN: 1
; COMPUTE_PGM_RSRC2:TGID_Y_EN: 0
; COMPUTE_PGM_RSRC2:TGID_Z_EN: 0
; COMPUTE_PGM_RSRC2:TIDIG_COMP_CNT: 0
; COMPUTE_PGM_RSRC3_GFX90A:ACCUM_OFFSET: 11
; COMPUTE_PGM_RSRC3_GFX90A:TG_SPLIT: 0
	.section	.text._ZN5aiter43moe_smooth_per_token_scaled_quant_kernel_v1IDF16_aLi512ELi16ELb1ELb0ELi1024EEEvPT0_PfPT_S3_PiS6_iiiii,"axG",@progbits,_ZN5aiter43moe_smooth_per_token_scaled_quant_kernel_v1IDF16_aLi512ELi16ELb1ELb0ELi1024EEEvPT0_PfPT_S3_PiS6_iiiii,comdat
	.protected	_ZN5aiter43moe_smooth_per_token_scaled_quant_kernel_v1IDF16_aLi512ELi16ELb1ELb0ELi1024EEEvPT0_PfPT_S3_PiS6_iiiii ; -- Begin function _ZN5aiter43moe_smooth_per_token_scaled_quant_kernel_v1IDF16_aLi512ELi16ELb1ELb0ELi1024EEEvPT0_PfPT_S3_PiS6_iiiii
	.globl	_ZN5aiter43moe_smooth_per_token_scaled_quant_kernel_v1IDF16_aLi512ELi16ELb1ELb0ELi1024EEEvPT0_PfPT_S3_PiS6_iiiii
	.p2align	8
	.type	_ZN5aiter43moe_smooth_per_token_scaled_quant_kernel_v1IDF16_aLi512ELi16ELb1ELb0ELi1024EEEvPT0_PfPT_S3_PiS6_iiiii,@function
_ZN5aiter43moe_smooth_per_token_scaled_quant_kernel_v1IDF16_aLi512ELi16ELb1ELb0ELi1024EEEvPT0_PfPT_S3_PiS6_iiiii: ; @_ZN5aiter43moe_smooth_per_token_scaled_quant_kernel_v1IDF16_aLi512ELi16ELb1ELb0ELi1024EEEvPT0_PfPT_S3_PiS6_iiiii
; %bb.0:
	s_load_dwordx4 s[8:11], s[4:5], 0x30
	s_load_dwordx2 s[0:1], s[4:5], 0x10
	s_load_dwordx2 s[2:3], s[4:5], 0x20
	v_and_b32_e32 v1, 63, v0
	s_mov_b32 s15, 0x20000
	s_waitcnt lgkmcnt(0)
	s_mul_i32 s12, s6, s9
	s_ashr_i32 s13, s12, 31
	s_lshl_b64 s[12:13], s[12:13], 2
	s_add_u32 s12, s2, s12
	s_addc_u32 s2, s3, s13
	s_and_b32 s13, s2, 0xffff
	s_mul_hi_i32 s3, s11, s6
	s_mul_i32 s2, s11, s6
	s_lshl_b32 s14, s9, 2
	v_lshlrev_b32_e32 v2, 2, v1
	s_lshl_b64 s[2:3], s[2:3], 1
	buffer_load_dword v32, v2, s[12:15], 0 offen
	s_add_u32 s12, s0, s2
	s_addc_u32 s0, s1, s3
	s_lshl_b32 s14, s10, 1
	s_and_b32 s13, s0, 0xffff
	v_lshlrev_b32_e32 v10, 5, v0
	buffer_load_dwordx4 v[6:9], v10, s[12:15], 0 offen
	buffer_load_dwordx4 v[2:5], v10, s[12:15], 16 offen
	s_mov_b32 s11, 0
	s_cmp_lt_i32 s9, 1
	s_waitcnt vmcnt(2)
	s_barrier
	s_cbranch_scc1 .LBB204_11
; %bb.1:
	s_add_i32 s2, s10, 15
	s_load_dwordx4 s[16:19], s[4:5], 0x0
	s_load_dwordx2 s[24:25], s[4:5], 0x18
	s_ashr_i32 s3, s2, 31
	s_add_i32 s4, s10, 3
	s_waitcnt vmcnt(1)
	v_cvt_f32_f16_sdwa v11, v6 dst_sel:DWORD dst_unused:UNUSED_PAD src0_sel:WORD_1
	v_cvt_f32_f16_e32 v10, v6
	v_cvt_f32_f16_sdwa v13, v7 dst_sel:DWORD dst_unused:UNUSED_PAD src0_sel:WORD_1
	v_cvt_f32_f16_e32 v12, v7
	;; [unrolled: 2-line block ×4, first 2 shown]
	s_waitcnt vmcnt(0)
	v_cvt_f32_f16_sdwa v9, v2 dst_sel:DWORD dst_unused:UNUSED_PAD src0_sel:WORD_1
	v_cvt_f32_f16_e32 v8, v2
	v_cvt_f32_f16_sdwa v17, v3 dst_sel:DWORD dst_unused:UNUSED_PAD src0_sel:WORD_1
	v_cvt_f32_f16_e32 v16, v3
	;; [unrolled: 2-line block ×4, first 2 shown]
	s_lshr_b32 s3, s3, 28
	s_ashr_i32 s5, s4, 31
	v_cmp_eq_u32_e32 vcc, 63, v1
	v_lshrrev_b32_e32 v1, 4, v0
	s_add_i32 s2, s2, s3
	s_lshr_b32 s5, s5, 30
	v_and_b32_e32 v35, 60, v1
	v_and_b32_e32 v1, 7, v0
	s_ashr_i32 s2, s2, 4
	s_add_i32 s4, s4, s5
	v_lshlrev_b32_e32 v33, 4, v0
	s_lshl_b32 s14, s10, 2
	v_lshlrev_b32_e32 v34, 6, v0
	v_lshlrev_b32_e32 v36, 2, v1
	v_cmp_eq_u32_e64 s[0:1], 0, v0
	v_cmp_gt_u32_e64 s[2:3], s2, v0
	s_and_b32 s22, s4, -4
	s_mov_b32 s26, 0x2edbe6ff
	v_mov_b32_e32 v37, 0
	s_branch .LBB204_4
.LBB204_2:                              ;   in Loop: Header=BB204_4 Depth=1
	s_or_b64 exec, exec, s[4:5]
.LBB204_3:                              ;   in Loop: Header=BB204_4 Depth=1
	s_add_i32 s11, s11, 1
	s_add_i32 s6, s6, s8
	s_cmp_eq_u32 s9, s11
	s_cbranch_scc1 .LBB204_11
.LBB204_4:                              ; =>This Inner Loop Header: Depth=1
	v_readlane_b32 s4, v32, s11
	s_cmp_lt_i32 s4, 0
	s_cbranch_scc1 .LBB204_3
; %bb.5:                                ;   in Loop: Header=BB204_4 Depth=1
	s_mul_i32 s4, s4, s10
	s_ashr_i32 s5, s4, 31
	s_lshl_b64 s[4:5], s[4:5], 2
	s_waitcnt lgkmcnt(0)
	s_add_u32 s12, s24, s4
	s_addc_u32 s4, s25, s5
	s_and_b32 s13, s4, 0xffff
	buffer_load_dwordx4 v[20:23], v34, s[12:15], 0 offen
	buffer_load_dwordx4 v[24:27], v34, s[12:15], 16 offen
	;; [unrolled: 1-line block ×4, first 2 shown]
	s_waitcnt vmcnt(3)
	v_pk_mul_f32 v[28:29], v[20:21], v[10:11]
	v_pk_mul_f32 v[30:31], v[22:23], v[12:13]
	s_waitcnt vmcnt(1)
	v_pk_mul_f32 v[20:21], v[38:39], v[8:9]
	v_max3_f32 v38, |v28|, s26, |v29|
	v_pk_mul_f32 v[24:25], v[24:25], v[6:7]
	v_max3_f32 v38, v38, |v30|, |v31|
	v_pk_mul_f32 v[26:27], v[26:27], v[14:15]
	v_max3_f32 v38, v38, |v24|, |v25|
	v_max3_f32 v38, v38, |v26|, |v27|
	v_pk_mul_f32 v[22:23], v[40:41], v[16:17]
	v_max3_f32 v38, v38, |v20|, |v21|
	s_waitcnt vmcnt(0)
	v_pk_mul_f32 v[0:1], v[42:43], v[2:3]
	v_max3_f32 v38, v38, |v22|, |v23|
	v_pk_mul_f32 v[4:5], v[44:45], v[18:19]
	v_max3_f32 v38, v38, |v0|, |v1|
	v_max3_f32 v38, v38, |v4|, |v5|
	s_nop 1
	v_mov_b32_dpp v39, v38 quad_perm:[1,0,3,2] row_mask:0xf bank_mask:0xf
	v_cmp_gt_f32_e64 s[4:5], v38, v39
	v_cndmask_b32_e64 v38, v39, v38, s[4:5]
	s_nop 1
	v_mov_b32_dpp v39, v38 quad_perm:[2,3,0,1] row_mask:0xf bank_mask:0xf
	v_cmp_gt_f32_e64 s[4:5], v38, v39
	v_cndmask_b32_e64 v38, v39, v38, s[4:5]
	s_nop 1
	v_mov_b32_dpp v39, v38 row_half_mirror row_mask:0xf bank_mask:0xf
	v_cmp_gt_f32_e64 s[4:5], v38, v39
	v_cndmask_b32_e64 v38, v39, v38, s[4:5]
	s_nop 1
	v_mov_b32_dpp v39, v38 row_mirror row_mask:0xf bank_mask:0xf
	v_cmp_gt_f32_e64 s[4:5], v38, v39
	v_cndmask_b32_e64 v38, v39, v38, s[4:5]
	s_nop 1
	v_mov_b32_dpp v39, v38 row_bcast:15 row_mask:0xf bank_mask:0xf
	v_cmp_gt_f32_e64 s[4:5], v38, v39
	v_cndmask_b32_e64 v38, v39, v38, s[4:5]
	s_nop 1
	v_mov_b32_dpp v39, v38 row_bcast:31 row_mask:0xf bank_mask:0xf
	s_and_saveexec_b64 s[12:13], vcc
	s_cbranch_execz .LBB204_7
; %bb.6:                                ;   in Loop: Header=BB204_4 Depth=1
	v_cmp_gt_f32_e64 s[4:5], v38, v39
	v_cndmask_b32_e64 v38, v39, v38, s[4:5]
	ds_write_b32 v35, v38
.LBB204_7:                              ;   in Loop: Header=BB204_4 Depth=1
	s_or_b64 exec, exec, s[12:13]
	s_waitcnt lgkmcnt(0)
	s_barrier
	ds_read_b32 v38, v36
	s_waitcnt lgkmcnt(0)
	s_nop 0
	v_mov_b32_dpp v39, v38 quad_perm:[1,0,3,2] row_mask:0xf bank_mask:0xf
	v_cmp_gt_f32_e64 s[4:5], v38, v39
	v_cndmask_b32_e64 v38, v39, v38, s[4:5]
	s_nop 1
	v_mov_b32_dpp v39, v38 quad_perm:[2,3,0,1] row_mask:0xf bank_mask:0xf
	v_cmp_gt_f32_e64 s[4:5], v38, v39
	v_cndmask_b32_e64 v38, v39, v38, s[4:5]
	s_nop 1
	v_mov_b32_dpp v39, v38 row_half_mirror row_mask:0xf bank_mask:0xf
	v_cmp_gt_f32_e64 s[4:5], v38, v39
	v_cndmask_b32_e64 v38, v39, v38, s[4:5]
	v_mul_f32_e32 v38, 0x3c010204, v38
	s_and_saveexec_b64 s[4:5], s[0:1]
	s_cbranch_execz .LBB204_9
; %bb.8:                                ;   in Loop: Header=BB204_4 Depth=1
	s_ashr_i32 s7, s6, 31
	s_lshl_b64 s[12:13], s[6:7], 2
	s_add_u32 s12, s18, s12
	s_addc_u32 s13, s19, s13
	global_store_dword v37, v38, s[12:13]
.LBB204_9:                              ;   in Loop: Header=BB204_4 Depth=1
	s_or_b64 exec, exec, s[4:5]
	s_and_saveexec_b64 s[4:5], s[2:3]
	s_cbranch_execz .LBB204_2
; %bb.10:                               ;   in Loop: Header=BB204_4 Depth=1
	v_rcp_f32_e32 v38, v38
	s_mul_i32 s12, s6, s10
	s_mul_hi_i32 s7, s6, s10
	s_add_u32 s20, s16, s12
	v_mov_b32_e32 v39, v38
	;;#ASMSTART
	v_pk_mul_f32 v[28:29], v[28:29], v[38:39]
	;;#ASMEND
	v_cvt_i32_f32_e32 v40, v28
	v_cvt_i32_f32_sdwa v41, v29 dst_sel:BYTE_1 dst_unused:UNUSED_PAD src0_sel:DWORD
	;;#ASMSTART
	v_pk_mul_f32 v[28:29], v[30:31], v[38:39]
	;;#ASMEND
	;;#ASMSTART
	v_pk_mul_f32 v[24:25], v[24:25], v[38:39]
	;;#ASMEND
	v_cvt_i32_f32_e32 v28, v28
	v_cvt_i32_f32_sdwa v29, v29 dst_sel:BYTE_1 dst_unused:UNUSED_PAD src0_sel:DWORD
	v_cvt_i32_f32_e32 v30, v24
	v_cvt_i32_f32_sdwa v31, v25 dst_sel:BYTE_1 dst_unused:UNUSED_PAD src0_sel:DWORD
	;;#ASMSTART
	v_pk_mul_f32 v[24:25], v[26:27], v[38:39]
	;;#ASMEND
	;;#ASMSTART
	v_pk_mul_f32 v[20:21], v[20:21], v[38:39]
	;;#ASMEND
	v_cvt_i32_f32_e32 v24, v24
	v_cvt_i32_f32_sdwa v25, v25 dst_sel:BYTE_1 dst_unused:UNUSED_PAD src0_sel:DWORD
	;; [unrolled: 10-line block ×3, first 2 shown]
	v_cvt_i32_f32_e32 v42, v0
	v_cvt_i32_f32_sdwa v43, v1 dst_sel:BYTE_1 dst_unused:UNUSED_PAD src0_sel:DWORD
	;;#ASMSTART
	v_pk_mul_f32 v[0:1], v[4:5], v[38:39]
	;;#ASMEND
	v_cvt_i32_f32_e32 v0, v0
	v_cvt_i32_f32_sdwa v1, v1 dst_sel:BYTE_1 dst_unused:UNUSED_PAD src0_sel:DWORD
	v_or_b32_sdwa v4, v40, v41 dst_sel:DWORD dst_unused:UNUSED_PAD src0_sel:BYTE_0 src1_sel:DWORD
	v_or_b32_sdwa v5, v28, v29 dst_sel:WORD_1 dst_unused:UNUSED_PAD src0_sel:BYTE_0 src1_sel:DWORD
	v_or_b32_sdwa v20, v4, v5 dst_sel:DWORD dst_unused:UNUSED_PAD src0_sel:WORD_0 src1_sel:DWORD
	v_or_b32_sdwa v4, v30, v31 dst_sel:DWORD dst_unused:UNUSED_PAD src0_sel:BYTE_0 src1_sel:DWORD
	v_or_b32_sdwa v5, v24, v25 dst_sel:WORD_1 dst_unused:UNUSED_PAD src0_sel:BYTE_0 src1_sel:DWORD
	v_or_b32_sdwa v21, v4, v5 dst_sel:DWORD dst_unused:UNUSED_PAD src0_sel:WORD_0 src1_sel:DWORD
	v_or_b32_sdwa v4, v26, v27 dst_sel:DWORD dst_unused:UNUSED_PAD src0_sel:BYTE_0 src1_sel:DWORD
	v_or_b32_sdwa v5, v22, v23 dst_sel:WORD_1 dst_unused:UNUSED_PAD src0_sel:BYTE_0 src1_sel:DWORD
	s_addc_u32 s7, s17, s7
	v_or_b32_sdwa v22, v4, v5 dst_sel:DWORD dst_unused:UNUSED_PAD src0_sel:WORD_0 src1_sel:DWORD
	v_or_b32_sdwa v4, v42, v43 dst_sel:DWORD dst_unused:UNUSED_PAD src0_sel:BYTE_0 src1_sel:DWORD
	v_or_b32_sdwa v0, v0, v1 dst_sel:WORD_1 dst_unused:UNUSED_PAD src0_sel:BYTE_0 src1_sel:DWORD
	s_and_b32 s21, s7, 0xffff
	s_mov_b32 s23, s15
	v_or_b32_sdwa v23, v4, v0 dst_sel:DWORD dst_unused:UNUSED_PAD src0_sel:WORD_0 src1_sel:DWORD
	buffer_store_dwordx4 v[20:23], v33, s[20:23], 0 offen
	;;#ASMSTART
	s_nop 0
	;;#ASMEND
	s_branch .LBB204_2
.LBB204_11:
	s_endpgm
	.section	.rodata,"a",@progbits
	.p2align	6, 0x0
	.amdhsa_kernel _ZN5aiter43moe_smooth_per_token_scaled_quant_kernel_v1IDF16_aLi512ELi16ELb1ELb0ELi1024EEEvPT0_PfPT_S3_PiS6_iiiii
		.amdhsa_group_segment_fixed_size 32
		.amdhsa_private_segment_fixed_size 0
		.amdhsa_kernarg_size 68
		.amdhsa_user_sgpr_count 6
		.amdhsa_user_sgpr_private_segment_buffer 1
		.amdhsa_user_sgpr_dispatch_ptr 0
		.amdhsa_user_sgpr_queue_ptr 0
		.amdhsa_user_sgpr_kernarg_segment_ptr 1
		.amdhsa_user_sgpr_dispatch_id 0
		.amdhsa_user_sgpr_flat_scratch_init 0
		.amdhsa_user_sgpr_kernarg_preload_length 0
		.amdhsa_user_sgpr_kernarg_preload_offset 0
		.amdhsa_user_sgpr_private_segment_size 0
		.amdhsa_uses_dynamic_stack 0
		.amdhsa_system_sgpr_private_segment_wavefront_offset 0
		.amdhsa_system_sgpr_workgroup_id_x 1
		.amdhsa_system_sgpr_workgroup_id_y 0
		.amdhsa_system_sgpr_workgroup_id_z 0
		.amdhsa_system_sgpr_workgroup_info 0
		.amdhsa_system_vgpr_workitem_id 0
		.amdhsa_next_free_vgpr 46
		.amdhsa_next_free_sgpr 27
		.amdhsa_accum_offset 48
		.amdhsa_reserve_vcc 1
		.amdhsa_reserve_flat_scratch 0
		.amdhsa_float_round_mode_32 0
		.amdhsa_float_round_mode_16_64 0
		.amdhsa_float_denorm_mode_32 3
		.amdhsa_float_denorm_mode_16_64 3
		.amdhsa_dx10_clamp 1
		.amdhsa_ieee_mode 1
		.amdhsa_fp16_overflow 0
		.amdhsa_tg_split 0
		.amdhsa_exception_fp_ieee_invalid_op 0
		.amdhsa_exception_fp_denorm_src 0
		.amdhsa_exception_fp_ieee_div_zero 0
		.amdhsa_exception_fp_ieee_overflow 0
		.amdhsa_exception_fp_ieee_underflow 0
		.amdhsa_exception_fp_ieee_inexact 0
		.amdhsa_exception_int_div_zero 0
	.end_amdhsa_kernel
	.section	.text._ZN5aiter43moe_smooth_per_token_scaled_quant_kernel_v1IDF16_aLi512ELi16ELb1ELb0ELi1024EEEvPT0_PfPT_S3_PiS6_iiiii,"axG",@progbits,_ZN5aiter43moe_smooth_per_token_scaled_quant_kernel_v1IDF16_aLi512ELi16ELb1ELb0ELi1024EEEvPT0_PfPT_S3_PiS6_iiiii,comdat
.Lfunc_end204:
	.size	_ZN5aiter43moe_smooth_per_token_scaled_quant_kernel_v1IDF16_aLi512ELi16ELb1ELb0ELi1024EEEvPT0_PfPT_S3_PiS6_iiiii, .Lfunc_end204-_ZN5aiter43moe_smooth_per_token_scaled_quant_kernel_v1IDF16_aLi512ELi16ELb1ELb0ELi1024EEEvPT0_PfPT_S3_PiS6_iiiii
                                        ; -- End function
	.section	.AMDGPU.csdata,"",@progbits
; Kernel info:
; codeLenInByte = 1280
; NumSgprs: 31
; NumVgprs: 46
; NumAgprs: 0
; TotalNumVgprs: 46
; ScratchSize: 0
; MemoryBound: 0
; FloatMode: 240
; IeeeMode: 1
; LDSByteSize: 32 bytes/workgroup (compile time only)
; SGPRBlocks: 3
; VGPRBlocks: 5
; NumSGPRsForWavesPerEU: 31
; NumVGPRsForWavesPerEU: 46
; AccumOffset: 48
; Occupancy: 8
; WaveLimiterHint : 0
; COMPUTE_PGM_RSRC2:SCRATCH_EN: 0
; COMPUTE_PGM_RSRC2:USER_SGPR: 6
; COMPUTE_PGM_RSRC2:TRAP_HANDLER: 0
; COMPUTE_PGM_RSRC2:TGID_X_EN: 1
; COMPUTE_PGM_RSRC2:TGID_Y_EN: 0
; COMPUTE_PGM_RSRC2:TGID_Z_EN: 0
; COMPUTE_PGM_RSRC2:TIDIG_COMP_CNT: 0
; COMPUTE_PGM_RSRC3_GFX90A:ACCUM_OFFSET: 11
; COMPUTE_PGM_RSRC3_GFX90A:TG_SPLIT: 0
	.section	.text._ZN5aiter43moe_smooth_per_token_scaled_quant_kernel_v1ItaLi512ELi16ELb1ELb0ELi1024EEEvPT0_PfPT_S3_PiS6_iiiii,"axG",@progbits,_ZN5aiter43moe_smooth_per_token_scaled_quant_kernel_v1ItaLi512ELi16ELb1ELb0ELi1024EEEvPT0_PfPT_S3_PiS6_iiiii,comdat
	.protected	_ZN5aiter43moe_smooth_per_token_scaled_quant_kernel_v1ItaLi512ELi16ELb1ELb0ELi1024EEEvPT0_PfPT_S3_PiS6_iiiii ; -- Begin function _ZN5aiter43moe_smooth_per_token_scaled_quant_kernel_v1ItaLi512ELi16ELb1ELb0ELi1024EEEvPT0_PfPT_S3_PiS6_iiiii
	.globl	_ZN5aiter43moe_smooth_per_token_scaled_quant_kernel_v1ItaLi512ELi16ELb1ELb0ELi1024EEEvPT0_PfPT_S3_PiS6_iiiii
	.p2align	8
	.type	_ZN5aiter43moe_smooth_per_token_scaled_quant_kernel_v1ItaLi512ELi16ELb1ELb0ELi1024EEEvPT0_PfPT_S3_PiS6_iiiii,@function
_ZN5aiter43moe_smooth_per_token_scaled_quant_kernel_v1ItaLi512ELi16ELb1ELb0ELi1024EEEvPT0_PfPT_S3_PiS6_iiiii: ; @_ZN5aiter43moe_smooth_per_token_scaled_quant_kernel_v1ItaLi512ELi16ELb1ELb0ELi1024EEEvPT0_PfPT_S3_PiS6_iiiii
; %bb.0:
	s_load_dwordx4 s[8:11], s[4:5], 0x30
	s_load_dwordx2 s[0:1], s[4:5], 0x10
	s_load_dwordx2 s[2:3], s[4:5], 0x20
	v_and_b32_e32 v1, 63, v0
	s_mov_b32 s15, 0x20000
	s_waitcnt lgkmcnt(0)
	s_mul_i32 s12, s6, s9
	s_ashr_i32 s13, s12, 31
	s_lshl_b64 s[12:13], s[12:13], 2
	s_add_u32 s12, s2, s12
	s_addc_u32 s2, s3, s13
	s_and_b32 s13, s2, 0xffff
	s_mul_hi_i32 s3, s11, s6
	s_mul_i32 s2, s11, s6
	s_lshl_b32 s14, s9, 2
	v_lshlrev_b32_e32 v2, 2, v1
	s_lshl_b64 s[2:3], s[2:3], 1
	buffer_load_dword v32, v2, s[12:15], 0 offen
	s_add_u32 s12, s0, s2
	s_addc_u32 s0, s1, s3
	s_lshl_b32 s14, s10, 1
	s_and_b32 s13, s0, 0xffff
	v_lshlrev_b32_e32 v10, 5, v0
	buffer_load_dwordx4 v[6:9], v10, s[12:15], 0 offen
	buffer_load_dwordx4 v[2:5], v10, s[12:15], 16 offen
	s_mov_b32 s11, 0
	s_cmp_lt_i32 s9, 1
	s_waitcnt vmcnt(2)
	s_barrier
	s_cbranch_scc1 .LBB205_11
; %bb.1:
	s_add_i32 s2, s10, 15
	s_load_dwordx4 s[16:19], s[4:5], 0x0
	s_load_dwordx2 s[24:25], s[4:5], 0x18
	s_ashr_i32 s3, s2, 31
	s_add_i32 s4, s10, 3
	s_waitcnt vmcnt(1)
	v_cvt_f32_u32_sdwa v11, v6 dst_sel:DWORD dst_unused:UNUSED_PAD src0_sel:WORD_1
	v_cvt_f32_u32_sdwa v10, v6 dst_sel:DWORD dst_unused:UNUSED_PAD src0_sel:WORD_0
	v_cvt_f32_u32_sdwa v13, v7 dst_sel:DWORD dst_unused:UNUSED_PAD src0_sel:WORD_1
	v_cvt_f32_u32_sdwa v12, v7 dst_sel:DWORD dst_unused:UNUSED_PAD src0_sel:WORD_0
	;; [unrolled: 2-line block ×4, first 2 shown]
	s_waitcnt vmcnt(0)
	v_cvt_f32_u32_sdwa v9, v2 dst_sel:DWORD dst_unused:UNUSED_PAD src0_sel:WORD_1
	v_cvt_f32_u32_sdwa v8, v2 dst_sel:DWORD dst_unused:UNUSED_PAD src0_sel:WORD_0
	v_cvt_f32_u32_sdwa v17, v3 dst_sel:DWORD dst_unused:UNUSED_PAD src0_sel:WORD_1
	v_cvt_f32_u32_sdwa v16, v3 dst_sel:DWORD dst_unused:UNUSED_PAD src0_sel:WORD_0
	v_cvt_f32_u32_sdwa v3, v4 dst_sel:DWORD dst_unused:UNUSED_PAD src0_sel:WORD_1
	v_cvt_f32_u32_sdwa v2, v4 dst_sel:DWORD dst_unused:UNUSED_PAD src0_sel:WORD_0
	v_cvt_f32_u32_sdwa v19, v5 dst_sel:DWORD dst_unused:UNUSED_PAD src0_sel:WORD_1
	v_cvt_f32_u32_sdwa v18, v5 dst_sel:DWORD dst_unused:UNUSED_PAD src0_sel:WORD_0
	s_lshr_b32 s3, s3, 28
	s_ashr_i32 s5, s4, 31
	v_cmp_eq_u32_e32 vcc, 63, v1
	v_lshrrev_b32_e32 v1, 4, v0
	s_add_i32 s2, s2, s3
	s_lshr_b32 s5, s5, 30
	v_and_b32_e32 v35, 60, v1
	v_and_b32_e32 v1, 7, v0
	s_ashr_i32 s2, s2, 4
	s_add_i32 s4, s4, s5
	v_lshlrev_b32_e32 v33, 4, v0
	s_lshl_b32 s14, s10, 2
	v_lshlrev_b32_e32 v34, 6, v0
	v_lshlrev_b32_e32 v36, 2, v1
	v_cmp_eq_u32_e64 s[0:1], 0, v0
	v_cmp_gt_u32_e64 s[2:3], s2, v0
	s_and_b32 s22, s4, -4
	s_mov_b32 s26, 0x2edbe6ff
	v_mov_b32_e32 v37, 0
	s_branch .LBB205_4
.LBB205_2:                              ;   in Loop: Header=BB205_4 Depth=1
	s_or_b64 exec, exec, s[4:5]
.LBB205_3:                              ;   in Loop: Header=BB205_4 Depth=1
	s_add_i32 s11, s11, 1
	s_add_i32 s6, s6, s8
	s_cmp_eq_u32 s9, s11
	s_cbranch_scc1 .LBB205_11
.LBB205_4:                              ; =>This Inner Loop Header: Depth=1
	v_readlane_b32 s4, v32, s11
	s_cmp_lt_i32 s4, 0
	s_cbranch_scc1 .LBB205_3
; %bb.5:                                ;   in Loop: Header=BB205_4 Depth=1
	s_mul_i32 s4, s4, s10
	s_ashr_i32 s5, s4, 31
	s_lshl_b64 s[4:5], s[4:5], 2
	s_waitcnt lgkmcnt(0)
	s_add_u32 s12, s24, s4
	s_addc_u32 s4, s25, s5
	s_and_b32 s13, s4, 0xffff
	buffer_load_dwordx4 v[20:23], v34, s[12:15], 0 offen
	buffer_load_dwordx4 v[24:27], v34, s[12:15], 16 offen
	buffer_load_dwordx4 v[38:41], v34, s[12:15], 32 offen
	buffer_load_dwordx4 v[42:45], v34, s[12:15], 48 offen
	s_waitcnt vmcnt(3)
	v_pk_mul_f32 v[28:29], v[20:21], v[10:11]
	v_pk_mul_f32 v[30:31], v[22:23], v[12:13]
	s_waitcnt vmcnt(1)
	v_pk_mul_f32 v[20:21], v[38:39], v[8:9]
	v_max3_f32 v38, |v28|, s26, |v29|
	v_pk_mul_f32 v[24:25], v[24:25], v[6:7]
	v_max3_f32 v38, v38, |v30|, |v31|
	v_pk_mul_f32 v[26:27], v[26:27], v[14:15]
	v_max3_f32 v38, v38, |v24|, |v25|
	v_max3_f32 v38, v38, |v26|, |v27|
	v_pk_mul_f32 v[22:23], v[40:41], v[16:17]
	v_max3_f32 v38, v38, |v20|, |v21|
	s_waitcnt vmcnt(0)
	v_pk_mul_f32 v[0:1], v[42:43], v[2:3]
	v_max3_f32 v38, v38, |v22|, |v23|
	v_pk_mul_f32 v[4:5], v[44:45], v[18:19]
	v_max3_f32 v38, v38, |v0|, |v1|
	v_max3_f32 v38, v38, |v4|, |v5|
	s_nop 1
	v_mov_b32_dpp v39, v38 quad_perm:[1,0,3,2] row_mask:0xf bank_mask:0xf
	v_cmp_gt_f32_e64 s[4:5], v38, v39
	v_cndmask_b32_e64 v38, v39, v38, s[4:5]
	s_nop 1
	v_mov_b32_dpp v39, v38 quad_perm:[2,3,0,1] row_mask:0xf bank_mask:0xf
	v_cmp_gt_f32_e64 s[4:5], v38, v39
	v_cndmask_b32_e64 v38, v39, v38, s[4:5]
	s_nop 1
	v_mov_b32_dpp v39, v38 row_half_mirror row_mask:0xf bank_mask:0xf
	v_cmp_gt_f32_e64 s[4:5], v38, v39
	v_cndmask_b32_e64 v38, v39, v38, s[4:5]
	s_nop 1
	v_mov_b32_dpp v39, v38 row_mirror row_mask:0xf bank_mask:0xf
	v_cmp_gt_f32_e64 s[4:5], v38, v39
	v_cndmask_b32_e64 v38, v39, v38, s[4:5]
	s_nop 1
	v_mov_b32_dpp v39, v38 row_bcast:15 row_mask:0xf bank_mask:0xf
	v_cmp_gt_f32_e64 s[4:5], v38, v39
	v_cndmask_b32_e64 v38, v39, v38, s[4:5]
	s_nop 1
	v_mov_b32_dpp v39, v38 row_bcast:31 row_mask:0xf bank_mask:0xf
	s_and_saveexec_b64 s[12:13], vcc
	s_cbranch_execz .LBB205_7
; %bb.6:                                ;   in Loop: Header=BB205_4 Depth=1
	v_cmp_gt_f32_e64 s[4:5], v38, v39
	v_cndmask_b32_e64 v38, v39, v38, s[4:5]
	ds_write_b32 v35, v38
.LBB205_7:                              ;   in Loop: Header=BB205_4 Depth=1
	s_or_b64 exec, exec, s[12:13]
	s_waitcnt lgkmcnt(0)
	s_barrier
	ds_read_b32 v38, v36
	s_waitcnt lgkmcnt(0)
	s_nop 0
	v_mov_b32_dpp v39, v38 quad_perm:[1,0,3,2] row_mask:0xf bank_mask:0xf
	v_cmp_gt_f32_e64 s[4:5], v38, v39
	v_cndmask_b32_e64 v38, v39, v38, s[4:5]
	s_nop 1
	v_mov_b32_dpp v39, v38 quad_perm:[2,3,0,1] row_mask:0xf bank_mask:0xf
	v_cmp_gt_f32_e64 s[4:5], v38, v39
	v_cndmask_b32_e64 v38, v39, v38, s[4:5]
	s_nop 1
	v_mov_b32_dpp v39, v38 row_half_mirror row_mask:0xf bank_mask:0xf
	v_cmp_gt_f32_e64 s[4:5], v38, v39
	v_cndmask_b32_e64 v38, v39, v38, s[4:5]
	v_mul_f32_e32 v38, 0x3c010204, v38
	s_and_saveexec_b64 s[4:5], s[0:1]
	s_cbranch_execz .LBB205_9
; %bb.8:                                ;   in Loop: Header=BB205_4 Depth=1
	s_ashr_i32 s7, s6, 31
	s_lshl_b64 s[12:13], s[6:7], 2
	s_add_u32 s12, s18, s12
	s_addc_u32 s13, s19, s13
	global_store_dword v37, v38, s[12:13]
.LBB205_9:                              ;   in Loop: Header=BB205_4 Depth=1
	s_or_b64 exec, exec, s[4:5]
	s_and_saveexec_b64 s[4:5], s[2:3]
	s_cbranch_execz .LBB205_2
; %bb.10:                               ;   in Loop: Header=BB205_4 Depth=1
	v_rcp_f32_e32 v38, v38
	s_mul_i32 s12, s6, s10
	s_mul_hi_i32 s7, s6, s10
	s_add_u32 s20, s16, s12
	v_mov_b32_e32 v39, v38
	;;#ASMSTART
	v_pk_mul_f32 v[28:29], v[28:29], v[38:39]
	;;#ASMEND
	v_cvt_i32_f32_e32 v40, v28
	v_cvt_i32_f32_sdwa v41, v29 dst_sel:BYTE_1 dst_unused:UNUSED_PAD src0_sel:DWORD
	;;#ASMSTART
	v_pk_mul_f32 v[28:29], v[30:31], v[38:39]
	;;#ASMEND
	;;#ASMSTART
	v_pk_mul_f32 v[24:25], v[24:25], v[38:39]
	;;#ASMEND
	v_cvt_i32_f32_e32 v28, v28
	v_cvt_i32_f32_sdwa v29, v29 dst_sel:BYTE_1 dst_unused:UNUSED_PAD src0_sel:DWORD
	v_cvt_i32_f32_e32 v30, v24
	v_cvt_i32_f32_sdwa v31, v25 dst_sel:BYTE_1 dst_unused:UNUSED_PAD src0_sel:DWORD
	;;#ASMSTART
	v_pk_mul_f32 v[24:25], v[26:27], v[38:39]
	;;#ASMEND
	;;#ASMSTART
	v_pk_mul_f32 v[20:21], v[20:21], v[38:39]
	;;#ASMEND
	v_cvt_i32_f32_e32 v24, v24
	v_cvt_i32_f32_sdwa v25, v25 dst_sel:BYTE_1 dst_unused:UNUSED_PAD src0_sel:DWORD
	;; [unrolled: 10-line block ×3, first 2 shown]
	v_cvt_i32_f32_e32 v42, v0
	v_cvt_i32_f32_sdwa v43, v1 dst_sel:BYTE_1 dst_unused:UNUSED_PAD src0_sel:DWORD
	;;#ASMSTART
	v_pk_mul_f32 v[0:1], v[4:5], v[38:39]
	;;#ASMEND
	v_cvt_i32_f32_e32 v0, v0
	v_cvt_i32_f32_sdwa v1, v1 dst_sel:BYTE_1 dst_unused:UNUSED_PAD src0_sel:DWORD
	v_or_b32_sdwa v4, v40, v41 dst_sel:DWORD dst_unused:UNUSED_PAD src0_sel:BYTE_0 src1_sel:DWORD
	v_or_b32_sdwa v5, v28, v29 dst_sel:WORD_1 dst_unused:UNUSED_PAD src0_sel:BYTE_0 src1_sel:DWORD
	v_or_b32_sdwa v20, v4, v5 dst_sel:DWORD dst_unused:UNUSED_PAD src0_sel:WORD_0 src1_sel:DWORD
	v_or_b32_sdwa v4, v30, v31 dst_sel:DWORD dst_unused:UNUSED_PAD src0_sel:BYTE_0 src1_sel:DWORD
	v_or_b32_sdwa v5, v24, v25 dst_sel:WORD_1 dst_unused:UNUSED_PAD src0_sel:BYTE_0 src1_sel:DWORD
	v_or_b32_sdwa v21, v4, v5 dst_sel:DWORD dst_unused:UNUSED_PAD src0_sel:WORD_0 src1_sel:DWORD
	v_or_b32_sdwa v4, v26, v27 dst_sel:DWORD dst_unused:UNUSED_PAD src0_sel:BYTE_0 src1_sel:DWORD
	v_or_b32_sdwa v5, v22, v23 dst_sel:WORD_1 dst_unused:UNUSED_PAD src0_sel:BYTE_0 src1_sel:DWORD
	s_addc_u32 s7, s17, s7
	v_or_b32_sdwa v22, v4, v5 dst_sel:DWORD dst_unused:UNUSED_PAD src0_sel:WORD_0 src1_sel:DWORD
	v_or_b32_sdwa v4, v42, v43 dst_sel:DWORD dst_unused:UNUSED_PAD src0_sel:BYTE_0 src1_sel:DWORD
	v_or_b32_sdwa v0, v0, v1 dst_sel:WORD_1 dst_unused:UNUSED_PAD src0_sel:BYTE_0 src1_sel:DWORD
	s_and_b32 s21, s7, 0xffff
	s_mov_b32 s23, s15
	v_or_b32_sdwa v23, v4, v0 dst_sel:DWORD dst_unused:UNUSED_PAD src0_sel:WORD_0 src1_sel:DWORD
	buffer_store_dwordx4 v[20:23], v33, s[20:23], 0 offen
	;;#ASMSTART
	s_nop 0
	;;#ASMEND
	s_branch .LBB205_2
.LBB205_11:
	s_endpgm
	.section	.rodata,"a",@progbits
	.p2align	6, 0x0
	.amdhsa_kernel _ZN5aiter43moe_smooth_per_token_scaled_quant_kernel_v1ItaLi512ELi16ELb1ELb0ELi1024EEEvPT0_PfPT_S3_PiS6_iiiii
		.amdhsa_group_segment_fixed_size 32
		.amdhsa_private_segment_fixed_size 0
		.amdhsa_kernarg_size 68
		.amdhsa_user_sgpr_count 6
		.amdhsa_user_sgpr_private_segment_buffer 1
		.amdhsa_user_sgpr_dispatch_ptr 0
		.amdhsa_user_sgpr_queue_ptr 0
		.amdhsa_user_sgpr_kernarg_segment_ptr 1
		.amdhsa_user_sgpr_dispatch_id 0
		.amdhsa_user_sgpr_flat_scratch_init 0
		.amdhsa_user_sgpr_kernarg_preload_length 0
		.amdhsa_user_sgpr_kernarg_preload_offset 0
		.amdhsa_user_sgpr_private_segment_size 0
		.amdhsa_uses_dynamic_stack 0
		.amdhsa_system_sgpr_private_segment_wavefront_offset 0
		.amdhsa_system_sgpr_workgroup_id_x 1
		.amdhsa_system_sgpr_workgroup_id_y 0
		.amdhsa_system_sgpr_workgroup_id_z 0
		.amdhsa_system_sgpr_workgroup_info 0
		.amdhsa_system_vgpr_workitem_id 0
		.amdhsa_next_free_vgpr 46
		.amdhsa_next_free_sgpr 27
		.amdhsa_accum_offset 48
		.amdhsa_reserve_vcc 1
		.amdhsa_reserve_flat_scratch 0
		.amdhsa_float_round_mode_32 0
		.amdhsa_float_round_mode_16_64 0
		.amdhsa_float_denorm_mode_32 3
		.amdhsa_float_denorm_mode_16_64 3
		.amdhsa_dx10_clamp 1
		.amdhsa_ieee_mode 1
		.amdhsa_fp16_overflow 0
		.amdhsa_tg_split 0
		.amdhsa_exception_fp_ieee_invalid_op 0
		.amdhsa_exception_fp_denorm_src 0
		.amdhsa_exception_fp_ieee_div_zero 0
		.amdhsa_exception_fp_ieee_overflow 0
		.amdhsa_exception_fp_ieee_underflow 0
		.amdhsa_exception_fp_ieee_inexact 0
		.amdhsa_exception_int_div_zero 0
	.end_amdhsa_kernel
	.section	.text._ZN5aiter43moe_smooth_per_token_scaled_quant_kernel_v1ItaLi512ELi16ELb1ELb0ELi1024EEEvPT0_PfPT_S3_PiS6_iiiii,"axG",@progbits,_ZN5aiter43moe_smooth_per_token_scaled_quant_kernel_v1ItaLi512ELi16ELb1ELb0ELi1024EEEvPT0_PfPT_S3_PiS6_iiiii,comdat
.Lfunc_end205:
	.size	_ZN5aiter43moe_smooth_per_token_scaled_quant_kernel_v1ItaLi512ELi16ELb1ELb0ELi1024EEEvPT0_PfPT_S3_PiS6_iiiii, .Lfunc_end205-_ZN5aiter43moe_smooth_per_token_scaled_quant_kernel_v1ItaLi512ELi16ELb1ELb0ELi1024EEEvPT0_PfPT_S3_PiS6_iiiii
                                        ; -- End function
	.section	.AMDGPU.csdata,"",@progbits
; Kernel info:
; codeLenInByte = 1312
; NumSgprs: 31
; NumVgprs: 46
; NumAgprs: 0
; TotalNumVgprs: 46
; ScratchSize: 0
; MemoryBound: 0
; FloatMode: 240
; IeeeMode: 1
; LDSByteSize: 32 bytes/workgroup (compile time only)
; SGPRBlocks: 3
; VGPRBlocks: 5
; NumSGPRsForWavesPerEU: 31
; NumVGPRsForWavesPerEU: 46
; AccumOffset: 48
; Occupancy: 8
; WaveLimiterHint : 0
; COMPUTE_PGM_RSRC2:SCRATCH_EN: 0
; COMPUTE_PGM_RSRC2:USER_SGPR: 6
; COMPUTE_PGM_RSRC2:TRAP_HANDLER: 0
; COMPUTE_PGM_RSRC2:TGID_X_EN: 1
; COMPUTE_PGM_RSRC2:TGID_Y_EN: 0
; COMPUTE_PGM_RSRC2:TGID_Z_EN: 0
; COMPUTE_PGM_RSRC2:TIDIG_COMP_CNT: 0
; COMPUTE_PGM_RSRC3_GFX90A:ACCUM_OFFSET: 11
; COMPUTE_PGM_RSRC3_GFX90A:TG_SPLIT: 0
	.section	.text._ZN5aiter43moe_smooth_per_token_scaled_quant_kernel_v1IDF16_aLi512ELi16ELb0ELb1ELi1024EEEvPT0_PfPT_S3_PiS6_iiiii,"axG",@progbits,_ZN5aiter43moe_smooth_per_token_scaled_quant_kernel_v1IDF16_aLi512ELi16ELb0ELb1ELi1024EEEvPT0_PfPT_S3_PiS6_iiiii,comdat
	.protected	_ZN5aiter43moe_smooth_per_token_scaled_quant_kernel_v1IDF16_aLi512ELi16ELb0ELb1ELi1024EEEvPT0_PfPT_S3_PiS6_iiiii ; -- Begin function _ZN5aiter43moe_smooth_per_token_scaled_quant_kernel_v1IDF16_aLi512ELi16ELb0ELb1ELi1024EEEvPT0_PfPT_S3_PiS6_iiiii
	.globl	_ZN5aiter43moe_smooth_per_token_scaled_quant_kernel_v1IDF16_aLi512ELi16ELb0ELb1ELi1024EEEvPT0_PfPT_S3_PiS6_iiiii
	.p2align	8
	.type	_ZN5aiter43moe_smooth_per_token_scaled_quant_kernel_v1IDF16_aLi512ELi16ELb0ELb1ELi1024EEEvPT0_PfPT_S3_PiS6_iiiii,@function
_ZN5aiter43moe_smooth_per_token_scaled_quant_kernel_v1IDF16_aLi512ELi16ELb0ELb1ELi1024EEEvPT0_PfPT_S3_PiS6_iiiii: ; @_ZN5aiter43moe_smooth_per_token_scaled_quant_kernel_v1IDF16_aLi512ELi16ELb0ELb1ELi1024EEEvPT0_PfPT_S3_PiS6_iiiii
; %bb.0:
	s_load_dwordx4 s[8:11], s[4:5], 0x34
	s_load_dwordx4 s[12:15], s[4:5], 0x20
	s_load_dwordx2 s[16:17], s[4:5], 0x10
	v_and_b32_e32 v1, 0x3c0, v0
	v_lshlrev_b32_e32 v1, 2, v1
	s_waitcnt lgkmcnt(0)
	s_mul_i32 s20, s6, s8
	s_lshl_b32 s2, s11, 2
	s_and_b32 s1, s15, 0xffff
	s_mov_b32 s3, 0x20000
	s_mov_b32 s0, s14
	v_lshlrev_b32_e32 v2, 2, v0
	v_readfirstlane_b32 s7, v1
	;;#ASMSTART
	s_mov_b32 m0 s7
	buffer_load_dword v2, s[0:3], 0 offen offset:0 lds
	
	;;#ASMEND
	v_add_u32_e32 v1, 0x800, v1
	s_ashr_i32 s21, s20, 31
	v_readfirstlane_b32 s7, v1
	v_add_u32_e32 v1, 0x800, v2
	;;#ASMSTART
	s_mov_b32 m0 s7
	buffer_load_dword v1, s[0:3], 0 offen offset:0 lds
	
	;;#ASMEND
	s_lshl_b64 s[0:1], s[20:21], 2
	s_add_u32 s0, s12, s0
	v_and_b32_e32 v1, 63, v0
	s_addc_u32 s1, s13, s1
	s_lshl_b32 s2, s8, 2
	s_and_b32 s1, s1, 0xffff
	v_lshlrev_b32_e32 v2, 2, v1
	buffer_load_dword v32, v2, s[0:3], 0 offen
	s_mul_hi_i32 s1, s10, s6
	s_mul_i32 s0, s10, s6
	s_lshl_b64 s[0:1], s[0:1], 1
	s_add_u32 s0, s16, s0
	s_addc_u32 s1, s17, s1
	s_lshl_b32 s2, s9, 1
	s_and_b32 s1, s1, 0xffff
	v_lshlrev_b32_e32 v10, 5, v0
	buffer_load_dwordx4 v[6:9], v10, s[0:3], 0 offen
	buffer_load_dwordx4 v[2:5], v10, s[0:3], 16 offen
	v_cmp_gt_i32_e32 vcc, s8, v1
	s_waitcnt vmcnt(2)
	s_barrier
	v_cmp_gt_i32_e64 s[2:3], s11, v32
	v_cmp_lt_i32_e64 s[0:1], -1, v32
	s_and_b64 s[2:3], vcc, s[2:3]
	s_and_b64 s[2:3], s[2:3], s[0:1]
	s_and_saveexec_b64 s[0:1], s[2:3]
	s_cbranch_execz .LBB206_2
; %bb.1:
	v_lshlrev_b32_e32 v10, 2, v32
	ds_read_b32 v32, v10
.LBB206_2:
	s_or_b64 exec, exec, s[0:1]
	s_cmp_lt_i32 s8, 1
	s_cbranch_scc1 .LBB206_13
; %bb.3:
	s_add_i32 s2, s9, 15
	s_load_dwordx4 s[12:15], s[4:5], 0x0
	s_load_dwordx2 s[10:11], s[4:5], 0x18
	s_ashr_i32 s3, s2, 31
	s_add_i32 s4, s9, 3
	s_waitcnt vmcnt(1)
	v_cvt_f32_f16_sdwa v11, v6 dst_sel:DWORD dst_unused:UNUSED_PAD src0_sel:WORD_1
	v_cvt_f32_f16_e32 v10, v6
	v_cvt_f32_f16_sdwa v13, v7 dst_sel:DWORD dst_unused:UNUSED_PAD src0_sel:WORD_1
	v_cvt_f32_f16_e32 v12, v7
	;; [unrolled: 2-line block ×4, first 2 shown]
	s_waitcnt vmcnt(0)
	v_cvt_f32_f16_sdwa v9, v2 dst_sel:DWORD dst_unused:UNUSED_PAD src0_sel:WORD_1
	v_cvt_f32_f16_e32 v8, v2
	v_cvt_f32_f16_sdwa v17, v3 dst_sel:DWORD dst_unused:UNUSED_PAD src0_sel:WORD_1
	v_cvt_f32_f16_e32 v16, v3
	;; [unrolled: 2-line block ×4, first 2 shown]
	s_lshr_b32 s3, s3, 28
	s_ashr_i32 s5, s4, 31
	v_cmp_eq_u32_e32 vcc, 63, v1
	v_lshrrev_b32_e32 v1, 4, v0
	v_mov_b32_e32 v4, 0x1000
	s_add_i32 s2, s2, s3
	s_lshr_b32 s5, s5, 30
	v_and_or_b32 v35, v1, 60, v4
	v_and_b32_e32 v1, 7, v0
	s_ashr_i32 s2, s2, 4
	s_add_i32 s4, s4, s5
	s_mov_b32 s21, s9
	v_lshlrev_b32_e32 v33, 4, v0
	s_lshl_b32 s6, s9, 2
	v_lshlrev_b32_e32 v34, 6, v0
	v_lshl_or_b32 v36, v1, 2, v4
	s_mov_b32 s22, 0
	v_cmp_eq_u32_e64 s[0:1], 0, v0
	v_cmp_gt_u32_e64 s[2:3], s2, v0
	s_and_b32 s18, s4, -4
	s_mov_b32 s7, 0x20000
	s_mov_b32 s9, 0x2edbe6ff
	v_mov_b32_e32 v37, 0
	s_branch .LBB206_6
.LBB206_4:                              ;   in Loop: Header=BB206_6 Depth=1
	s_or_b64 exec, exec, s[4:5]
.LBB206_5:                              ;   in Loop: Header=BB206_6 Depth=1
	s_add_i32 s22, s22, 1
	s_cmp_eq_u32 s8, s22
	s_cbranch_scc1 .LBB206_13
.LBB206_6:                              ; =>This Inner Loop Header: Depth=1
	s_waitcnt lgkmcnt(0)
	v_readlane_b32 s4, v32, s22
	s_cmp_lt_i32 s4, 0
	s_cbranch_scc1 .LBB206_5
; %bb.7:                                ;   in Loop: Header=BB206_6 Depth=1
	s_mul_i32 s4, s4, s21
	s_ashr_i32 s5, s4, 31
	s_lshl_b64 s[4:5], s[4:5], 2
	s_add_u32 s4, s10, s4
	s_addc_u32 s5, s11, s5
	s_and_b32 s5, s5, 0xffff
	buffer_load_dwordx4 v[20:23], v34, s[4:7], 0 offen
	buffer_load_dwordx4 v[24:27], v34, s[4:7], 16 offen
	;; [unrolled: 1-line block ×4, first 2 shown]
	s_waitcnt vmcnt(3)
	v_pk_mul_f32 v[28:29], v[20:21], v[10:11]
	v_pk_mul_f32 v[30:31], v[22:23], v[12:13]
	s_waitcnt vmcnt(1)
	v_pk_mul_f32 v[20:21], v[38:39], v[8:9]
	v_max3_f32 v38, |v28|, s9, |v29|
	v_pk_mul_f32 v[24:25], v[24:25], v[6:7]
	v_max3_f32 v38, v38, |v30|, |v31|
	v_pk_mul_f32 v[26:27], v[26:27], v[14:15]
	v_max3_f32 v38, v38, |v24|, |v25|
	v_max3_f32 v38, v38, |v26|, |v27|
	v_pk_mul_f32 v[22:23], v[40:41], v[16:17]
	v_max3_f32 v38, v38, |v20|, |v21|
	s_waitcnt vmcnt(0)
	v_pk_mul_f32 v[0:1], v[42:43], v[2:3]
	v_max3_f32 v38, v38, |v22|, |v23|
	v_pk_mul_f32 v[4:5], v[44:45], v[18:19]
	v_max3_f32 v38, v38, |v0|, |v1|
	v_max3_f32 v38, v38, |v4|, |v5|
	s_nop 1
	v_mov_b32_dpp v39, v38 quad_perm:[1,0,3,2] row_mask:0xf bank_mask:0xf
	v_cmp_gt_f32_e64 s[4:5], v38, v39
	v_cndmask_b32_e64 v38, v39, v38, s[4:5]
	s_nop 1
	v_mov_b32_dpp v39, v38 quad_perm:[2,3,0,1] row_mask:0xf bank_mask:0xf
	v_cmp_gt_f32_e64 s[4:5], v38, v39
	v_cndmask_b32_e64 v38, v39, v38, s[4:5]
	s_nop 1
	v_mov_b32_dpp v39, v38 row_half_mirror row_mask:0xf bank_mask:0xf
	v_cmp_gt_f32_e64 s[4:5], v38, v39
	v_cndmask_b32_e64 v38, v39, v38, s[4:5]
	s_nop 1
	v_mov_b32_dpp v39, v38 row_mirror row_mask:0xf bank_mask:0xf
	v_cmp_gt_f32_e64 s[4:5], v38, v39
	v_cndmask_b32_e64 v38, v39, v38, s[4:5]
	s_nop 1
	v_mov_b32_dpp v39, v38 row_bcast:15 row_mask:0xf bank_mask:0xf
	v_cmp_gt_f32_e64 s[4:5], v38, v39
	v_cndmask_b32_e64 v38, v39, v38, s[4:5]
	s_nop 1
	v_mov_b32_dpp v39, v38 row_bcast:31 row_mask:0xf bank_mask:0xf
	s_and_saveexec_b64 s[16:17], vcc
	s_cbranch_execz .LBB206_9
; %bb.8:                                ;   in Loop: Header=BB206_6 Depth=1
	v_cmp_gt_f32_e64 s[4:5], v38, v39
	v_cndmask_b32_e64 v38, v39, v38, s[4:5]
	ds_write_b32 v35, v38
.LBB206_9:                              ;   in Loop: Header=BB206_6 Depth=1
	s_or_b64 exec, exec, s[16:17]
	s_waitcnt lgkmcnt(0)
	s_barrier
	ds_read_b32 v38, v36
	s_add_i32 s16, s20, s22
	s_waitcnt lgkmcnt(0)
	v_mov_b32_dpp v39, v38 quad_perm:[1,0,3,2] row_mask:0xf bank_mask:0xf
	v_cmp_gt_f32_e64 s[4:5], v38, v39
	v_cndmask_b32_e64 v38, v39, v38, s[4:5]
	s_nop 1
	v_mov_b32_dpp v39, v38 quad_perm:[2,3,0,1] row_mask:0xf bank_mask:0xf
	v_cmp_gt_f32_e64 s[4:5], v38, v39
	v_cndmask_b32_e64 v38, v39, v38, s[4:5]
	s_nop 1
	v_mov_b32_dpp v39, v38 row_half_mirror row_mask:0xf bank_mask:0xf
	v_cmp_gt_f32_e64 s[4:5], v38, v39
	v_cndmask_b32_e64 v38, v39, v38, s[4:5]
	v_mul_f32_e32 v38, 0x3c010204, v38
	s_and_saveexec_b64 s[4:5], s[0:1]
	s_cbranch_execz .LBB206_11
; %bb.10:                               ;   in Loop: Header=BB206_6 Depth=1
	s_ashr_i32 s17, s16, 31
	s_lshl_b64 s[24:25], s[16:17], 2
	s_add_u32 s24, s14, s24
	s_addc_u32 s25, s15, s25
	global_store_dword v37, v38, s[24:25]
.LBB206_11:                             ;   in Loop: Header=BB206_6 Depth=1
	s_or_b64 exec, exec, s[4:5]
	s_and_saveexec_b64 s[4:5], s[2:3]
	s_cbranch_execz .LBB206_4
; %bb.12:                               ;   in Loop: Header=BB206_6 Depth=1
	v_rcp_f32_e32 v38, v38
	s_mul_hi_i32 s17, s16, s21
	s_mul_i32 s16, s16, s21
	s_add_u32 s16, s12, s16
	v_mov_b32_e32 v39, v38
	;;#ASMSTART
	v_pk_mul_f32 v[28:29], v[28:29], v[38:39]
	;;#ASMEND
	v_cvt_i32_f32_e32 v40, v28
	v_cvt_i32_f32_sdwa v41, v29 dst_sel:BYTE_1 dst_unused:UNUSED_PAD src0_sel:DWORD
	;;#ASMSTART
	v_pk_mul_f32 v[28:29], v[30:31], v[38:39]
	;;#ASMEND
	;;#ASMSTART
	v_pk_mul_f32 v[24:25], v[24:25], v[38:39]
	;;#ASMEND
	v_cvt_i32_f32_e32 v28, v28
	v_cvt_i32_f32_sdwa v29, v29 dst_sel:BYTE_1 dst_unused:UNUSED_PAD src0_sel:DWORD
	v_cvt_i32_f32_e32 v30, v24
	v_cvt_i32_f32_sdwa v31, v25 dst_sel:BYTE_1 dst_unused:UNUSED_PAD src0_sel:DWORD
	;;#ASMSTART
	v_pk_mul_f32 v[24:25], v[26:27], v[38:39]
	;;#ASMEND
	;;#ASMSTART
	v_pk_mul_f32 v[20:21], v[20:21], v[38:39]
	;;#ASMEND
	v_cvt_i32_f32_e32 v24, v24
	v_cvt_i32_f32_sdwa v25, v25 dst_sel:BYTE_1 dst_unused:UNUSED_PAD src0_sel:DWORD
	;; [unrolled: 10-line block ×3, first 2 shown]
	v_cvt_i32_f32_e32 v42, v0
	v_cvt_i32_f32_sdwa v43, v1 dst_sel:BYTE_1 dst_unused:UNUSED_PAD src0_sel:DWORD
	;;#ASMSTART
	v_pk_mul_f32 v[0:1], v[4:5], v[38:39]
	;;#ASMEND
	v_cvt_i32_f32_e32 v0, v0
	v_cvt_i32_f32_sdwa v1, v1 dst_sel:BYTE_1 dst_unused:UNUSED_PAD src0_sel:DWORD
	v_or_b32_sdwa v4, v40, v41 dst_sel:DWORD dst_unused:UNUSED_PAD src0_sel:BYTE_0 src1_sel:DWORD
	v_or_b32_sdwa v5, v28, v29 dst_sel:WORD_1 dst_unused:UNUSED_PAD src0_sel:BYTE_0 src1_sel:DWORD
	v_or_b32_sdwa v20, v4, v5 dst_sel:DWORD dst_unused:UNUSED_PAD src0_sel:WORD_0 src1_sel:DWORD
	v_or_b32_sdwa v4, v30, v31 dst_sel:DWORD dst_unused:UNUSED_PAD src0_sel:BYTE_0 src1_sel:DWORD
	v_or_b32_sdwa v5, v24, v25 dst_sel:WORD_1 dst_unused:UNUSED_PAD src0_sel:BYTE_0 src1_sel:DWORD
	v_or_b32_sdwa v21, v4, v5 dst_sel:DWORD dst_unused:UNUSED_PAD src0_sel:WORD_0 src1_sel:DWORD
	v_or_b32_sdwa v4, v26, v27 dst_sel:DWORD dst_unused:UNUSED_PAD src0_sel:BYTE_0 src1_sel:DWORD
	v_or_b32_sdwa v5, v22, v23 dst_sel:WORD_1 dst_unused:UNUSED_PAD src0_sel:BYTE_0 src1_sel:DWORD
	s_addc_u32 s17, s13, s17
	v_or_b32_sdwa v22, v4, v5 dst_sel:DWORD dst_unused:UNUSED_PAD src0_sel:WORD_0 src1_sel:DWORD
	v_or_b32_sdwa v4, v42, v43 dst_sel:DWORD dst_unused:UNUSED_PAD src0_sel:BYTE_0 src1_sel:DWORD
	v_or_b32_sdwa v0, v0, v1 dst_sel:WORD_1 dst_unused:UNUSED_PAD src0_sel:BYTE_0 src1_sel:DWORD
	s_and_b32 s17, s17, 0xffff
	s_mov_b32 s19, s7
	v_or_b32_sdwa v23, v4, v0 dst_sel:DWORD dst_unused:UNUSED_PAD src0_sel:WORD_0 src1_sel:DWORD
	buffer_store_dwordx4 v[20:23], v33, s[16:19], 0 offen
	;;#ASMSTART
	s_nop 0
	;;#ASMEND
	s_branch .LBB206_4
.LBB206_13:
	s_endpgm
	.section	.rodata,"a",@progbits
	.p2align	6, 0x0
	.amdhsa_kernel _ZN5aiter43moe_smooth_per_token_scaled_quant_kernel_v1IDF16_aLi512ELi16ELb0ELb1ELi1024EEEvPT0_PfPT_S3_PiS6_iiiii
		.amdhsa_group_segment_fixed_size 4128
		.amdhsa_private_segment_fixed_size 0
		.amdhsa_kernarg_size 68
		.amdhsa_user_sgpr_count 6
		.amdhsa_user_sgpr_private_segment_buffer 1
		.amdhsa_user_sgpr_dispatch_ptr 0
		.amdhsa_user_sgpr_queue_ptr 0
		.amdhsa_user_sgpr_kernarg_segment_ptr 1
		.amdhsa_user_sgpr_dispatch_id 0
		.amdhsa_user_sgpr_flat_scratch_init 0
		.amdhsa_user_sgpr_kernarg_preload_length 0
		.amdhsa_user_sgpr_kernarg_preload_offset 0
		.amdhsa_user_sgpr_private_segment_size 0
		.amdhsa_uses_dynamic_stack 0
		.amdhsa_system_sgpr_private_segment_wavefront_offset 0
		.amdhsa_system_sgpr_workgroup_id_x 1
		.amdhsa_system_sgpr_workgroup_id_y 0
		.amdhsa_system_sgpr_workgroup_id_z 0
		.amdhsa_system_sgpr_workgroup_info 0
		.amdhsa_system_vgpr_workitem_id 0
		.amdhsa_next_free_vgpr 46
		.amdhsa_next_free_sgpr 26
		.amdhsa_accum_offset 48
		.amdhsa_reserve_vcc 1
		.amdhsa_reserve_flat_scratch 0
		.amdhsa_float_round_mode_32 0
		.amdhsa_float_round_mode_16_64 0
		.amdhsa_float_denorm_mode_32 3
		.amdhsa_float_denorm_mode_16_64 3
		.amdhsa_dx10_clamp 1
		.amdhsa_ieee_mode 1
		.amdhsa_fp16_overflow 0
		.amdhsa_tg_split 0
		.amdhsa_exception_fp_ieee_invalid_op 0
		.amdhsa_exception_fp_denorm_src 0
		.amdhsa_exception_fp_ieee_div_zero 0
		.amdhsa_exception_fp_ieee_overflow 0
		.amdhsa_exception_fp_ieee_underflow 0
		.amdhsa_exception_fp_ieee_inexact 0
		.amdhsa_exception_int_div_zero 0
	.end_amdhsa_kernel
	.section	.text._ZN5aiter43moe_smooth_per_token_scaled_quant_kernel_v1IDF16_aLi512ELi16ELb0ELb1ELi1024EEEvPT0_PfPT_S3_PiS6_iiiii,"axG",@progbits,_ZN5aiter43moe_smooth_per_token_scaled_quant_kernel_v1IDF16_aLi512ELi16ELb0ELb1ELi1024EEEvPT0_PfPT_S3_PiS6_iiiii,comdat
.Lfunc_end206:
	.size	_ZN5aiter43moe_smooth_per_token_scaled_quant_kernel_v1IDF16_aLi512ELi16ELb0ELb1ELi1024EEEvPT0_PfPT_S3_PiS6_iiiii, .Lfunc_end206-_ZN5aiter43moe_smooth_per_token_scaled_quant_kernel_v1IDF16_aLi512ELi16ELb0ELb1ELi1024EEEvPT0_PfPT_S3_PiS6_iiiii
                                        ; -- End function
	.section	.AMDGPU.csdata,"",@progbits
; Kernel info:
; codeLenInByte = 1444
; NumSgprs: 30
; NumVgprs: 46
; NumAgprs: 0
; TotalNumVgprs: 46
; ScratchSize: 0
; MemoryBound: 0
; FloatMode: 240
; IeeeMode: 1
; LDSByteSize: 4128 bytes/workgroup (compile time only)
; SGPRBlocks: 3
; VGPRBlocks: 5
; NumSGPRsForWavesPerEU: 30
; NumVGPRsForWavesPerEU: 46
; AccumOffset: 48
; Occupancy: 8
; WaveLimiterHint : 0
; COMPUTE_PGM_RSRC2:SCRATCH_EN: 0
; COMPUTE_PGM_RSRC2:USER_SGPR: 6
; COMPUTE_PGM_RSRC2:TRAP_HANDLER: 0
; COMPUTE_PGM_RSRC2:TGID_X_EN: 1
; COMPUTE_PGM_RSRC2:TGID_Y_EN: 0
; COMPUTE_PGM_RSRC2:TGID_Z_EN: 0
; COMPUTE_PGM_RSRC2:TIDIG_COMP_CNT: 0
; COMPUTE_PGM_RSRC3_GFX90A:ACCUM_OFFSET: 11
; COMPUTE_PGM_RSRC3_GFX90A:TG_SPLIT: 0
	.section	.text._ZN5aiter43moe_smooth_per_token_scaled_quant_kernel_v1ItaLi512ELi16ELb0ELb1ELi1024EEEvPT0_PfPT_S3_PiS6_iiiii,"axG",@progbits,_ZN5aiter43moe_smooth_per_token_scaled_quant_kernel_v1ItaLi512ELi16ELb0ELb1ELi1024EEEvPT0_PfPT_S3_PiS6_iiiii,comdat
	.protected	_ZN5aiter43moe_smooth_per_token_scaled_quant_kernel_v1ItaLi512ELi16ELb0ELb1ELi1024EEEvPT0_PfPT_S3_PiS6_iiiii ; -- Begin function _ZN5aiter43moe_smooth_per_token_scaled_quant_kernel_v1ItaLi512ELi16ELb0ELb1ELi1024EEEvPT0_PfPT_S3_PiS6_iiiii
	.globl	_ZN5aiter43moe_smooth_per_token_scaled_quant_kernel_v1ItaLi512ELi16ELb0ELb1ELi1024EEEvPT0_PfPT_S3_PiS6_iiiii
	.p2align	8
	.type	_ZN5aiter43moe_smooth_per_token_scaled_quant_kernel_v1ItaLi512ELi16ELb0ELb1ELi1024EEEvPT0_PfPT_S3_PiS6_iiiii,@function
_ZN5aiter43moe_smooth_per_token_scaled_quant_kernel_v1ItaLi512ELi16ELb0ELb1ELi1024EEEvPT0_PfPT_S3_PiS6_iiiii: ; @_ZN5aiter43moe_smooth_per_token_scaled_quant_kernel_v1ItaLi512ELi16ELb0ELb1ELi1024EEEvPT0_PfPT_S3_PiS6_iiiii
; %bb.0:
	s_load_dwordx4 s[8:11], s[4:5], 0x34
	s_load_dwordx4 s[12:15], s[4:5], 0x20
	s_load_dwordx2 s[16:17], s[4:5], 0x10
	v_and_b32_e32 v1, 0x3c0, v0
	v_lshlrev_b32_e32 v1, 2, v1
	s_waitcnt lgkmcnt(0)
	s_mul_i32 s20, s6, s8
	s_lshl_b32 s2, s11, 2
	s_and_b32 s1, s15, 0xffff
	s_mov_b32 s3, 0x20000
	s_mov_b32 s0, s14
	v_lshlrev_b32_e32 v2, 2, v0
	v_readfirstlane_b32 s7, v1
	;;#ASMSTART
	s_mov_b32 m0 s7
	buffer_load_dword v2, s[0:3], 0 offen offset:0 lds
	
	;;#ASMEND
	v_add_u32_e32 v1, 0x800, v1
	s_ashr_i32 s21, s20, 31
	v_readfirstlane_b32 s7, v1
	v_add_u32_e32 v1, 0x800, v2
	;;#ASMSTART
	s_mov_b32 m0 s7
	buffer_load_dword v1, s[0:3], 0 offen offset:0 lds
	
	;;#ASMEND
	s_lshl_b64 s[0:1], s[20:21], 2
	s_add_u32 s0, s12, s0
	v_and_b32_e32 v1, 63, v0
	s_addc_u32 s1, s13, s1
	s_lshl_b32 s2, s8, 2
	s_and_b32 s1, s1, 0xffff
	v_lshlrev_b32_e32 v2, 2, v1
	buffer_load_dword v32, v2, s[0:3], 0 offen
	s_mul_hi_i32 s1, s10, s6
	s_mul_i32 s0, s10, s6
	s_lshl_b64 s[0:1], s[0:1], 1
	s_add_u32 s0, s16, s0
	s_addc_u32 s1, s17, s1
	s_lshl_b32 s2, s9, 1
	s_and_b32 s1, s1, 0xffff
	v_lshlrev_b32_e32 v10, 5, v0
	buffer_load_dwordx4 v[6:9], v10, s[0:3], 0 offen
	buffer_load_dwordx4 v[2:5], v10, s[0:3], 16 offen
	v_cmp_gt_i32_e32 vcc, s8, v1
	s_waitcnt vmcnt(2)
	s_barrier
	v_cmp_gt_i32_e64 s[2:3], s11, v32
	v_cmp_lt_i32_e64 s[0:1], -1, v32
	s_and_b64 s[2:3], vcc, s[2:3]
	s_and_b64 s[2:3], s[2:3], s[0:1]
	s_and_saveexec_b64 s[0:1], s[2:3]
	s_cbranch_execz .LBB207_2
; %bb.1:
	v_lshlrev_b32_e32 v10, 2, v32
	ds_read_b32 v32, v10
.LBB207_2:
	s_or_b64 exec, exec, s[0:1]
	s_cmp_lt_i32 s8, 1
	s_cbranch_scc1 .LBB207_13
; %bb.3:
	s_add_i32 s2, s9, 15
	s_load_dwordx4 s[12:15], s[4:5], 0x0
	s_load_dwordx2 s[10:11], s[4:5], 0x18
	s_ashr_i32 s3, s2, 31
	s_add_i32 s4, s9, 3
	s_waitcnt vmcnt(1)
	v_cvt_f32_u32_sdwa v11, v6 dst_sel:DWORD dst_unused:UNUSED_PAD src0_sel:WORD_1
	v_cvt_f32_u32_sdwa v10, v6 dst_sel:DWORD dst_unused:UNUSED_PAD src0_sel:WORD_0
	v_cvt_f32_u32_sdwa v13, v7 dst_sel:DWORD dst_unused:UNUSED_PAD src0_sel:WORD_1
	v_cvt_f32_u32_sdwa v12, v7 dst_sel:DWORD dst_unused:UNUSED_PAD src0_sel:WORD_0
	;; [unrolled: 2-line block ×4, first 2 shown]
	s_waitcnt vmcnt(0)
	v_cvt_f32_u32_sdwa v9, v2 dst_sel:DWORD dst_unused:UNUSED_PAD src0_sel:WORD_1
	v_cvt_f32_u32_sdwa v8, v2 dst_sel:DWORD dst_unused:UNUSED_PAD src0_sel:WORD_0
	v_cvt_f32_u32_sdwa v17, v3 dst_sel:DWORD dst_unused:UNUSED_PAD src0_sel:WORD_1
	v_cvt_f32_u32_sdwa v16, v3 dst_sel:DWORD dst_unused:UNUSED_PAD src0_sel:WORD_0
	;; [unrolled: 2-line block ×4, first 2 shown]
	s_lshr_b32 s3, s3, 28
	s_ashr_i32 s5, s4, 31
	v_cmp_eq_u32_e32 vcc, 63, v1
	v_lshrrev_b32_e32 v1, 4, v0
	v_mov_b32_e32 v4, 0x1000
	s_add_i32 s2, s2, s3
	s_lshr_b32 s5, s5, 30
	v_and_or_b32 v35, v1, 60, v4
	v_and_b32_e32 v1, 7, v0
	s_ashr_i32 s2, s2, 4
	s_add_i32 s4, s4, s5
	s_mov_b32 s21, s9
	v_lshlrev_b32_e32 v33, 4, v0
	s_lshl_b32 s6, s9, 2
	v_lshlrev_b32_e32 v34, 6, v0
	v_lshl_or_b32 v36, v1, 2, v4
	s_mov_b32 s22, 0
	v_cmp_eq_u32_e64 s[0:1], 0, v0
	v_cmp_gt_u32_e64 s[2:3], s2, v0
	s_and_b32 s18, s4, -4
	s_mov_b32 s7, 0x20000
	s_mov_b32 s9, 0x2edbe6ff
	v_mov_b32_e32 v37, 0
	s_branch .LBB207_6
.LBB207_4:                              ;   in Loop: Header=BB207_6 Depth=1
	s_or_b64 exec, exec, s[4:5]
.LBB207_5:                              ;   in Loop: Header=BB207_6 Depth=1
	s_add_i32 s22, s22, 1
	s_cmp_eq_u32 s8, s22
	s_cbranch_scc1 .LBB207_13
.LBB207_6:                              ; =>This Inner Loop Header: Depth=1
	s_waitcnt lgkmcnt(0)
	v_readlane_b32 s4, v32, s22
	s_cmp_lt_i32 s4, 0
	s_cbranch_scc1 .LBB207_5
; %bb.7:                                ;   in Loop: Header=BB207_6 Depth=1
	s_mul_i32 s4, s4, s21
	s_ashr_i32 s5, s4, 31
	s_lshl_b64 s[4:5], s[4:5], 2
	s_add_u32 s4, s10, s4
	s_addc_u32 s5, s11, s5
	s_and_b32 s5, s5, 0xffff
	buffer_load_dwordx4 v[20:23], v34, s[4:7], 0 offen
	buffer_load_dwordx4 v[24:27], v34, s[4:7], 16 offen
	;; [unrolled: 1-line block ×4, first 2 shown]
	s_waitcnt vmcnt(3)
	v_pk_mul_f32 v[28:29], v[20:21], v[10:11]
	v_pk_mul_f32 v[30:31], v[22:23], v[12:13]
	s_waitcnt vmcnt(1)
	v_pk_mul_f32 v[20:21], v[38:39], v[8:9]
	v_max3_f32 v38, |v28|, s9, |v29|
	v_pk_mul_f32 v[24:25], v[24:25], v[6:7]
	v_max3_f32 v38, v38, |v30|, |v31|
	v_pk_mul_f32 v[26:27], v[26:27], v[14:15]
	v_max3_f32 v38, v38, |v24|, |v25|
	v_max3_f32 v38, v38, |v26|, |v27|
	v_pk_mul_f32 v[22:23], v[40:41], v[16:17]
	v_max3_f32 v38, v38, |v20|, |v21|
	s_waitcnt vmcnt(0)
	v_pk_mul_f32 v[0:1], v[42:43], v[2:3]
	v_max3_f32 v38, v38, |v22|, |v23|
	v_pk_mul_f32 v[4:5], v[44:45], v[18:19]
	v_max3_f32 v38, v38, |v0|, |v1|
	v_max3_f32 v38, v38, |v4|, |v5|
	s_nop 1
	v_mov_b32_dpp v39, v38 quad_perm:[1,0,3,2] row_mask:0xf bank_mask:0xf
	v_cmp_gt_f32_e64 s[4:5], v38, v39
	v_cndmask_b32_e64 v38, v39, v38, s[4:5]
	s_nop 1
	v_mov_b32_dpp v39, v38 quad_perm:[2,3,0,1] row_mask:0xf bank_mask:0xf
	v_cmp_gt_f32_e64 s[4:5], v38, v39
	v_cndmask_b32_e64 v38, v39, v38, s[4:5]
	s_nop 1
	v_mov_b32_dpp v39, v38 row_half_mirror row_mask:0xf bank_mask:0xf
	v_cmp_gt_f32_e64 s[4:5], v38, v39
	v_cndmask_b32_e64 v38, v39, v38, s[4:5]
	s_nop 1
	v_mov_b32_dpp v39, v38 row_mirror row_mask:0xf bank_mask:0xf
	v_cmp_gt_f32_e64 s[4:5], v38, v39
	v_cndmask_b32_e64 v38, v39, v38, s[4:5]
	s_nop 1
	v_mov_b32_dpp v39, v38 row_bcast:15 row_mask:0xf bank_mask:0xf
	v_cmp_gt_f32_e64 s[4:5], v38, v39
	v_cndmask_b32_e64 v38, v39, v38, s[4:5]
	s_nop 1
	v_mov_b32_dpp v39, v38 row_bcast:31 row_mask:0xf bank_mask:0xf
	s_and_saveexec_b64 s[16:17], vcc
	s_cbranch_execz .LBB207_9
; %bb.8:                                ;   in Loop: Header=BB207_6 Depth=1
	v_cmp_gt_f32_e64 s[4:5], v38, v39
	v_cndmask_b32_e64 v38, v39, v38, s[4:5]
	ds_write_b32 v35, v38
.LBB207_9:                              ;   in Loop: Header=BB207_6 Depth=1
	s_or_b64 exec, exec, s[16:17]
	s_waitcnt lgkmcnt(0)
	s_barrier
	ds_read_b32 v38, v36
	s_add_i32 s16, s20, s22
	s_waitcnt lgkmcnt(0)
	v_mov_b32_dpp v39, v38 quad_perm:[1,0,3,2] row_mask:0xf bank_mask:0xf
	v_cmp_gt_f32_e64 s[4:5], v38, v39
	v_cndmask_b32_e64 v38, v39, v38, s[4:5]
	s_nop 1
	v_mov_b32_dpp v39, v38 quad_perm:[2,3,0,1] row_mask:0xf bank_mask:0xf
	v_cmp_gt_f32_e64 s[4:5], v38, v39
	v_cndmask_b32_e64 v38, v39, v38, s[4:5]
	s_nop 1
	v_mov_b32_dpp v39, v38 row_half_mirror row_mask:0xf bank_mask:0xf
	v_cmp_gt_f32_e64 s[4:5], v38, v39
	v_cndmask_b32_e64 v38, v39, v38, s[4:5]
	v_mul_f32_e32 v38, 0x3c010204, v38
	s_and_saveexec_b64 s[4:5], s[0:1]
	s_cbranch_execz .LBB207_11
; %bb.10:                               ;   in Loop: Header=BB207_6 Depth=1
	s_ashr_i32 s17, s16, 31
	s_lshl_b64 s[24:25], s[16:17], 2
	s_add_u32 s24, s14, s24
	s_addc_u32 s25, s15, s25
	global_store_dword v37, v38, s[24:25]
.LBB207_11:                             ;   in Loop: Header=BB207_6 Depth=1
	s_or_b64 exec, exec, s[4:5]
	s_and_saveexec_b64 s[4:5], s[2:3]
	s_cbranch_execz .LBB207_4
; %bb.12:                               ;   in Loop: Header=BB207_6 Depth=1
	v_rcp_f32_e32 v38, v38
	s_mul_hi_i32 s17, s16, s21
	s_mul_i32 s16, s16, s21
	s_add_u32 s16, s12, s16
	v_mov_b32_e32 v39, v38
	;;#ASMSTART
	v_pk_mul_f32 v[28:29], v[28:29], v[38:39]
	;;#ASMEND
	v_cvt_i32_f32_e32 v40, v28
	v_cvt_i32_f32_sdwa v41, v29 dst_sel:BYTE_1 dst_unused:UNUSED_PAD src0_sel:DWORD
	;;#ASMSTART
	v_pk_mul_f32 v[28:29], v[30:31], v[38:39]
	;;#ASMEND
	;;#ASMSTART
	v_pk_mul_f32 v[24:25], v[24:25], v[38:39]
	;;#ASMEND
	v_cvt_i32_f32_e32 v28, v28
	v_cvt_i32_f32_sdwa v29, v29 dst_sel:BYTE_1 dst_unused:UNUSED_PAD src0_sel:DWORD
	v_cvt_i32_f32_e32 v30, v24
	v_cvt_i32_f32_sdwa v31, v25 dst_sel:BYTE_1 dst_unused:UNUSED_PAD src0_sel:DWORD
	;;#ASMSTART
	v_pk_mul_f32 v[24:25], v[26:27], v[38:39]
	;;#ASMEND
	;;#ASMSTART
	v_pk_mul_f32 v[20:21], v[20:21], v[38:39]
	;;#ASMEND
	v_cvt_i32_f32_e32 v24, v24
	v_cvt_i32_f32_sdwa v25, v25 dst_sel:BYTE_1 dst_unused:UNUSED_PAD src0_sel:DWORD
	v_cvt_i32_f32_e32 v26, v20
	v_cvt_i32_f32_sdwa v27, v21 dst_sel:BYTE_1 dst_unused:UNUSED_PAD src0_sel:DWORD
	;;#ASMSTART
	v_pk_mul_f32 v[20:21], v[22:23], v[38:39]
	;;#ASMEND
	;;#ASMSTART
	v_pk_mul_f32 v[0:1], v[0:1], v[38:39]
	;;#ASMEND
	v_cvt_i32_f32_e32 v22, v20
	v_cvt_i32_f32_sdwa v23, v21 dst_sel:BYTE_1 dst_unused:UNUSED_PAD src0_sel:DWORD
	v_cvt_i32_f32_e32 v42, v0
	v_cvt_i32_f32_sdwa v43, v1 dst_sel:BYTE_1 dst_unused:UNUSED_PAD src0_sel:DWORD
	;;#ASMSTART
	v_pk_mul_f32 v[0:1], v[4:5], v[38:39]
	;;#ASMEND
	v_cvt_i32_f32_e32 v0, v0
	v_cvt_i32_f32_sdwa v1, v1 dst_sel:BYTE_1 dst_unused:UNUSED_PAD src0_sel:DWORD
	v_or_b32_sdwa v4, v40, v41 dst_sel:DWORD dst_unused:UNUSED_PAD src0_sel:BYTE_0 src1_sel:DWORD
	v_or_b32_sdwa v5, v28, v29 dst_sel:WORD_1 dst_unused:UNUSED_PAD src0_sel:BYTE_0 src1_sel:DWORD
	v_or_b32_sdwa v20, v4, v5 dst_sel:DWORD dst_unused:UNUSED_PAD src0_sel:WORD_0 src1_sel:DWORD
	v_or_b32_sdwa v4, v30, v31 dst_sel:DWORD dst_unused:UNUSED_PAD src0_sel:BYTE_0 src1_sel:DWORD
	v_or_b32_sdwa v5, v24, v25 dst_sel:WORD_1 dst_unused:UNUSED_PAD src0_sel:BYTE_0 src1_sel:DWORD
	v_or_b32_sdwa v21, v4, v5 dst_sel:DWORD dst_unused:UNUSED_PAD src0_sel:WORD_0 src1_sel:DWORD
	v_or_b32_sdwa v4, v26, v27 dst_sel:DWORD dst_unused:UNUSED_PAD src0_sel:BYTE_0 src1_sel:DWORD
	v_or_b32_sdwa v5, v22, v23 dst_sel:WORD_1 dst_unused:UNUSED_PAD src0_sel:BYTE_0 src1_sel:DWORD
	s_addc_u32 s17, s13, s17
	v_or_b32_sdwa v22, v4, v5 dst_sel:DWORD dst_unused:UNUSED_PAD src0_sel:WORD_0 src1_sel:DWORD
	v_or_b32_sdwa v4, v42, v43 dst_sel:DWORD dst_unused:UNUSED_PAD src0_sel:BYTE_0 src1_sel:DWORD
	v_or_b32_sdwa v0, v0, v1 dst_sel:WORD_1 dst_unused:UNUSED_PAD src0_sel:BYTE_0 src1_sel:DWORD
	s_and_b32 s17, s17, 0xffff
	s_mov_b32 s19, s7
	v_or_b32_sdwa v23, v4, v0 dst_sel:DWORD dst_unused:UNUSED_PAD src0_sel:WORD_0 src1_sel:DWORD
	buffer_store_dwordx4 v[20:23], v33, s[16:19], 0 offen
	;;#ASMSTART
	s_nop 0
	;;#ASMEND
	s_branch .LBB207_4
.LBB207_13:
	s_endpgm
	.section	.rodata,"a",@progbits
	.p2align	6, 0x0
	.amdhsa_kernel _ZN5aiter43moe_smooth_per_token_scaled_quant_kernel_v1ItaLi512ELi16ELb0ELb1ELi1024EEEvPT0_PfPT_S3_PiS6_iiiii
		.amdhsa_group_segment_fixed_size 4128
		.amdhsa_private_segment_fixed_size 0
		.amdhsa_kernarg_size 68
		.amdhsa_user_sgpr_count 6
		.amdhsa_user_sgpr_private_segment_buffer 1
		.amdhsa_user_sgpr_dispatch_ptr 0
		.amdhsa_user_sgpr_queue_ptr 0
		.amdhsa_user_sgpr_kernarg_segment_ptr 1
		.amdhsa_user_sgpr_dispatch_id 0
		.amdhsa_user_sgpr_flat_scratch_init 0
		.amdhsa_user_sgpr_kernarg_preload_length 0
		.amdhsa_user_sgpr_kernarg_preload_offset 0
		.amdhsa_user_sgpr_private_segment_size 0
		.amdhsa_uses_dynamic_stack 0
		.amdhsa_system_sgpr_private_segment_wavefront_offset 0
		.amdhsa_system_sgpr_workgroup_id_x 1
		.amdhsa_system_sgpr_workgroup_id_y 0
		.amdhsa_system_sgpr_workgroup_id_z 0
		.amdhsa_system_sgpr_workgroup_info 0
		.amdhsa_system_vgpr_workitem_id 0
		.amdhsa_next_free_vgpr 46
		.amdhsa_next_free_sgpr 26
		.amdhsa_accum_offset 48
		.amdhsa_reserve_vcc 1
		.amdhsa_reserve_flat_scratch 0
		.amdhsa_float_round_mode_32 0
		.amdhsa_float_round_mode_16_64 0
		.amdhsa_float_denorm_mode_32 3
		.amdhsa_float_denorm_mode_16_64 3
		.amdhsa_dx10_clamp 1
		.amdhsa_ieee_mode 1
		.amdhsa_fp16_overflow 0
		.amdhsa_tg_split 0
		.amdhsa_exception_fp_ieee_invalid_op 0
		.amdhsa_exception_fp_denorm_src 0
		.amdhsa_exception_fp_ieee_div_zero 0
		.amdhsa_exception_fp_ieee_overflow 0
		.amdhsa_exception_fp_ieee_underflow 0
		.amdhsa_exception_fp_ieee_inexact 0
		.amdhsa_exception_int_div_zero 0
	.end_amdhsa_kernel
	.section	.text._ZN5aiter43moe_smooth_per_token_scaled_quant_kernel_v1ItaLi512ELi16ELb0ELb1ELi1024EEEvPT0_PfPT_S3_PiS6_iiiii,"axG",@progbits,_ZN5aiter43moe_smooth_per_token_scaled_quant_kernel_v1ItaLi512ELi16ELb0ELb1ELi1024EEEvPT0_PfPT_S3_PiS6_iiiii,comdat
.Lfunc_end207:
	.size	_ZN5aiter43moe_smooth_per_token_scaled_quant_kernel_v1ItaLi512ELi16ELb0ELb1ELi1024EEEvPT0_PfPT_S3_PiS6_iiiii, .Lfunc_end207-_ZN5aiter43moe_smooth_per_token_scaled_quant_kernel_v1ItaLi512ELi16ELb0ELb1ELi1024EEEvPT0_PfPT_S3_PiS6_iiiii
                                        ; -- End function
	.section	.AMDGPU.csdata,"",@progbits
; Kernel info:
; codeLenInByte = 1476
; NumSgprs: 30
; NumVgprs: 46
; NumAgprs: 0
; TotalNumVgprs: 46
; ScratchSize: 0
; MemoryBound: 0
; FloatMode: 240
; IeeeMode: 1
; LDSByteSize: 4128 bytes/workgroup (compile time only)
; SGPRBlocks: 3
; VGPRBlocks: 5
; NumSGPRsForWavesPerEU: 30
; NumVGPRsForWavesPerEU: 46
; AccumOffset: 48
; Occupancy: 8
; WaveLimiterHint : 0
; COMPUTE_PGM_RSRC2:SCRATCH_EN: 0
; COMPUTE_PGM_RSRC2:USER_SGPR: 6
; COMPUTE_PGM_RSRC2:TRAP_HANDLER: 0
; COMPUTE_PGM_RSRC2:TGID_X_EN: 1
; COMPUTE_PGM_RSRC2:TGID_Y_EN: 0
; COMPUTE_PGM_RSRC2:TGID_Z_EN: 0
; COMPUTE_PGM_RSRC2:TIDIG_COMP_CNT: 0
; COMPUTE_PGM_RSRC3_GFX90A:ACCUM_OFFSET: 11
; COMPUTE_PGM_RSRC3_GFX90A:TG_SPLIT: 0
	.section	.text._ZN5aiter43moe_smooth_per_token_scaled_quant_kernel_v1IDF16_aLi512ELi16ELb0ELb0ELi1024EEEvPT0_PfPT_S3_PiS6_iiiii,"axG",@progbits,_ZN5aiter43moe_smooth_per_token_scaled_quant_kernel_v1IDF16_aLi512ELi16ELb0ELb0ELi1024EEEvPT0_PfPT_S3_PiS6_iiiii,comdat
	.protected	_ZN5aiter43moe_smooth_per_token_scaled_quant_kernel_v1IDF16_aLi512ELi16ELb0ELb0ELi1024EEEvPT0_PfPT_S3_PiS6_iiiii ; -- Begin function _ZN5aiter43moe_smooth_per_token_scaled_quant_kernel_v1IDF16_aLi512ELi16ELb0ELb0ELi1024EEEvPT0_PfPT_S3_PiS6_iiiii
	.globl	_ZN5aiter43moe_smooth_per_token_scaled_quant_kernel_v1IDF16_aLi512ELi16ELb0ELb0ELi1024EEEvPT0_PfPT_S3_PiS6_iiiii
	.p2align	8
	.type	_ZN5aiter43moe_smooth_per_token_scaled_quant_kernel_v1IDF16_aLi512ELi16ELb0ELb0ELi1024EEEvPT0_PfPT_S3_PiS6_iiiii,@function
_ZN5aiter43moe_smooth_per_token_scaled_quant_kernel_v1IDF16_aLi512ELi16ELb0ELb0ELi1024EEEvPT0_PfPT_S3_PiS6_iiiii: ; @_ZN5aiter43moe_smooth_per_token_scaled_quant_kernel_v1IDF16_aLi512ELi16ELb0ELb0ELi1024EEEvPT0_PfPT_S3_PiS6_iiiii
; %bb.0:
	s_load_dwordx4 s[8:11], s[4:5], 0x34
	s_load_dwordx2 s[0:1], s[4:5], 0x10
	s_load_dwordx2 s[2:3], s[4:5], 0x20
	v_and_b32_e32 v1, 63, v0
	s_mov_b32 s15, 0x20000
	s_waitcnt lgkmcnt(0)
	s_mul_i32 s20, s6, s8
	s_ashr_i32 s21, s20, 31
	s_lshl_b64 s[12:13], s[20:21], 2
	s_add_u32 s12, s2, s12
	s_addc_u32 s2, s3, s13
	s_and_b32 s13, s2, 0xffff
	s_mul_hi_i32 s3, s10, s6
	s_mul_i32 s2, s10, s6
	s_lshl_b32 s14, s8, 2
	v_lshlrev_b32_e32 v2, 2, v1
	s_lshl_b64 s[2:3], s[2:3], 1
	buffer_load_dword v32, v2, s[12:15], 0 offen
	s_add_u32 s12, s0, s2
	s_addc_u32 s0, s1, s3
	s_lshl_b32 s14, s9, 1
	s_and_b32 s13, s0, 0xffff
	v_lshlrev_b32_e32 v10, 5, v0
	buffer_load_dwordx4 v[6:9], v10, s[12:15], 0 offen
	buffer_load_dwordx4 v[2:5], v10, s[12:15], 16 offen
	s_mov_b32 s21, 0
	s_cmp_lt_i32 s8, 1
	s_waitcnt vmcnt(2)
	s_barrier
	s_cbranch_scc1 .LBB208_11
; %bb.1:
	s_add_i32 s2, s9, 15
	s_load_dwordx4 s[16:19], s[4:5], 0x0
	s_load_dwordx2 s[10:11], s[4:5], 0x18
	s_ashr_i32 s3, s2, 31
	s_add_i32 s4, s9, 3
	s_waitcnt vmcnt(1)
	v_cvt_f32_f16_sdwa v11, v6 dst_sel:DWORD dst_unused:UNUSED_PAD src0_sel:WORD_1
	v_cvt_f32_f16_e32 v10, v6
	v_cvt_f32_f16_sdwa v13, v7 dst_sel:DWORD dst_unused:UNUSED_PAD src0_sel:WORD_1
	v_cvt_f32_f16_e32 v12, v7
	;; [unrolled: 2-line block ×4, first 2 shown]
	s_waitcnt vmcnt(0)
	v_cvt_f32_f16_sdwa v9, v2 dst_sel:DWORD dst_unused:UNUSED_PAD src0_sel:WORD_1
	v_cvt_f32_f16_e32 v8, v2
	v_cvt_f32_f16_sdwa v17, v3 dst_sel:DWORD dst_unused:UNUSED_PAD src0_sel:WORD_1
	v_cvt_f32_f16_e32 v16, v3
	;; [unrolled: 2-line block ×4, first 2 shown]
	s_lshr_b32 s3, s3, 28
	s_ashr_i32 s5, s4, 31
	v_cmp_eq_u32_e32 vcc, 63, v1
	v_lshrrev_b32_e32 v1, 4, v0
	s_add_i32 s2, s2, s3
	s_lshr_b32 s5, s5, 30
	v_and_b32_e32 v35, 60, v1
	v_and_b32_e32 v1, 7, v0
	s_ashr_i32 s2, s2, 4
	s_add_i32 s4, s4, s5
	s_mov_b32 s22, s9
	v_lshlrev_b32_e32 v33, 4, v0
	s_lshl_b32 s14, s9, 2
	v_lshlrev_b32_e32 v34, 6, v0
	v_lshlrev_b32_e32 v36, 2, v1
	v_cmp_eq_u32_e64 s[0:1], 0, v0
	v_cmp_gt_u32_e64 s[2:3], s2, v0
	s_and_b32 s6, s4, -4
	s_mov_b32 s9, 0x2edbe6ff
	v_mov_b32_e32 v37, 0
	s_branch .LBB208_4
.LBB208_2:                              ;   in Loop: Header=BB208_4 Depth=1
	s_or_b64 exec, exec, s[12:13]
.LBB208_3:                              ;   in Loop: Header=BB208_4 Depth=1
	s_add_i32 s21, s21, 1
	s_cmp_eq_u32 s8, s21
	s_cbranch_scc1 .LBB208_11
.LBB208_4:                              ; =>This Inner Loop Header: Depth=1
	v_readlane_b32 s4, v32, s21
	s_cmp_lt_i32 s4, 0
	s_cbranch_scc1 .LBB208_3
; %bb.5:                                ;   in Loop: Header=BB208_4 Depth=1
	s_mul_i32 s4, s4, s22
	s_ashr_i32 s5, s4, 31
	s_lshl_b64 s[4:5], s[4:5], 2
	s_waitcnt lgkmcnt(0)
	s_add_u32 s12, s10, s4
	s_addc_u32 s4, s11, s5
	s_and_b32 s13, s4, 0xffff
	buffer_load_dwordx4 v[20:23], v34, s[12:15], 0 offen
	buffer_load_dwordx4 v[24:27], v34, s[12:15], 16 offen
	;; [unrolled: 1-line block ×4, first 2 shown]
	s_waitcnt vmcnt(3)
	v_pk_mul_f32 v[28:29], v[20:21], v[10:11]
	v_pk_mul_f32 v[30:31], v[22:23], v[12:13]
	s_waitcnt vmcnt(1)
	v_pk_mul_f32 v[20:21], v[38:39], v[8:9]
	v_max3_f32 v38, |v28|, s9, |v29|
	v_pk_mul_f32 v[24:25], v[24:25], v[6:7]
	v_max3_f32 v38, v38, |v30|, |v31|
	v_pk_mul_f32 v[26:27], v[26:27], v[14:15]
	v_max3_f32 v38, v38, |v24|, |v25|
	v_max3_f32 v38, v38, |v26|, |v27|
	v_pk_mul_f32 v[22:23], v[40:41], v[16:17]
	v_max3_f32 v38, v38, |v20|, |v21|
	s_waitcnt vmcnt(0)
	v_pk_mul_f32 v[0:1], v[42:43], v[2:3]
	v_max3_f32 v38, v38, |v22|, |v23|
	v_pk_mul_f32 v[4:5], v[44:45], v[18:19]
	v_max3_f32 v38, v38, |v0|, |v1|
	v_max3_f32 v38, v38, |v4|, |v5|
	s_nop 1
	v_mov_b32_dpp v39, v38 quad_perm:[1,0,3,2] row_mask:0xf bank_mask:0xf
	v_cmp_gt_f32_e64 s[4:5], v38, v39
	v_cndmask_b32_e64 v38, v39, v38, s[4:5]
	s_nop 1
	v_mov_b32_dpp v39, v38 quad_perm:[2,3,0,1] row_mask:0xf bank_mask:0xf
	v_cmp_gt_f32_e64 s[4:5], v38, v39
	v_cndmask_b32_e64 v38, v39, v38, s[4:5]
	s_nop 1
	v_mov_b32_dpp v39, v38 row_half_mirror row_mask:0xf bank_mask:0xf
	v_cmp_gt_f32_e64 s[4:5], v38, v39
	v_cndmask_b32_e64 v38, v39, v38, s[4:5]
	s_nop 1
	v_mov_b32_dpp v39, v38 row_mirror row_mask:0xf bank_mask:0xf
	v_cmp_gt_f32_e64 s[4:5], v38, v39
	v_cndmask_b32_e64 v38, v39, v38, s[4:5]
	s_nop 1
	v_mov_b32_dpp v39, v38 row_bcast:15 row_mask:0xf bank_mask:0xf
	v_cmp_gt_f32_e64 s[4:5], v38, v39
	v_cndmask_b32_e64 v38, v39, v38, s[4:5]
	s_nop 1
	v_mov_b32_dpp v39, v38 row_bcast:31 row_mask:0xf bank_mask:0xf
	s_and_saveexec_b64 s[12:13], vcc
	s_cbranch_execz .LBB208_7
; %bb.6:                                ;   in Loop: Header=BB208_4 Depth=1
	v_cmp_gt_f32_e64 s[4:5], v38, v39
	v_cndmask_b32_e64 v38, v39, v38, s[4:5]
	ds_write_b32 v35, v38
.LBB208_7:                              ;   in Loop: Header=BB208_4 Depth=1
	s_or_b64 exec, exec, s[12:13]
	s_waitcnt lgkmcnt(0)
	s_barrier
	ds_read_b32 v38, v36
	s_waitcnt lgkmcnt(0)
	s_nop 0
	v_mov_b32_dpp v39, v38 quad_perm:[1,0,3,2] row_mask:0xf bank_mask:0xf
	v_cmp_gt_f32_e64 s[4:5], v38, v39
	v_cndmask_b32_e64 v38, v39, v38, s[4:5]
	s_nop 1
	v_mov_b32_dpp v39, v38 quad_perm:[2,3,0,1] row_mask:0xf bank_mask:0xf
	v_cmp_gt_f32_e64 s[4:5], v38, v39
	v_cndmask_b32_e64 v38, v39, v38, s[4:5]
	s_nop 1
	v_mov_b32_dpp v39, v38 row_half_mirror row_mask:0xf bank_mask:0xf
	v_cmp_gt_f32_e64 s[4:5], v38, v39
	v_cndmask_b32_e64 v38, v39, v38, s[4:5]
	v_mul_f32_e32 v38, 0x3c010204, v38
	s_add_i32 s4, s20, s21
	s_and_saveexec_b64 s[12:13], s[0:1]
	s_cbranch_execz .LBB208_9
; %bb.8:                                ;   in Loop: Header=BB208_4 Depth=1
	s_ashr_i32 s5, s4, 31
	s_lshl_b64 s[24:25], s[4:5], 2
	s_add_u32 s24, s18, s24
	s_addc_u32 s25, s19, s25
	global_store_dword v37, v38, s[24:25]
.LBB208_9:                              ;   in Loop: Header=BB208_4 Depth=1
	s_or_b64 exec, exec, s[12:13]
	s_and_saveexec_b64 s[12:13], s[2:3]
	s_cbranch_execz .LBB208_2
; %bb.10:                               ;   in Loop: Header=BB208_4 Depth=1
	v_rcp_f32_e32 v38, v38
	s_mul_hi_i32 s5, s4, s22
	s_mul_i32 s4, s4, s22
	s_add_u32 s4, s16, s4
	v_mov_b32_e32 v39, v38
	;;#ASMSTART
	v_pk_mul_f32 v[28:29], v[28:29], v[38:39]
	;;#ASMEND
	v_cvt_i32_f32_e32 v40, v28
	v_cvt_i32_f32_sdwa v41, v29 dst_sel:BYTE_1 dst_unused:UNUSED_PAD src0_sel:DWORD
	;;#ASMSTART
	v_pk_mul_f32 v[28:29], v[30:31], v[38:39]
	;;#ASMEND
	;;#ASMSTART
	v_pk_mul_f32 v[24:25], v[24:25], v[38:39]
	;;#ASMEND
	v_cvt_i32_f32_e32 v28, v28
	v_cvt_i32_f32_sdwa v29, v29 dst_sel:BYTE_1 dst_unused:UNUSED_PAD src0_sel:DWORD
	v_cvt_i32_f32_e32 v30, v24
	v_cvt_i32_f32_sdwa v31, v25 dst_sel:BYTE_1 dst_unused:UNUSED_PAD src0_sel:DWORD
	;;#ASMSTART
	v_pk_mul_f32 v[24:25], v[26:27], v[38:39]
	;;#ASMEND
	;;#ASMSTART
	v_pk_mul_f32 v[20:21], v[20:21], v[38:39]
	;;#ASMEND
	v_cvt_i32_f32_e32 v24, v24
	v_cvt_i32_f32_sdwa v25, v25 dst_sel:BYTE_1 dst_unused:UNUSED_PAD src0_sel:DWORD
	v_cvt_i32_f32_e32 v26, v20
	v_cvt_i32_f32_sdwa v27, v21 dst_sel:BYTE_1 dst_unused:UNUSED_PAD src0_sel:DWORD
	;;#ASMSTART
	v_pk_mul_f32 v[20:21], v[22:23], v[38:39]
	;;#ASMEND
	;;#ASMSTART
	v_pk_mul_f32 v[0:1], v[0:1], v[38:39]
	;;#ASMEND
	v_cvt_i32_f32_e32 v22, v20
	v_cvt_i32_f32_sdwa v23, v21 dst_sel:BYTE_1 dst_unused:UNUSED_PAD src0_sel:DWORD
	v_cvt_i32_f32_e32 v42, v0
	v_cvt_i32_f32_sdwa v43, v1 dst_sel:BYTE_1 dst_unused:UNUSED_PAD src0_sel:DWORD
	;;#ASMSTART
	v_pk_mul_f32 v[0:1], v[4:5], v[38:39]
	;;#ASMEND
	v_cvt_i32_f32_e32 v0, v0
	v_cvt_i32_f32_sdwa v1, v1 dst_sel:BYTE_1 dst_unused:UNUSED_PAD src0_sel:DWORD
	v_or_b32_sdwa v4, v40, v41 dst_sel:DWORD dst_unused:UNUSED_PAD src0_sel:BYTE_0 src1_sel:DWORD
	v_or_b32_sdwa v5, v28, v29 dst_sel:WORD_1 dst_unused:UNUSED_PAD src0_sel:BYTE_0 src1_sel:DWORD
	v_or_b32_sdwa v20, v4, v5 dst_sel:DWORD dst_unused:UNUSED_PAD src0_sel:WORD_0 src1_sel:DWORD
	v_or_b32_sdwa v4, v30, v31 dst_sel:DWORD dst_unused:UNUSED_PAD src0_sel:BYTE_0 src1_sel:DWORD
	v_or_b32_sdwa v5, v24, v25 dst_sel:WORD_1 dst_unused:UNUSED_PAD src0_sel:BYTE_0 src1_sel:DWORD
	v_or_b32_sdwa v21, v4, v5 dst_sel:DWORD dst_unused:UNUSED_PAD src0_sel:WORD_0 src1_sel:DWORD
	v_or_b32_sdwa v4, v26, v27 dst_sel:DWORD dst_unused:UNUSED_PAD src0_sel:BYTE_0 src1_sel:DWORD
	v_or_b32_sdwa v5, v22, v23 dst_sel:WORD_1 dst_unused:UNUSED_PAD src0_sel:BYTE_0 src1_sel:DWORD
	s_addc_u32 s5, s17, s5
	v_or_b32_sdwa v22, v4, v5 dst_sel:DWORD dst_unused:UNUSED_PAD src0_sel:WORD_0 src1_sel:DWORD
	v_or_b32_sdwa v4, v42, v43 dst_sel:DWORD dst_unused:UNUSED_PAD src0_sel:BYTE_0 src1_sel:DWORD
	v_or_b32_sdwa v0, v0, v1 dst_sel:WORD_1 dst_unused:UNUSED_PAD src0_sel:BYTE_0 src1_sel:DWORD
	s_and_b32 s5, s5, 0xffff
	s_mov_b32 s7, s15
	v_or_b32_sdwa v23, v4, v0 dst_sel:DWORD dst_unused:UNUSED_PAD src0_sel:WORD_0 src1_sel:DWORD
	buffer_store_dwordx4 v[20:23], v33, s[4:7], 0 offen
	;;#ASMSTART
	s_nop 0
	;;#ASMEND
	s_branch .LBB208_2
.LBB208_11:
	s_endpgm
	.section	.rodata,"a",@progbits
	.p2align	6, 0x0
	.amdhsa_kernel _ZN5aiter43moe_smooth_per_token_scaled_quant_kernel_v1IDF16_aLi512ELi16ELb0ELb0ELi1024EEEvPT0_PfPT_S3_PiS6_iiiii
		.amdhsa_group_segment_fixed_size 32
		.amdhsa_private_segment_fixed_size 0
		.amdhsa_kernarg_size 68
		.amdhsa_user_sgpr_count 6
		.amdhsa_user_sgpr_private_segment_buffer 1
		.amdhsa_user_sgpr_dispatch_ptr 0
		.amdhsa_user_sgpr_queue_ptr 0
		.amdhsa_user_sgpr_kernarg_segment_ptr 1
		.amdhsa_user_sgpr_dispatch_id 0
		.amdhsa_user_sgpr_flat_scratch_init 0
		.amdhsa_user_sgpr_kernarg_preload_length 0
		.amdhsa_user_sgpr_kernarg_preload_offset 0
		.amdhsa_user_sgpr_private_segment_size 0
		.amdhsa_uses_dynamic_stack 0
		.amdhsa_system_sgpr_private_segment_wavefront_offset 0
		.amdhsa_system_sgpr_workgroup_id_x 1
		.amdhsa_system_sgpr_workgroup_id_y 0
		.amdhsa_system_sgpr_workgroup_id_z 0
		.amdhsa_system_sgpr_workgroup_info 0
		.amdhsa_system_vgpr_workitem_id 0
		.amdhsa_next_free_vgpr 46
		.amdhsa_next_free_sgpr 26
		.amdhsa_accum_offset 48
		.amdhsa_reserve_vcc 1
		.amdhsa_reserve_flat_scratch 0
		.amdhsa_float_round_mode_32 0
		.amdhsa_float_round_mode_16_64 0
		.amdhsa_float_denorm_mode_32 3
		.amdhsa_float_denorm_mode_16_64 3
		.amdhsa_dx10_clamp 1
		.amdhsa_ieee_mode 1
		.amdhsa_fp16_overflow 0
		.amdhsa_tg_split 0
		.amdhsa_exception_fp_ieee_invalid_op 0
		.amdhsa_exception_fp_denorm_src 0
		.amdhsa_exception_fp_ieee_div_zero 0
		.amdhsa_exception_fp_ieee_overflow 0
		.amdhsa_exception_fp_ieee_underflow 0
		.amdhsa_exception_fp_ieee_inexact 0
		.amdhsa_exception_int_div_zero 0
	.end_amdhsa_kernel
	.section	.text._ZN5aiter43moe_smooth_per_token_scaled_quant_kernel_v1IDF16_aLi512ELi16ELb0ELb0ELi1024EEEvPT0_PfPT_S3_PiS6_iiiii,"axG",@progbits,_ZN5aiter43moe_smooth_per_token_scaled_quant_kernel_v1IDF16_aLi512ELi16ELb0ELb0ELi1024EEEvPT0_PfPT_S3_PiS6_iiiii,comdat
.Lfunc_end208:
	.size	_ZN5aiter43moe_smooth_per_token_scaled_quant_kernel_v1IDF16_aLi512ELi16ELb0ELb0ELi1024EEEvPT0_PfPT_S3_PiS6_iiiii, .Lfunc_end208-_ZN5aiter43moe_smooth_per_token_scaled_quant_kernel_v1IDF16_aLi512ELi16ELb0ELb0ELi1024EEEvPT0_PfPT_S3_PiS6_iiiii
                                        ; -- End function
	.section	.AMDGPU.csdata,"",@progbits
; Kernel info:
; codeLenInByte = 1284
; NumSgprs: 30
; NumVgprs: 46
; NumAgprs: 0
; TotalNumVgprs: 46
; ScratchSize: 0
; MemoryBound: 0
; FloatMode: 240
; IeeeMode: 1
; LDSByteSize: 32 bytes/workgroup (compile time only)
; SGPRBlocks: 3
; VGPRBlocks: 5
; NumSGPRsForWavesPerEU: 30
; NumVGPRsForWavesPerEU: 46
; AccumOffset: 48
; Occupancy: 8
; WaveLimiterHint : 0
; COMPUTE_PGM_RSRC2:SCRATCH_EN: 0
; COMPUTE_PGM_RSRC2:USER_SGPR: 6
; COMPUTE_PGM_RSRC2:TRAP_HANDLER: 0
; COMPUTE_PGM_RSRC2:TGID_X_EN: 1
; COMPUTE_PGM_RSRC2:TGID_Y_EN: 0
; COMPUTE_PGM_RSRC2:TGID_Z_EN: 0
; COMPUTE_PGM_RSRC2:TIDIG_COMP_CNT: 0
; COMPUTE_PGM_RSRC3_GFX90A:ACCUM_OFFSET: 11
; COMPUTE_PGM_RSRC3_GFX90A:TG_SPLIT: 0
	.section	.text._ZN5aiter43moe_smooth_per_token_scaled_quant_kernel_v1ItaLi512ELi16ELb0ELb0ELi1024EEEvPT0_PfPT_S3_PiS6_iiiii,"axG",@progbits,_ZN5aiter43moe_smooth_per_token_scaled_quant_kernel_v1ItaLi512ELi16ELb0ELb0ELi1024EEEvPT0_PfPT_S3_PiS6_iiiii,comdat
	.protected	_ZN5aiter43moe_smooth_per_token_scaled_quant_kernel_v1ItaLi512ELi16ELb0ELb0ELi1024EEEvPT0_PfPT_S3_PiS6_iiiii ; -- Begin function _ZN5aiter43moe_smooth_per_token_scaled_quant_kernel_v1ItaLi512ELi16ELb0ELb0ELi1024EEEvPT0_PfPT_S3_PiS6_iiiii
	.globl	_ZN5aiter43moe_smooth_per_token_scaled_quant_kernel_v1ItaLi512ELi16ELb0ELb0ELi1024EEEvPT0_PfPT_S3_PiS6_iiiii
	.p2align	8
	.type	_ZN5aiter43moe_smooth_per_token_scaled_quant_kernel_v1ItaLi512ELi16ELb0ELb0ELi1024EEEvPT0_PfPT_S3_PiS6_iiiii,@function
_ZN5aiter43moe_smooth_per_token_scaled_quant_kernel_v1ItaLi512ELi16ELb0ELb0ELi1024EEEvPT0_PfPT_S3_PiS6_iiiii: ; @_ZN5aiter43moe_smooth_per_token_scaled_quant_kernel_v1ItaLi512ELi16ELb0ELb0ELi1024EEEvPT0_PfPT_S3_PiS6_iiiii
; %bb.0:
	s_load_dwordx4 s[8:11], s[4:5], 0x34
	s_load_dwordx2 s[0:1], s[4:5], 0x10
	s_load_dwordx2 s[2:3], s[4:5], 0x20
	v_and_b32_e32 v1, 63, v0
	s_mov_b32 s15, 0x20000
	s_waitcnt lgkmcnt(0)
	s_mul_i32 s20, s6, s8
	s_ashr_i32 s21, s20, 31
	s_lshl_b64 s[12:13], s[20:21], 2
	s_add_u32 s12, s2, s12
	s_addc_u32 s2, s3, s13
	s_and_b32 s13, s2, 0xffff
	s_mul_hi_i32 s3, s10, s6
	s_mul_i32 s2, s10, s6
	s_lshl_b32 s14, s8, 2
	v_lshlrev_b32_e32 v2, 2, v1
	s_lshl_b64 s[2:3], s[2:3], 1
	buffer_load_dword v32, v2, s[12:15], 0 offen
	s_add_u32 s12, s0, s2
	s_addc_u32 s0, s1, s3
	s_lshl_b32 s14, s9, 1
	s_and_b32 s13, s0, 0xffff
	v_lshlrev_b32_e32 v10, 5, v0
	buffer_load_dwordx4 v[6:9], v10, s[12:15], 0 offen
	buffer_load_dwordx4 v[2:5], v10, s[12:15], 16 offen
	s_mov_b32 s21, 0
	s_cmp_lt_i32 s8, 1
	s_waitcnt vmcnt(2)
	s_barrier
	s_cbranch_scc1 .LBB209_11
; %bb.1:
	s_add_i32 s2, s9, 15
	s_load_dwordx4 s[16:19], s[4:5], 0x0
	s_load_dwordx2 s[10:11], s[4:5], 0x18
	s_ashr_i32 s3, s2, 31
	s_add_i32 s4, s9, 3
	s_waitcnt vmcnt(1)
	v_cvt_f32_u32_sdwa v11, v6 dst_sel:DWORD dst_unused:UNUSED_PAD src0_sel:WORD_1
	v_cvt_f32_u32_sdwa v10, v6 dst_sel:DWORD dst_unused:UNUSED_PAD src0_sel:WORD_0
	v_cvt_f32_u32_sdwa v13, v7 dst_sel:DWORD dst_unused:UNUSED_PAD src0_sel:WORD_1
	v_cvt_f32_u32_sdwa v12, v7 dst_sel:DWORD dst_unused:UNUSED_PAD src0_sel:WORD_0
	;; [unrolled: 2-line block ×4, first 2 shown]
	s_waitcnt vmcnt(0)
	v_cvt_f32_u32_sdwa v9, v2 dst_sel:DWORD dst_unused:UNUSED_PAD src0_sel:WORD_1
	v_cvt_f32_u32_sdwa v8, v2 dst_sel:DWORD dst_unused:UNUSED_PAD src0_sel:WORD_0
	v_cvt_f32_u32_sdwa v17, v3 dst_sel:DWORD dst_unused:UNUSED_PAD src0_sel:WORD_1
	v_cvt_f32_u32_sdwa v16, v3 dst_sel:DWORD dst_unused:UNUSED_PAD src0_sel:WORD_0
	;; [unrolled: 2-line block ×4, first 2 shown]
	s_lshr_b32 s3, s3, 28
	s_ashr_i32 s5, s4, 31
	v_cmp_eq_u32_e32 vcc, 63, v1
	v_lshrrev_b32_e32 v1, 4, v0
	s_add_i32 s2, s2, s3
	s_lshr_b32 s5, s5, 30
	v_and_b32_e32 v35, 60, v1
	v_and_b32_e32 v1, 7, v0
	s_ashr_i32 s2, s2, 4
	s_add_i32 s4, s4, s5
	s_mov_b32 s22, s9
	v_lshlrev_b32_e32 v33, 4, v0
	s_lshl_b32 s14, s9, 2
	v_lshlrev_b32_e32 v34, 6, v0
	v_lshlrev_b32_e32 v36, 2, v1
	v_cmp_eq_u32_e64 s[0:1], 0, v0
	v_cmp_gt_u32_e64 s[2:3], s2, v0
	s_and_b32 s6, s4, -4
	s_mov_b32 s9, 0x2edbe6ff
	v_mov_b32_e32 v37, 0
	s_branch .LBB209_4
.LBB209_2:                              ;   in Loop: Header=BB209_4 Depth=1
	s_or_b64 exec, exec, s[12:13]
.LBB209_3:                              ;   in Loop: Header=BB209_4 Depth=1
	s_add_i32 s21, s21, 1
	s_cmp_eq_u32 s8, s21
	s_cbranch_scc1 .LBB209_11
.LBB209_4:                              ; =>This Inner Loop Header: Depth=1
	v_readlane_b32 s4, v32, s21
	s_cmp_lt_i32 s4, 0
	s_cbranch_scc1 .LBB209_3
; %bb.5:                                ;   in Loop: Header=BB209_4 Depth=1
	s_mul_i32 s4, s4, s22
	s_ashr_i32 s5, s4, 31
	s_lshl_b64 s[4:5], s[4:5], 2
	s_waitcnt lgkmcnt(0)
	s_add_u32 s12, s10, s4
	s_addc_u32 s4, s11, s5
	s_and_b32 s13, s4, 0xffff
	buffer_load_dwordx4 v[20:23], v34, s[12:15], 0 offen
	buffer_load_dwordx4 v[24:27], v34, s[12:15], 16 offen
	;; [unrolled: 1-line block ×4, first 2 shown]
	s_waitcnt vmcnt(3)
	v_pk_mul_f32 v[28:29], v[20:21], v[10:11]
	v_pk_mul_f32 v[30:31], v[22:23], v[12:13]
	s_waitcnt vmcnt(1)
	v_pk_mul_f32 v[20:21], v[38:39], v[8:9]
	v_max3_f32 v38, |v28|, s9, |v29|
	v_pk_mul_f32 v[24:25], v[24:25], v[6:7]
	v_max3_f32 v38, v38, |v30|, |v31|
	v_pk_mul_f32 v[26:27], v[26:27], v[14:15]
	v_max3_f32 v38, v38, |v24|, |v25|
	v_max3_f32 v38, v38, |v26|, |v27|
	v_pk_mul_f32 v[22:23], v[40:41], v[16:17]
	v_max3_f32 v38, v38, |v20|, |v21|
	s_waitcnt vmcnt(0)
	v_pk_mul_f32 v[0:1], v[42:43], v[2:3]
	v_max3_f32 v38, v38, |v22|, |v23|
	v_pk_mul_f32 v[4:5], v[44:45], v[18:19]
	v_max3_f32 v38, v38, |v0|, |v1|
	v_max3_f32 v38, v38, |v4|, |v5|
	s_nop 1
	v_mov_b32_dpp v39, v38 quad_perm:[1,0,3,2] row_mask:0xf bank_mask:0xf
	v_cmp_gt_f32_e64 s[4:5], v38, v39
	v_cndmask_b32_e64 v38, v39, v38, s[4:5]
	s_nop 1
	v_mov_b32_dpp v39, v38 quad_perm:[2,3,0,1] row_mask:0xf bank_mask:0xf
	v_cmp_gt_f32_e64 s[4:5], v38, v39
	v_cndmask_b32_e64 v38, v39, v38, s[4:5]
	s_nop 1
	v_mov_b32_dpp v39, v38 row_half_mirror row_mask:0xf bank_mask:0xf
	v_cmp_gt_f32_e64 s[4:5], v38, v39
	v_cndmask_b32_e64 v38, v39, v38, s[4:5]
	s_nop 1
	v_mov_b32_dpp v39, v38 row_mirror row_mask:0xf bank_mask:0xf
	v_cmp_gt_f32_e64 s[4:5], v38, v39
	v_cndmask_b32_e64 v38, v39, v38, s[4:5]
	s_nop 1
	v_mov_b32_dpp v39, v38 row_bcast:15 row_mask:0xf bank_mask:0xf
	v_cmp_gt_f32_e64 s[4:5], v38, v39
	v_cndmask_b32_e64 v38, v39, v38, s[4:5]
	s_nop 1
	v_mov_b32_dpp v39, v38 row_bcast:31 row_mask:0xf bank_mask:0xf
	s_and_saveexec_b64 s[12:13], vcc
	s_cbranch_execz .LBB209_7
; %bb.6:                                ;   in Loop: Header=BB209_4 Depth=1
	v_cmp_gt_f32_e64 s[4:5], v38, v39
	v_cndmask_b32_e64 v38, v39, v38, s[4:5]
	ds_write_b32 v35, v38
.LBB209_7:                              ;   in Loop: Header=BB209_4 Depth=1
	s_or_b64 exec, exec, s[12:13]
	s_waitcnt lgkmcnt(0)
	s_barrier
	ds_read_b32 v38, v36
	s_waitcnt lgkmcnt(0)
	s_nop 0
	v_mov_b32_dpp v39, v38 quad_perm:[1,0,3,2] row_mask:0xf bank_mask:0xf
	v_cmp_gt_f32_e64 s[4:5], v38, v39
	v_cndmask_b32_e64 v38, v39, v38, s[4:5]
	s_nop 1
	v_mov_b32_dpp v39, v38 quad_perm:[2,3,0,1] row_mask:0xf bank_mask:0xf
	v_cmp_gt_f32_e64 s[4:5], v38, v39
	v_cndmask_b32_e64 v38, v39, v38, s[4:5]
	s_nop 1
	v_mov_b32_dpp v39, v38 row_half_mirror row_mask:0xf bank_mask:0xf
	v_cmp_gt_f32_e64 s[4:5], v38, v39
	v_cndmask_b32_e64 v38, v39, v38, s[4:5]
	v_mul_f32_e32 v38, 0x3c010204, v38
	s_add_i32 s4, s20, s21
	s_and_saveexec_b64 s[12:13], s[0:1]
	s_cbranch_execz .LBB209_9
; %bb.8:                                ;   in Loop: Header=BB209_4 Depth=1
	s_ashr_i32 s5, s4, 31
	s_lshl_b64 s[24:25], s[4:5], 2
	s_add_u32 s24, s18, s24
	s_addc_u32 s25, s19, s25
	global_store_dword v37, v38, s[24:25]
.LBB209_9:                              ;   in Loop: Header=BB209_4 Depth=1
	s_or_b64 exec, exec, s[12:13]
	s_and_saveexec_b64 s[12:13], s[2:3]
	s_cbranch_execz .LBB209_2
; %bb.10:                               ;   in Loop: Header=BB209_4 Depth=1
	v_rcp_f32_e32 v38, v38
	s_mul_hi_i32 s5, s4, s22
	s_mul_i32 s4, s4, s22
	s_add_u32 s4, s16, s4
	v_mov_b32_e32 v39, v38
	;;#ASMSTART
	v_pk_mul_f32 v[28:29], v[28:29], v[38:39]
	;;#ASMEND
	v_cvt_i32_f32_e32 v40, v28
	v_cvt_i32_f32_sdwa v41, v29 dst_sel:BYTE_1 dst_unused:UNUSED_PAD src0_sel:DWORD
	;;#ASMSTART
	v_pk_mul_f32 v[28:29], v[30:31], v[38:39]
	;;#ASMEND
	;;#ASMSTART
	v_pk_mul_f32 v[24:25], v[24:25], v[38:39]
	;;#ASMEND
	v_cvt_i32_f32_e32 v28, v28
	v_cvt_i32_f32_sdwa v29, v29 dst_sel:BYTE_1 dst_unused:UNUSED_PAD src0_sel:DWORD
	v_cvt_i32_f32_e32 v30, v24
	v_cvt_i32_f32_sdwa v31, v25 dst_sel:BYTE_1 dst_unused:UNUSED_PAD src0_sel:DWORD
	;;#ASMSTART
	v_pk_mul_f32 v[24:25], v[26:27], v[38:39]
	;;#ASMEND
	;;#ASMSTART
	v_pk_mul_f32 v[20:21], v[20:21], v[38:39]
	;;#ASMEND
	v_cvt_i32_f32_e32 v24, v24
	v_cvt_i32_f32_sdwa v25, v25 dst_sel:BYTE_1 dst_unused:UNUSED_PAD src0_sel:DWORD
	;; [unrolled: 10-line block ×3, first 2 shown]
	v_cvt_i32_f32_e32 v42, v0
	v_cvt_i32_f32_sdwa v43, v1 dst_sel:BYTE_1 dst_unused:UNUSED_PAD src0_sel:DWORD
	;;#ASMSTART
	v_pk_mul_f32 v[0:1], v[4:5], v[38:39]
	;;#ASMEND
	v_cvt_i32_f32_e32 v0, v0
	v_cvt_i32_f32_sdwa v1, v1 dst_sel:BYTE_1 dst_unused:UNUSED_PAD src0_sel:DWORD
	v_or_b32_sdwa v4, v40, v41 dst_sel:DWORD dst_unused:UNUSED_PAD src0_sel:BYTE_0 src1_sel:DWORD
	v_or_b32_sdwa v5, v28, v29 dst_sel:WORD_1 dst_unused:UNUSED_PAD src0_sel:BYTE_0 src1_sel:DWORD
	v_or_b32_sdwa v20, v4, v5 dst_sel:DWORD dst_unused:UNUSED_PAD src0_sel:WORD_0 src1_sel:DWORD
	v_or_b32_sdwa v4, v30, v31 dst_sel:DWORD dst_unused:UNUSED_PAD src0_sel:BYTE_0 src1_sel:DWORD
	v_or_b32_sdwa v5, v24, v25 dst_sel:WORD_1 dst_unused:UNUSED_PAD src0_sel:BYTE_0 src1_sel:DWORD
	v_or_b32_sdwa v21, v4, v5 dst_sel:DWORD dst_unused:UNUSED_PAD src0_sel:WORD_0 src1_sel:DWORD
	v_or_b32_sdwa v4, v26, v27 dst_sel:DWORD dst_unused:UNUSED_PAD src0_sel:BYTE_0 src1_sel:DWORD
	v_or_b32_sdwa v5, v22, v23 dst_sel:WORD_1 dst_unused:UNUSED_PAD src0_sel:BYTE_0 src1_sel:DWORD
	s_addc_u32 s5, s17, s5
	v_or_b32_sdwa v22, v4, v5 dst_sel:DWORD dst_unused:UNUSED_PAD src0_sel:WORD_0 src1_sel:DWORD
	v_or_b32_sdwa v4, v42, v43 dst_sel:DWORD dst_unused:UNUSED_PAD src0_sel:BYTE_0 src1_sel:DWORD
	v_or_b32_sdwa v0, v0, v1 dst_sel:WORD_1 dst_unused:UNUSED_PAD src0_sel:BYTE_0 src1_sel:DWORD
	s_and_b32 s5, s5, 0xffff
	s_mov_b32 s7, s15
	v_or_b32_sdwa v23, v4, v0 dst_sel:DWORD dst_unused:UNUSED_PAD src0_sel:WORD_0 src1_sel:DWORD
	buffer_store_dwordx4 v[20:23], v33, s[4:7], 0 offen
	;;#ASMSTART
	s_nop 0
	;;#ASMEND
	s_branch .LBB209_2
.LBB209_11:
	s_endpgm
	.section	.rodata,"a",@progbits
	.p2align	6, 0x0
	.amdhsa_kernel _ZN5aiter43moe_smooth_per_token_scaled_quant_kernel_v1ItaLi512ELi16ELb0ELb0ELi1024EEEvPT0_PfPT_S3_PiS6_iiiii
		.amdhsa_group_segment_fixed_size 32
		.amdhsa_private_segment_fixed_size 0
		.amdhsa_kernarg_size 68
		.amdhsa_user_sgpr_count 6
		.amdhsa_user_sgpr_private_segment_buffer 1
		.amdhsa_user_sgpr_dispatch_ptr 0
		.amdhsa_user_sgpr_queue_ptr 0
		.amdhsa_user_sgpr_kernarg_segment_ptr 1
		.amdhsa_user_sgpr_dispatch_id 0
		.amdhsa_user_sgpr_flat_scratch_init 0
		.amdhsa_user_sgpr_kernarg_preload_length 0
		.amdhsa_user_sgpr_kernarg_preload_offset 0
		.amdhsa_user_sgpr_private_segment_size 0
		.amdhsa_uses_dynamic_stack 0
		.amdhsa_system_sgpr_private_segment_wavefront_offset 0
		.amdhsa_system_sgpr_workgroup_id_x 1
		.amdhsa_system_sgpr_workgroup_id_y 0
		.amdhsa_system_sgpr_workgroup_id_z 0
		.amdhsa_system_sgpr_workgroup_info 0
		.amdhsa_system_vgpr_workitem_id 0
		.amdhsa_next_free_vgpr 46
		.amdhsa_next_free_sgpr 26
		.amdhsa_accum_offset 48
		.amdhsa_reserve_vcc 1
		.amdhsa_reserve_flat_scratch 0
		.amdhsa_float_round_mode_32 0
		.amdhsa_float_round_mode_16_64 0
		.amdhsa_float_denorm_mode_32 3
		.amdhsa_float_denorm_mode_16_64 3
		.amdhsa_dx10_clamp 1
		.amdhsa_ieee_mode 1
		.amdhsa_fp16_overflow 0
		.amdhsa_tg_split 0
		.amdhsa_exception_fp_ieee_invalid_op 0
		.amdhsa_exception_fp_denorm_src 0
		.amdhsa_exception_fp_ieee_div_zero 0
		.amdhsa_exception_fp_ieee_overflow 0
		.amdhsa_exception_fp_ieee_underflow 0
		.amdhsa_exception_fp_ieee_inexact 0
		.amdhsa_exception_int_div_zero 0
	.end_amdhsa_kernel
	.section	.text._ZN5aiter43moe_smooth_per_token_scaled_quant_kernel_v1ItaLi512ELi16ELb0ELb0ELi1024EEEvPT0_PfPT_S3_PiS6_iiiii,"axG",@progbits,_ZN5aiter43moe_smooth_per_token_scaled_quant_kernel_v1ItaLi512ELi16ELb0ELb0ELi1024EEEvPT0_PfPT_S3_PiS6_iiiii,comdat
.Lfunc_end209:
	.size	_ZN5aiter43moe_smooth_per_token_scaled_quant_kernel_v1ItaLi512ELi16ELb0ELb0ELi1024EEEvPT0_PfPT_S3_PiS6_iiiii, .Lfunc_end209-_ZN5aiter43moe_smooth_per_token_scaled_quant_kernel_v1ItaLi512ELi16ELb0ELb0ELi1024EEEvPT0_PfPT_S3_PiS6_iiiii
                                        ; -- End function
	.section	.AMDGPU.csdata,"",@progbits
; Kernel info:
; codeLenInByte = 1316
; NumSgprs: 30
; NumVgprs: 46
; NumAgprs: 0
; TotalNumVgprs: 46
; ScratchSize: 0
; MemoryBound: 0
; FloatMode: 240
; IeeeMode: 1
; LDSByteSize: 32 bytes/workgroup (compile time only)
; SGPRBlocks: 3
; VGPRBlocks: 5
; NumSGPRsForWavesPerEU: 30
; NumVGPRsForWavesPerEU: 46
; AccumOffset: 48
; Occupancy: 8
; WaveLimiterHint : 0
; COMPUTE_PGM_RSRC2:SCRATCH_EN: 0
; COMPUTE_PGM_RSRC2:USER_SGPR: 6
; COMPUTE_PGM_RSRC2:TRAP_HANDLER: 0
; COMPUTE_PGM_RSRC2:TGID_X_EN: 1
; COMPUTE_PGM_RSRC2:TGID_Y_EN: 0
; COMPUTE_PGM_RSRC2:TGID_Z_EN: 0
; COMPUTE_PGM_RSRC2:TIDIG_COMP_CNT: 0
; COMPUTE_PGM_RSRC3_GFX90A:ACCUM_OFFSET: 11
; COMPUTE_PGM_RSRC3_GFX90A:TG_SPLIT: 0
	.section	.text._ZN5aiter43moe_smooth_per_token_scaled_quant_kernel_v2IDF16_DB8_Li128ELi8EEEvPT0_PfPT_S4_PiS7_S7_iiiiiiiiiibb,"axG",@progbits,_ZN5aiter43moe_smooth_per_token_scaled_quant_kernel_v2IDF16_DB8_Li128ELi8EEEvPT0_PfPT_S4_PiS7_S7_iiiiiiiiiibb,comdat
	.protected	_ZN5aiter43moe_smooth_per_token_scaled_quant_kernel_v2IDF16_DB8_Li128ELi8EEEvPT0_PfPT_S4_PiS7_S7_iiiiiiiiiibb ; -- Begin function _ZN5aiter43moe_smooth_per_token_scaled_quant_kernel_v2IDF16_DB8_Li128ELi8EEEvPT0_PfPT_S4_PiS7_S7_iiiiiiiiiibb
	.globl	_ZN5aiter43moe_smooth_per_token_scaled_quant_kernel_v2IDF16_DB8_Li128ELi8EEEvPT0_PfPT_S4_PiS7_S7_iiiiiiiiiibb
	.p2align	8
	.type	_ZN5aiter43moe_smooth_per_token_scaled_quant_kernel_v2IDF16_DB8_Li128ELi8EEEvPT0_PfPT_S4_PiS7_S7_iiiiiiiiiibb,@function
_ZN5aiter43moe_smooth_per_token_scaled_quant_kernel_v2IDF16_DB8_Li128ELi8EEEvPT0_PfPT_S4_PiS7_S7_iiiiiiiiiibb: ; @_ZN5aiter43moe_smooth_per_token_scaled_quant_kernel_v2IDF16_DB8_Li128ELi8EEEvPT0_PfPT_S4_PiS7_S7_iiiiiiiiiibb
; %bb.0:
	s_load_dwordx8 s[12:19], s[4:5], 0x38
	s_waitcnt lgkmcnt(0)
	s_cmp_ge_i32 s6, s14
	s_cbranch_scc1 .LBB210_21
; %bb.1:
	s_load_dwordx4 s[28:31], s[4:5], 0x58
	s_load_dwordx2 s[0:1], s[4:5], 0x30
	s_load_dwordx4 s[36:39], s[4:5], 0x20
	s_load_dwordx8 s[20:27], s[4:5], 0x0
	v_and_b32_e32 v1, 63, v0
	s_waitcnt lgkmcnt(0)
	s_bitcmp1_b32 s30, 8
	s_load_dword s7, s[0:1], 0x0
	s_cselect_b64 s[0:1], -1, 0
	s_ashr_i32 s18, s18, s19
	s_xor_b64 s[10:11], s[0:1], -1
	s_lshl_b32 s42, s18, 2
	s_lshl_b32 s46, s16, 2
	s_cmp_gt_i32 s18, 0
	s_cselect_b64 s[8:9], -1, 0
	s_add_i32 s4, s16, 7
	s_ashr_i32 s5, s4, 31
	s_lshr_b32 s5, s5, 29
	s_add_i32 s30, s16, 3
	s_add_i32 s4, s4, s5
	s_ashr_i32 s31, s30, 31
	v_lshlrev_b32_e32 v16, 2, v1
	v_cmp_eq_u32_e64 s[0:1], 63, v1
	v_lshrrev_b32_e32 v1, 4, v0
	s_ashr_i32 s4, s4, 3
	s_lshr_b32 s31, s31, 30
	v_lshlrev_b32_e32 v17, 3, v0
	v_lshlrev_b32_e32 v18, 5, v0
	;; [unrolled: 1-line block ×3, first 2 shown]
	v_and_b32_e32 v20, 60, v1
	v_and_b32_e32 v1, 1, v0
	v_cmp_eq_u32_e64 s[2:3], 0, v0
	v_cmp_gt_u32_e64 s[4:5], s4, v0
	s_add_i32 s30, s30, s31
	v_cndmask_b32_e64 v0, 0, 1, s[8:9]
	s_lshl_b32 s50, s16, 1
	v_lshlrev_b32_e32 v21, 2, v1
	s_and_b32 s54, s30, -4
	s_mov_b32 s33, 0xffff
	s_mov_b32 s51, 0x20000
	s_mov_b32 s56, 0x2edbe6ff
	v_mov_b32_e32 v22, 0
	v_mov_b32_e32 v23, 0xc3e00000
	;; [unrolled: 1-line block ×3, first 2 shown]
	s_mov_b32 s57, 0x5040100
	s_movk_i32 s58, 0xff
	v_cmp_ne_u32_e64 s[8:9], 1, v0
	s_branch .LBB210_4
.LBB210_2:                              ;   in Loop: Header=BB210_4 Depth=1
	s_mov_b64 s[34:35], -1
.LBB210_3:                              ;   in Loop: Header=BB210_4 Depth=1
	s_add_i32 s6, s6, s15
	s_cmp_lt_i32 s6, s14
	s_cselect_b64 s[30:31], -1, 0
	s_and_b64 s[30:31], s[34:35], s[30:31]
	s_and_b64 vcc, exec, s[30:31]
	s_cbranch_vccz .LBB210_21
.LBB210_4:                              ; =>This Loop Header: Depth=1
                                        ;     Child Loop BB210_10 Depth 2
	s_mul_i32 s30, s6, s18
	s_waitcnt lgkmcnt(0)
	s_cmp_ge_i32 s30, s7
	s_mov_b64 s[34:35], 0
	s_cbranch_scc1 .LBB210_3
; %bb.5:                                ;   in Loop: Header=BB210_4 Depth=1
	s_ashr_i32 s34, s6, s19
	s_ashr_i32 s35, s34, 31
	s_lshl_b64 s[34:35], s[34:35], 2
	s_add_u32 s34, s38, s34
	s_addc_u32 s35, s39, s35
	s_load_dword s44, s[34:35], 0x0
	s_mov_b64 s[34:35], 0
	s_waitcnt lgkmcnt(0)
	s_cmp_ge_i32 s44, s12
	s_cbranch_scc1 .LBB210_3
; %bb.6:                                ;   in Loop: Header=BB210_4 Depth=1
	s_and_b64 vcc, exec, s[8:9]
	s_cbranch_vccnz .LBB210_2
; %bb.7:                                ;   in Loop: Header=BB210_4 Depth=1
	s_ashr_i32 s31, s30, 31
	s_lshl_b64 s[30:31], s[30:31], 2
	s_add_u32 s40, s36, s30
	s_addc_u32 s30, s37, s31
	s_and_b32 s41, s30, 0xffff
	s_mul_i32 s30, s44, s16
	s_ashr_i32 s31, s30, 31
	s_lshl_b64 s[30:31], s[30:31], 2
	s_add_u32 s44, s26, s30
	s_mov_b32 s43, s51
	s_addc_u32 s30, s27, s31
	buffer_load_dword v8, v16, s[40:43], 0 offen
	s_and_b32 s45, s30, 0xffff
	s_mov_b32 s47, s51
	buffer_load_dwordx4 v[0:3], v18, s[44:47], 16 offen
	buffer_load_dwordx4 v[4:7], v18, s[44:47], 0 offen
	s_mov_b32 s40, 0
	s_waitcnt vmcnt(2)
	v_and_b32_e32 v25, 0xffffff, v8
	v_ashrrev_i32_e32 v26, 24, v8
	s_branch .LBB210_10
.LBB210_8:                              ;   in Loop: Header=BB210_10 Depth=2
	s_or_b64 exec, exec, s[30:31]
	s_add_i32 s40, s40, 1
	s_cmp_eq_u32 s18, s40
	s_cselect_b64 s[30:31], -1, 0
.LBB210_9:                              ;   in Loop: Header=BB210_10 Depth=2
	s_and_b64 vcc, exec, s[30:31]
	s_cbranch_vccnz .LBB210_2
.LBB210_10:                             ;   Parent Loop BB210_4 Depth=1
                                        ; =>  This Inner Loop Header: Depth=2
	v_readlane_b32 s35, v25, s40
	v_readlane_b32 s41, v26, s40
	s_cmp_ge_i32 s35, s13
	s_mov_b64 s[30:31], -1
	s_cbranch_scc1 .LBB210_9
; %bb.11:                               ;   in Loop: Header=BB210_10 Depth=2
	s_mul_hi_i32 s31, s35, s28
	s_mul_i32 s30, s35, s28
	s_mul_i32 s44, s41, s29
	s_ashr_i32 s45, s44, 31
	s_lshl_b64 s[30:31], s[30:31], 1
	s_add_u32 s34, s24, s30
	s_addc_u32 s43, s25, s31
	s_lshl_b64 s[30:31], s[44:45], 1
	s_add_u32 s48, s34, s30
	s_addc_u32 s30, s43, s31
	s_and_b32 s49, s30, 0xffff
	buffer_load_dwordx4 v[8:11], v19, s[48:51], 0 offen
	s_waitcnt vmcnt(0)
	v_cvt_f32_f16_e32 v12, v8
	v_cvt_f32_f16_sdwa v13, v8 dst_sel:DWORD dst_unused:UNUSED_PAD src0_sel:WORD_1
	v_cvt_f32_f16_e32 v8, v9
	v_cvt_f32_f16_sdwa v9, v9 dst_sel:DWORD dst_unused:UNUSED_PAD src0_sel:WORD_1
	;; [unrolled: 2-line block ×4, first 2 shown]
	v_pk_mul_f32 v[14:15], v[4:5], v[12:13]
	v_pk_mul_f32 v[12:13], v[6:7], v[8:9]
	v_max3_f32 v27, |v14|, s56, |v15|
	v_pk_mul_f32 v[10:11], v[0:1], v[28:29]
	v_max3_f32 v27, v27, |v12|, |v13|
	v_pk_mul_f32 v[8:9], v[2:3], v[30:31]
	v_max3_f32 v27, v27, |v10|, |v11|
	v_max3_f32 v27, v27, |v8|, |v9|
	s_nop 1
	v_mov_b32_dpp v28, v27 quad_perm:[1,0,3,2] row_mask:0xf bank_mask:0xf
	v_cmp_gt_f32_e32 vcc, v27, v28
	v_cndmask_b32_e32 v27, v28, v27, vcc
	s_nop 1
	v_mov_b32_dpp v28, v27 quad_perm:[2,3,0,1] row_mask:0xf bank_mask:0xf
	v_cmp_gt_f32_e32 vcc, v27, v28
	v_cndmask_b32_e32 v27, v28, v27, vcc
	s_nop 1
	v_mov_b32_dpp v28, v27 row_half_mirror row_mask:0xf bank_mask:0xf
	v_cmp_gt_f32_e32 vcc, v27, v28
	v_cndmask_b32_e32 v27, v28, v27, vcc
	s_nop 1
	v_mov_b32_dpp v28, v27 row_mirror row_mask:0xf bank_mask:0xf
	v_cmp_gt_f32_e32 vcc, v27, v28
	v_cndmask_b32_e32 v27, v28, v27, vcc
	s_nop 1
	v_mov_b32_dpp v28, v27 row_bcast:15 row_mask:0xf bank_mask:0xf
	v_cmp_gt_f32_e32 vcc, v27, v28
	v_cndmask_b32_e32 v27, v28, v27, vcc
	s_nop 1
	v_mov_b32_dpp v28, v27 row_bcast:31 row_mask:0xf bank_mask:0xf
	s_and_saveexec_b64 s[30:31], s[0:1]
	s_cbranch_execz .LBB210_13
; %bb.12:                               ;   in Loop: Header=BB210_10 Depth=2
	v_cmp_gt_f32_e32 vcc, v27, v28
	v_cndmask_b32_e32 v27, v28, v27, vcc
	ds_write_b32 v20, v27
.LBB210_13:                             ;   in Loop: Header=BB210_10 Depth=2
	s_or_b64 exec, exec, s[30:31]
	s_waitcnt lgkmcnt(0)
	s_barrier
	ds_read_b32 v27, v21
	s_mov_b64 s[30:31], -1
	s_and_b64 vcc, exec, s[10:11]
                                        ; implicit-def: $sgpr34
	s_waitcnt lgkmcnt(0)
	v_mov_b32_dpp v28, v27 quad_perm:[1,0,3,2] row_mask:0xf bank_mask:0xf
	s_cbranch_vccz .LBB210_15
; %bb.14:                               ;   in Loop: Header=BB210_10 Depth=2
	s_mul_i32 s30, s35, s17
	s_add_i32 s34, s30, s41
	s_mov_b64 s[30:31], 0
.LBB210_15:                             ;   in Loop: Header=BB210_10 Depth=2
	s_andn2_b64 vcc, exec, s[30:31]
	s_cbranch_vccnz .LBB210_17
; %bb.16:                               ;   in Loop: Header=BB210_10 Depth=2
	s_mul_i32 s30, s41, s13
	s_add_i32 s34, s30, s35
.LBB210_17:                             ;   in Loop: Header=BB210_10 Depth=2
	v_cmp_gt_f32_e32 vcc, v27, v28
	v_cndmask_b32_e32 v27, v28, v27, vcc
	v_mul_f32_e32 v27, 0x3b124925, v27
	s_and_saveexec_b64 s[30:31], s[2:3]
	s_cbranch_execz .LBB210_19
; %bb.18:                               ;   in Loop: Header=BB210_10 Depth=2
	s_ashr_i32 s35, s34, 31
	s_lshl_b64 s[44:45], s[34:35], 2
	s_add_u32 s44, s22, s44
	s_addc_u32 s45, s23, s45
	global_store_dword v22, v27, s[44:45]
.LBB210_19:                             ;   in Loop: Header=BB210_10 Depth=2
	s_or_b64 exec, exec, s[30:31]
	s_and_saveexec_b64 s[30:31], s[4:5]
	s_cbranch_execz .LBB210_8
; %bb.20:                               ;   in Loop: Header=BB210_10 Depth=2
	v_rcp_f32_e32 v28, v27
	s_mul_hi_i32 s35, s34, s16
	s_mul_i32 s34, s34, s16
	s_add_u32 s52, s20, s34
	v_mov_b32_e32 v29, v28
	;;#ASMSTART
	v_pk_mul_f32 v[14:15], v[14:15], v[28:29]
	;;#ASMEND
	;;#ASMSTART
	v_med3_f32 v14, v14, v23, v24
v_med3_f32 v15, v15, v23, v24
v_cvt_pk_fp8_f32 v27, v14, v15
	;;#ASMEND
	;;#ASMSTART
	v_pk_mul_f32 v[12:13], v[12:13], v[28:29]
	;;#ASMEND
	;;#ASMSTART
	v_med3_f32 v12, v12, v23, v24
v_med3_f32 v13, v13, v23, v24
v_cvt_pk_fp8_f32 v14, v12, v13
	;;#ASMEND
	v_perm_b32 v13, v14, v27, s57
	v_and_b32_e32 v12, 0xffffff00, v14
	v_and_b32_sdwa v14, v13, s58 dst_sel:DWORD dst_unused:UNUSED_PAD src0_sel:WORD_1 src1_sel:DWORD
	v_or_b32_sdwa v12, v14, v12 dst_sel:WORD_1 dst_unused:UNUSED_PAD src0_sel:DWORD src1_sel:DWORD
	;;#ASMSTART
	v_pk_mul_f32 v[10:11], v[10:11], v[28:29]
	;;#ASMEND
	v_and_or_b32 v12, v13, s33, v12
	;;#ASMSTART
	v_med3_f32 v10, v10, v23, v24
v_med3_f32 v11, v11, v23, v24
v_cvt_pk_fp8_f32 v13, v10, v11
	;;#ASMEND
	;;#ASMSTART
	v_pk_mul_f32 v[8:9], v[8:9], v[28:29]
	;;#ASMEND
	;;#ASMSTART
	v_med3_f32 v8, v8, v23, v24
v_med3_f32 v9, v9, v23, v24
v_cvt_pk_fp8_f32 v10, v8, v9
	;;#ASMEND
	s_addc_u32 s34, s21, s35
	v_lshlrev_b32_e32 v8, 16, v10
	s_and_b32 s53, s34, 0xffff
	s_mov_b32 s55, s51
	v_and_or_b32 v13, v13, s33, v8
	buffer_store_dwordx2 v[12:13], v17, s[52:55], 0 offen
	;;#ASMSTART
	s_nop 0
	;;#ASMEND
	s_branch .LBB210_8
.LBB210_21:
	s_endpgm
	.section	.rodata,"a",@progbits
	.p2align	6, 0x0
	.amdhsa_kernel _ZN5aiter43moe_smooth_per_token_scaled_quant_kernel_v2IDF16_DB8_Li128ELi8EEEvPT0_PfPT_S4_PiS7_S7_iiiiiiiiiibb
		.amdhsa_group_segment_fixed_size 8
		.amdhsa_private_segment_fixed_size 0
		.amdhsa_kernarg_size 100
		.amdhsa_user_sgpr_count 6
		.amdhsa_user_sgpr_private_segment_buffer 1
		.amdhsa_user_sgpr_dispatch_ptr 0
		.amdhsa_user_sgpr_queue_ptr 0
		.amdhsa_user_sgpr_kernarg_segment_ptr 1
		.amdhsa_user_sgpr_dispatch_id 0
		.amdhsa_user_sgpr_flat_scratch_init 0
		.amdhsa_user_sgpr_kernarg_preload_length 0
		.amdhsa_user_sgpr_kernarg_preload_offset 0
		.amdhsa_user_sgpr_private_segment_size 0
		.amdhsa_uses_dynamic_stack 0
		.amdhsa_system_sgpr_private_segment_wavefront_offset 0
		.amdhsa_system_sgpr_workgroup_id_x 1
		.amdhsa_system_sgpr_workgroup_id_y 0
		.amdhsa_system_sgpr_workgroup_id_z 0
		.amdhsa_system_sgpr_workgroup_info 0
		.amdhsa_system_vgpr_workitem_id 0
		.amdhsa_next_free_vgpr 32
		.amdhsa_next_free_sgpr 59
		.amdhsa_accum_offset 32
		.amdhsa_reserve_vcc 1
		.amdhsa_reserve_flat_scratch 0
		.amdhsa_float_round_mode_32 0
		.amdhsa_float_round_mode_16_64 0
		.amdhsa_float_denorm_mode_32 3
		.amdhsa_float_denorm_mode_16_64 3
		.amdhsa_dx10_clamp 1
		.amdhsa_ieee_mode 1
		.amdhsa_fp16_overflow 0
		.amdhsa_tg_split 0
		.amdhsa_exception_fp_ieee_invalid_op 0
		.amdhsa_exception_fp_denorm_src 0
		.amdhsa_exception_fp_ieee_div_zero 0
		.amdhsa_exception_fp_ieee_overflow 0
		.amdhsa_exception_fp_ieee_underflow 0
		.amdhsa_exception_fp_ieee_inexact 0
		.amdhsa_exception_int_div_zero 0
	.end_amdhsa_kernel
	.section	.text._ZN5aiter43moe_smooth_per_token_scaled_quant_kernel_v2IDF16_DB8_Li128ELi8EEEvPT0_PfPT_S4_PiS7_S7_iiiiiiiiiibb,"axG",@progbits,_ZN5aiter43moe_smooth_per_token_scaled_quant_kernel_v2IDF16_DB8_Li128ELi8EEEvPT0_PfPT_S4_PiS7_S7_iiiiiiiiiibb,comdat
.Lfunc_end210:
	.size	_ZN5aiter43moe_smooth_per_token_scaled_quant_kernel_v2IDF16_DB8_Li128ELi8EEEvPT0_PfPT_S4_PiS7_S7_iiiiiiiiiibb, .Lfunc_end210-_ZN5aiter43moe_smooth_per_token_scaled_quant_kernel_v2IDF16_DB8_Li128ELi8EEEvPT0_PfPT_S4_PiS7_S7_iiiiiiiiiibb
                                        ; -- End function
	.section	.AMDGPU.csdata,"",@progbits
; Kernel info:
; codeLenInByte = 1216
; NumSgprs: 63
; NumVgprs: 32
; NumAgprs: 0
; TotalNumVgprs: 32
; ScratchSize: 0
; MemoryBound: 0
; FloatMode: 240
; IeeeMode: 1
; LDSByteSize: 8 bytes/workgroup (compile time only)
; SGPRBlocks: 7
; VGPRBlocks: 3
; NumSGPRsForWavesPerEU: 63
; NumVGPRsForWavesPerEU: 32
; AccumOffset: 32
; Occupancy: 8
; WaveLimiterHint : 0
; COMPUTE_PGM_RSRC2:SCRATCH_EN: 0
; COMPUTE_PGM_RSRC2:USER_SGPR: 6
; COMPUTE_PGM_RSRC2:TRAP_HANDLER: 0
; COMPUTE_PGM_RSRC2:TGID_X_EN: 1
; COMPUTE_PGM_RSRC2:TGID_Y_EN: 0
; COMPUTE_PGM_RSRC2:TGID_Z_EN: 0
; COMPUTE_PGM_RSRC2:TIDIG_COMP_CNT: 0
; COMPUTE_PGM_RSRC3_GFX90A:ACCUM_OFFSET: 7
; COMPUTE_PGM_RSRC3_GFX90A:TG_SPLIT: 0
	.section	.text._ZN5aiter43moe_smooth_per_token_scaled_quant_kernel_v2ItDB8_Li128ELi8EEEvPT0_PfPT_S4_PiS7_S7_iiiiiiiiiibb,"axG",@progbits,_ZN5aiter43moe_smooth_per_token_scaled_quant_kernel_v2ItDB8_Li128ELi8EEEvPT0_PfPT_S4_PiS7_S7_iiiiiiiiiibb,comdat
	.protected	_ZN5aiter43moe_smooth_per_token_scaled_quant_kernel_v2ItDB8_Li128ELi8EEEvPT0_PfPT_S4_PiS7_S7_iiiiiiiiiibb ; -- Begin function _ZN5aiter43moe_smooth_per_token_scaled_quant_kernel_v2ItDB8_Li128ELi8EEEvPT0_PfPT_S4_PiS7_S7_iiiiiiiiiibb
	.globl	_ZN5aiter43moe_smooth_per_token_scaled_quant_kernel_v2ItDB8_Li128ELi8EEEvPT0_PfPT_S4_PiS7_S7_iiiiiiiiiibb
	.p2align	8
	.type	_ZN5aiter43moe_smooth_per_token_scaled_quant_kernel_v2ItDB8_Li128ELi8EEEvPT0_PfPT_S4_PiS7_S7_iiiiiiiiiibb,@function
_ZN5aiter43moe_smooth_per_token_scaled_quant_kernel_v2ItDB8_Li128ELi8EEEvPT0_PfPT_S4_PiS7_S7_iiiiiiiiiibb: ; @_ZN5aiter43moe_smooth_per_token_scaled_quant_kernel_v2ItDB8_Li128ELi8EEEvPT0_PfPT_S4_PiS7_S7_iiiiiiiiiibb
; %bb.0:
	s_load_dwordx8 s[12:19], s[4:5], 0x38
	s_waitcnt lgkmcnt(0)
	s_cmp_ge_i32 s6, s14
	s_cbranch_scc1 .LBB211_21
; %bb.1:
	s_load_dwordx4 s[28:31], s[4:5], 0x58
	s_load_dwordx2 s[0:1], s[4:5], 0x30
	s_load_dwordx4 s[36:39], s[4:5], 0x20
	s_load_dwordx8 s[20:27], s[4:5], 0x0
	v_and_b32_e32 v1, 63, v0
	s_waitcnt lgkmcnt(0)
	s_bitcmp1_b32 s30, 8
	s_load_dword s7, s[0:1], 0x0
	s_cselect_b64 s[0:1], -1, 0
	s_ashr_i32 s18, s18, s19
	s_xor_b64 s[10:11], s[0:1], -1
	s_lshl_b32 s42, s18, 2
	s_lshl_b32 s46, s16, 2
	s_cmp_gt_i32 s18, 0
	s_cselect_b64 s[8:9], -1, 0
	s_add_i32 s4, s16, 7
	s_ashr_i32 s5, s4, 31
	s_lshr_b32 s5, s5, 29
	s_add_i32 s30, s16, 3
	s_add_i32 s4, s4, s5
	s_ashr_i32 s31, s30, 31
	v_lshlrev_b32_e32 v16, 2, v1
	v_cmp_eq_u32_e64 s[0:1], 63, v1
	v_lshrrev_b32_e32 v1, 4, v0
	s_ashr_i32 s4, s4, 3
	s_lshr_b32 s31, s31, 30
	v_lshlrev_b32_e32 v17, 3, v0
	v_lshlrev_b32_e32 v18, 5, v0
	;; [unrolled: 1-line block ×3, first 2 shown]
	v_and_b32_e32 v20, 60, v1
	v_and_b32_e32 v1, 1, v0
	v_cmp_eq_u32_e64 s[2:3], 0, v0
	v_cmp_gt_u32_e64 s[4:5], s4, v0
	s_add_i32 s30, s30, s31
	v_cndmask_b32_e64 v0, 0, 1, s[8:9]
	s_lshl_b32 s50, s16, 1
	v_lshlrev_b32_e32 v21, 2, v1
	s_and_b32 s54, s30, -4
	s_mov_b32 s33, 0xffff
	s_mov_b32 s51, 0x20000
	;; [unrolled: 1-line block ×3, first 2 shown]
	v_mov_b32_e32 v22, 0
	v_mov_b32_e32 v23, 0xc3e00000
	;; [unrolled: 1-line block ×3, first 2 shown]
	s_mov_b32 s57, 0x5040100
	s_movk_i32 s58, 0xff
	v_cmp_ne_u32_e64 s[8:9], 1, v0
	s_branch .LBB211_4
.LBB211_2:                              ;   in Loop: Header=BB211_4 Depth=1
	s_mov_b64 s[34:35], -1
.LBB211_3:                              ;   in Loop: Header=BB211_4 Depth=1
	s_add_i32 s6, s6, s15
	s_cmp_lt_i32 s6, s14
	s_cselect_b64 s[30:31], -1, 0
	s_and_b64 s[30:31], s[34:35], s[30:31]
	s_and_b64 vcc, exec, s[30:31]
	s_cbranch_vccz .LBB211_21
.LBB211_4:                              ; =>This Loop Header: Depth=1
                                        ;     Child Loop BB211_10 Depth 2
	s_mul_i32 s30, s6, s18
	s_waitcnt lgkmcnt(0)
	s_cmp_ge_i32 s30, s7
	s_mov_b64 s[34:35], 0
	s_cbranch_scc1 .LBB211_3
; %bb.5:                                ;   in Loop: Header=BB211_4 Depth=1
	s_ashr_i32 s34, s6, s19
	s_ashr_i32 s35, s34, 31
	s_lshl_b64 s[34:35], s[34:35], 2
	s_add_u32 s34, s38, s34
	s_addc_u32 s35, s39, s35
	s_load_dword s44, s[34:35], 0x0
	s_mov_b64 s[34:35], 0
	s_waitcnt lgkmcnt(0)
	s_cmp_ge_i32 s44, s12
	s_cbranch_scc1 .LBB211_3
; %bb.6:                                ;   in Loop: Header=BB211_4 Depth=1
	s_and_b64 vcc, exec, s[8:9]
	s_cbranch_vccnz .LBB211_2
; %bb.7:                                ;   in Loop: Header=BB211_4 Depth=1
	s_ashr_i32 s31, s30, 31
	s_lshl_b64 s[30:31], s[30:31], 2
	s_add_u32 s40, s36, s30
	s_addc_u32 s30, s37, s31
	s_and_b32 s41, s30, 0xffff
	s_mul_i32 s30, s44, s16
	s_ashr_i32 s31, s30, 31
	s_lshl_b64 s[30:31], s[30:31], 2
	s_add_u32 s44, s26, s30
	s_mov_b32 s43, s51
	s_addc_u32 s30, s27, s31
	buffer_load_dword v8, v16, s[40:43], 0 offen
	s_and_b32 s45, s30, 0xffff
	s_mov_b32 s47, s51
	buffer_load_dwordx4 v[0:3], v18, s[44:47], 16 offen
	buffer_load_dwordx4 v[4:7], v18, s[44:47], 0 offen
	s_mov_b32 s40, 0
	s_waitcnt vmcnt(2)
	v_and_b32_e32 v25, 0xffffff, v8
	v_ashrrev_i32_e32 v26, 24, v8
	s_branch .LBB211_10
.LBB211_8:                              ;   in Loop: Header=BB211_10 Depth=2
	s_or_b64 exec, exec, s[30:31]
	s_add_i32 s40, s40, 1
	s_cmp_eq_u32 s18, s40
	s_cselect_b64 s[30:31], -1, 0
.LBB211_9:                              ;   in Loop: Header=BB211_10 Depth=2
	s_and_b64 vcc, exec, s[30:31]
	s_cbranch_vccnz .LBB211_2
.LBB211_10:                             ;   Parent Loop BB211_4 Depth=1
                                        ; =>  This Inner Loop Header: Depth=2
	v_readlane_b32 s35, v25, s40
	v_readlane_b32 s41, v26, s40
	s_cmp_ge_i32 s35, s13
	s_mov_b64 s[30:31], -1
	s_cbranch_scc1 .LBB211_9
; %bb.11:                               ;   in Loop: Header=BB211_10 Depth=2
	s_mul_hi_i32 s31, s35, s28
	s_mul_i32 s30, s35, s28
	s_mul_i32 s44, s41, s29
	s_ashr_i32 s45, s44, 31
	s_lshl_b64 s[30:31], s[30:31], 1
	s_add_u32 s34, s24, s30
	s_addc_u32 s43, s25, s31
	s_lshl_b64 s[30:31], s[44:45], 1
	s_add_u32 s48, s34, s30
	s_addc_u32 s30, s43, s31
	s_and_b32 s49, s30, 0xffff
	buffer_load_dwordx4 v[8:11], v19, s[48:51], 0 offen
	s_waitcnt vmcnt(0)
	v_cvt_f32_u32_sdwa v13, v8 dst_sel:DWORD dst_unused:UNUSED_PAD src0_sel:WORD_1
	v_cvt_f32_u32_sdwa v12, v8 dst_sel:DWORD dst_unused:UNUSED_PAD src0_sel:WORD_0
	v_cvt_f32_u32_sdwa v29, v9 dst_sel:DWORD dst_unused:UNUSED_PAD src0_sel:WORD_1
	v_cvt_f32_u32_sdwa v28, v9 dst_sel:DWORD dst_unused:UNUSED_PAD src0_sel:WORD_0
	;; [unrolled: 2-line block ×4, first 2 shown]
	v_pk_mul_f32 v[14:15], v[4:5], v[12:13]
	v_pk_mul_f32 v[12:13], v[6:7], v[28:29]
	v_max3_f32 v27, |v14|, s56, |v15|
	v_pk_mul_f32 v[10:11], v[0:1], v[8:9]
	v_max3_f32 v27, v27, |v12|, |v13|
	v_pk_mul_f32 v[8:9], v[2:3], v[30:31]
	v_max3_f32 v27, v27, |v10|, |v11|
	v_max3_f32 v27, v27, |v8|, |v9|
	s_nop 1
	v_mov_b32_dpp v28, v27 quad_perm:[1,0,3,2] row_mask:0xf bank_mask:0xf
	v_cmp_gt_f32_e32 vcc, v27, v28
	v_cndmask_b32_e32 v27, v28, v27, vcc
	s_nop 1
	v_mov_b32_dpp v28, v27 quad_perm:[2,3,0,1] row_mask:0xf bank_mask:0xf
	v_cmp_gt_f32_e32 vcc, v27, v28
	v_cndmask_b32_e32 v27, v28, v27, vcc
	s_nop 1
	v_mov_b32_dpp v28, v27 row_half_mirror row_mask:0xf bank_mask:0xf
	v_cmp_gt_f32_e32 vcc, v27, v28
	v_cndmask_b32_e32 v27, v28, v27, vcc
	s_nop 1
	v_mov_b32_dpp v28, v27 row_mirror row_mask:0xf bank_mask:0xf
	v_cmp_gt_f32_e32 vcc, v27, v28
	v_cndmask_b32_e32 v27, v28, v27, vcc
	s_nop 1
	v_mov_b32_dpp v28, v27 row_bcast:15 row_mask:0xf bank_mask:0xf
	v_cmp_gt_f32_e32 vcc, v27, v28
	v_cndmask_b32_e32 v27, v28, v27, vcc
	s_nop 1
	v_mov_b32_dpp v28, v27 row_bcast:31 row_mask:0xf bank_mask:0xf
	s_and_saveexec_b64 s[30:31], s[0:1]
	s_cbranch_execz .LBB211_13
; %bb.12:                               ;   in Loop: Header=BB211_10 Depth=2
	v_cmp_gt_f32_e32 vcc, v27, v28
	v_cndmask_b32_e32 v27, v28, v27, vcc
	ds_write_b32 v20, v27
.LBB211_13:                             ;   in Loop: Header=BB211_10 Depth=2
	s_or_b64 exec, exec, s[30:31]
	s_waitcnt lgkmcnt(0)
	s_barrier
	ds_read_b32 v27, v21
	s_mov_b64 s[30:31], -1
	s_and_b64 vcc, exec, s[10:11]
                                        ; implicit-def: $sgpr34
	s_waitcnt lgkmcnt(0)
	v_mov_b32_dpp v28, v27 quad_perm:[1,0,3,2] row_mask:0xf bank_mask:0xf
	s_cbranch_vccz .LBB211_15
; %bb.14:                               ;   in Loop: Header=BB211_10 Depth=2
	s_mul_i32 s30, s35, s17
	s_add_i32 s34, s30, s41
	s_mov_b64 s[30:31], 0
.LBB211_15:                             ;   in Loop: Header=BB211_10 Depth=2
	s_andn2_b64 vcc, exec, s[30:31]
	s_cbranch_vccnz .LBB211_17
; %bb.16:                               ;   in Loop: Header=BB211_10 Depth=2
	s_mul_i32 s30, s41, s13
	s_add_i32 s34, s30, s35
.LBB211_17:                             ;   in Loop: Header=BB211_10 Depth=2
	v_cmp_gt_f32_e32 vcc, v27, v28
	v_cndmask_b32_e32 v27, v28, v27, vcc
	v_mul_f32_e32 v27, 0x3b124925, v27
	s_and_saveexec_b64 s[30:31], s[2:3]
	s_cbranch_execz .LBB211_19
; %bb.18:                               ;   in Loop: Header=BB211_10 Depth=2
	s_ashr_i32 s35, s34, 31
	s_lshl_b64 s[44:45], s[34:35], 2
	s_add_u32 s44, s22, s44
	s_addc_u32 s45, s23, s45
	global_store_dword v22, v27, s[44:45]
.LBB211_19:                             ;   in Loop: Header=BB211_10 Depth=2
	s_or_b64 exec, exec, s[30:31]
	s_and_saveexec_b64 s[30:31], s[4:5]
	s_cbranch_execz .LBB211_8
; %bb.20:                               ;   in Loop: Header=BB211_10 Depth=2
	v_rcp_f32_e32 v28, v27
	s_mul_hi_i32 s35, s34, s16
	s_mul_i32 s34, s34, s16
	s_add_u32 s52, s20, s34
	v_mov_b32_e32 v29, v28
	;;#ASMSTART
	v_pk_mul_f32 v[14:15], v[14:15], v[28:29]
	;;#ASMEND
	;;#ASMSTART
	v_med3_f32 v14, v14, v23, v24
v_med3_f32 v15, v15, v23, v24
v_cvt_pk_fp8_f32 v27, v14, v15
	;;#ASMEND
	;;#ASMSTART
	v_pk_mul_f32 v[12:13], v[12:13], v[28:29]
	;;#ASMEND
	;;#ASMSTART
	v_med3_f32 v12, v12, v23, v24
v_med3_f32 v13, v13, v23, v24
v_cvt_pk_fp8_f32 v14, v12, v13
	;;#ASMEND
	v_perm_b32 v13, v14, v27, s57
	v_and_b32_e32 v12, 0xffffff00, v14
	v_and_b32_sdwa v14, v13, s58 dst_sel:DWORD dst_unused:UNUSED_PAD src0_sel:WORD_1 src1_sel:DWORD
	v_or_b32_sdwa v12, v14, v12 dst_sel:WORD_1 dst_unused:UNUSED_PAD src0_sel:DWORD src1_sel:DWORD
	;;#ASMSTART
	v_pk_mul_f32 v[10:11], v[10:11], v[28:29]
	;;#ASMEND
	v_and_or_b32 v12, v13, s33, v12
	;;#ASMSTART
	v_med3_f32 v10, v10, v23, v24
v_med3_f32 v11, v11, v23, v24
v_cvt_pk_fp8_f32 v13, v10, v11
	;;#ASMEND
	;;#ASMSTART
	v_pk_mul_f32 v[8:9], v[8:9], v[28:29]
	;;#ASMEND
	;;#ASMSTART
	v_med3_f32 v8, v8, v23, v24
v_med3_f32 v9, v9, v23, v24
v_cvt_pk_fp8_f32 v10, v8, v9
	;;#ASMEND
	s_addc_u32 s34, s21, s35
	v_lshlrev_b32_e32 v8, 16, v10
	s_and_b32 s53, s34, 0xffff
	s_mov_b32 s55, s51
	v_and_or_b32 v13, v13, s33, v8
	buffer_store_dwordx2 v[12:13], v17, s[52:55], 0 offen
	;;#ASMSTART
	s_nop 0
	;;#ASMEND
	s_branch .LBB211_8
.LBB211_21:
	s_endpgm
	.section	.rodata,"a",@progbits
	.p2align	6, 0x0
	.amdhsa_kernel _ZN5aiter43moe_smooth_per_token_scaled_quant_kernel_v2ItDB8_Li128ELi8EEEvPT0_PfPT_S4_PiS7_S7_iiiiiiiiiibb
		.amdhsa_group_segment_fixed_size 8
		.amdhsa_private_segment_fixed_size 0
		.amdhsa_kernarg_size 100
		.amdhsa_user_sgpr_count 6
		.amdhsa_user_sgpr_private_segment_buffer 1
		.amdhsa_user_sgpr_dispatch_ptr 0
		.amdhsa_user_sgpr_queue_ptr 0
		.amdhsa_user_sgpr_kernarg_segment_ptr 1
		.amdhsa_user_sgpr_dispatch_id 0
		.amdhsa_user_sgpr_flat_scratch_init 0
		.amdhsa_user_sgpr_kernarg_preload_length 0
		.amdhsa_user_sgpr_kernarg_preload_offset 0
		.amdhsa_user_sgpr_private_segment_size 0
		.amdhsa_uses_dynamic_stack 0
		.amdhsa_system_sgpr_private_segment_wavefront_offset 0
		.amdhsa_system_sgpr_workgroup_id_x 1
		.amdhsa_system_sgpr_workgroup_id_y 0
		.amdhsa_system_sgpr_workgroup_id_z 0
		.amdhsa_system_sgpr_workgroup_info 0
		.amdhsa_system_vgpr_workitem_id 0
		.amdhsa_next_free_vgpr 32
		.amdhsa_next_free_sgpr 59
		.amdhsa_accum_offset 32
		.amdhsa_reserve_vcc 1
		.amdhsa_reserve_flat_scratch 0
		.amdhsa_float_round_mode_32 0
		.amdhsa_float_round_mode_16_64 0
		.amdhsa_float_denorm_mode_32 3
		.amdhsa_float_denorm_mode_16_64 3
		.amdhsa_dx10_clamp 1
		.amdhsa_ieee_mode 1
		.amdhsa_fp16_overflow 0
		.amdhsa_tg_split 0
		.amdhsa_exception_fp_ieee_invalid_op 0
		.amdhsa_exception_fp_denorm_src 0
		.amdhsa_exception_fp_ieee_div_zero 0
		.amdhsa_exception_fp_ieee_overflow 0
		.amdhsa_exception_fp_ieee_underflow 0
		.amdhsa_exception_fp_ieee_inexact 0
		.amdhsa_exception_int_div_zero 0
	.end_amdhsa_kernel
	.section	.text._ZN5aiter43moe_smooth_per_token_scaled_quant_kernel_v2ItDB8_Li128ELi8EEEvPT0_PfPT_S4_PiS7_S7_iiiiiiiiiibb,"axG",@progbits,_ZN5aiter43moe_smooth_per_token_scaled_quant_kernel_v2ItDB8_Li128ELi8EEEvPT0_PfPT_S4_PiS7_S7_iiiiiiiiiibb,comdat
.Lfunc_end211:
	.size	_ZN5aiter43moe_smooth_per_token_scaled_quant_kernel_v2ItDB8_Li128ELi8EEEvPT0_PfPT_S4_PiS7_S7_iiiiiiiiiibb, .Lfunc_end211-_ZN5aiter43moe_smooth_per_token_scaled_quant_kernel_v2ItDB8_Li128ELi8EEEvPT0_PfPT_S4_PiS7_S7_iiiiiiiiiibb
                                        ; -- End function
	.section	.AMDGPU.csdata,"",@progbits
; Kernel info:
; codeLenInByte = 1232
; NumSgprs: 63
; NumVgprs: 32
; NumAgprs: 0
; TotalNumVgprs: 32
; ScratchSize: 0
; MemoryBound: 0
; FloatMode: 240
; IeeeMode: 1
; LDSByteSize: 8 bytes/workgroup (compile time only)
; SGPRBlocks: 7
; VGPRBlocks: 3
; NumSGPRsForWavesPerEU: 63
; NumVGPRsForWavesPerEU: 32
; AccumOffset: 32
; Occupancy: 8
; WaveLimiterHint : 0
; COMPUTE_PGM_RSRC2:SCRATCH_EN: 0
; COMPUTE_PGM_RSRC2:USER_SGPR: 6
; COMPUTE_PGM_RSRC2:TRAP_HANDLER: 0
; COMPUTE_PGM_RSRC2:TGID_X_EN: 1
; COMPUTE_PGM_RSRC2:TGID_Y_EN: 0
; COMPUTE_PGM_RSRC2:TGID_Z_EN: 0
; COMPUTE_PGM_RSRC2:TIDIG_COMP_CNT: 0
; COMPUTE_PGM_RSRC3_GFX90A:ACCUM_OFFSET: 7
; COMPUTE_PGM_RSRC3_GFX90A:TG_SPLIT: 0
	.section	.text._ZN5aiter43moe_smooth_per_token_scaled_quant_kernel_v2IDF16_DB8_Li256ELi8EEEvPT0_PfPT_S4_PiS7_S7_iiiiiiiiiibb,"axG",@progbits,_ZN5aiter43moe_smooth_per_token_scaled_quant_kernel_v2IDF16_DB8_Li256ELi8EEEvPT0_PfPT_S4_PiS7_S7_iiiiiiiiiibb,comdat
	.protected	_ZN5aiter43moe_smooth_per_token_scaled_quant_kernel_v2IDF16_DB8_Li256ELi8EEEvPT0_PfPT_S4_PiS7_S7_iiiiiiiiiibb ; -- Begin function _ZN5aiter43moe_smooth_per_token_scaled_quant_kernel_v2IDF16_DB8_Li256ELi8EEEvPT0_PfPT_S4_PiS7_S7_iiiiiiiiiibb
	.globl	_ZN5aiter43moe_smooth_per_token_scaled_quant_kernel_v2IDF16_DB8_Li256ELi8EEEvPT0_PfPT_S4_PiS7_S7_iiiiiiiiiibb
	.p2align	8
	.type	_ZN5aiter43moe_smooth_per_token_scaled_quant_kernel_v2IDF16_DB8_Li256ELi8EEEvPT0_PfPT_S4_PiS7_S7_iiiiiiiiiibb,@function
_ZN5aiter43moe_smooth_per_token_scaled_quant_kernel_v2IDF16_DB8_Li256ELi8EEEvPT0_PfPT_S4_PiS7_S7_iiiiiiiiiibb: ; @_ZN5aiter43moe_smooth_per_token_scaled_quant_kernel_v2IDF16_DB8_Li256ELi8EEEvPT0_PfPT_S4_PiS7_S7_iiiiiiiiiibb
; %bb.0:
	s_load_dwordx8 s[12:19], s[4:5], 0x38
	s_waitcnt lgkmcnt(0)
	s_cmp_ge_i32 s6, s14
	s_cbranch_scc1 .LBB212_21
; %bb.1:
	s_load_dwordx4 s[28:31], s[4:5], 0x58
	s_load_dwordx2 s[0:1], s[4:5], 0x30
	s_load_dwordx4 s[36:39], s[4:5], 0x20
	s_load_dwordx8 s[20:27], s[4:5], 0x0
	v_and_b32_e32 v1, 63, v0
	s_waitcnt lgkmcnt(0)
	s_bitcmp1_b32 s30, 8
	s_load_dword s7, s[0:1], 0x0
	s_cselect_b64 s[0:1], -1, 0
	s_ashr_i32 s18, s18, s19
	s_xor_b64 s[10:11], s[0:1], -1
	s_lshl_b32 s42, s18, 2
	s_lshl_b32 s46, s16, 2
	s_cmp_gt_i32 s18, 0
	s_cselect_b64 s[8:9], -1, 0
	s_add_i32 s4, s16, 7
	s_ashr_i32 s5, s4, 31
	s_lshr_b32 s5, s5, 29
	s_add_i32 s30, s16, 3
	s_add_i32 s4, s4, s5
	s_ashr_i32 s31, s30, 31
	v_lshlrev_b32_e32 v16, 2, v1
	v_cmp_eq_u32_e64 s[0:1], 63, v1
	v_lshrrev_b32_e32 v1, 4, v0
	s_ashr_i32 s4, s4, 3
	s_lshr_b32 s31, s31, 30
	v_lshlrev_b32_e32 v17, 3, v0
	v_lshlrev_b32_e32 v18, 5, v0
	;; [unrolled: 1-line block ×3, first 2 shown]
	v_and_b32_e32 v20, 60, v1
	v_and_b32_e32 v1, 3, v0
	v_cmp_eq_u32_e64 s[2:3], 0, v0
	v_cmp_gt_u32_e64 s[4:5], s4, v0
	s_add_i32 s30, s30, s31
	v_cndmask_b32_e64 v0, 0, 1, s[8:9]
	s_lshl_b32 s50, s16, 1
	v_lshlrev_b32_e32 v21, 2, v1
	s_and_b32 s54, s30, -4
	s_mov_b32 s33, 0xffff
	s_mov_b32 s51, 0x20000
	;; [unrolled: 1-line block ×3, first 2 shown]
	v_mov_b32_e32 v22, 0
	v_mov_b32_e32 v23, 0xc3e00000
	;; [unrolled: 1-line block ×3, first 2 shown]
	s_mov_b32 s57, 0x5040100
	s_movk_i32 s58, 0xff
	v_cmp_ne_u32_e64 s[8:9], 1, v0
	s_branch .LBB212_4
.LBB212_2:                              ;   in Loop: Header=BB212_4 Depth=1
	s_mov_b64 s[34:35], -1
.LBB212_3:                              ;   in Loop: Header=BB212_4 Depth=1
	s_add_i32 s6, s6, s15
	s_cmp_lt_i32 s6, s14
	s_cselect_b64 s[30:31], -1, 0
	s_and_b64 s[30:31], s[34:35], s[30:31]
	s_and_b64 vcc, exec, s[30:31]
	s_cbranch_vccz .LBB212_21
.LBB212_4:                              ; =>This Loop Header: Depth=1
                                        ;     Child Loop BB212_10 Depth 2
	s_mul_i32 s30, s6, s18
	s_waitcnt lgkmcnt(0)
	s_cmp_ge_i32 s30, s7
	s_mov_b64 s[34:35], 0
	s_cbranch_scc1 .LBB212_3
; %bb.5:                                ;   in Loop: Header=BB212_4 Depth=1
	s_ashr_i32 s34, s6, s19
	s_ashr_i32 s35, s34, 31
	s_lshl_b64 s[34:35], s[34:35], 2
	s_add_u32 s34, s38, s34
	s_addc_u32 s35, s39, s35
	s_load_dword s44, s[34:35], 0x0
	s_mov_b64 s[34:35], 0
	s_waitcnt lgkmcnt(0)
	s_cmp_ge_i32 s44, s12
	s_cbranch_scc1 .LBB212_3
; %bb.6:                                ;   in Loop: Header=BB212_4 Depth=1
	s_and_b64 vcc, exec, s[8:9]
	s_cbranch_vccnz .LBB212_2
; %bb.7:                                ;   in Loop: Header=BB212_4 Depth=1
	s_ashr_i32 s31, s30, 31
	s_lshl_b64 s[30:31], s[30:31], 2
	s_add_u32 s40, s36, s30
	s_addc_u32 s30, s37, s31
	s_and_b32 s41, s30, 0xffff
	s_mul_i32 s30, s44, s16
	s_ashr_i32 s31, s30, 31
	s_lshl_b64 s[30:31], s[30:31], 2
	s_add_u32 s44, s26, s30
	s_mov_b32 s43, s51
	s_addc_u32 s30, s27, s31
	buffer_load_dword v8, v16, s[40:43], 0 offen
	s_and_b32 s45, s30, 0xffff
	s_mov_b32 s47, s51
	buffer_load_dwordx4 v[0:3], v18, s[44:47], 16 offen
	buffer_load_dwordx4 v[4:7], v18, s[44:47], 0 offen
	s_mov_b32 s40, 0
	s_waitcnt vmcnt(2)
	v_and_b32_e32 v25, 0xffffff, v8
	v_ashrrev_i32_e32 v26, 24, v8
	s_branch .LBB212_10
.LBB212_8:                              ;   in Loop: Header=BB212_10 Depth=2
	s_or_b64 exec, exec, s[30:31]
	s_add_i32 s40, s40, 1
	s_cmp_eq_u32 s18, s40
	s_cselect_b64 s[30:31], -1, 0
.LBB212_9:                              ;   in Loop: Header=BB212_10 Depth=2
	s_and_b64 vcc, exec, s[30:31]
	s_cbranch_vccnz .LBB212_2
.LBB212_10:                             ;   Parent Loop BB212_4 Depth=1
                                        ; =>  This Inner Loop Header: Depth=2
	v_readlane_b32 s35, v25, s40
	v_readlane_b32 s41, v26, s40
	s_cmp_ge_i32 s35, s13
	s_mov_b64 s[30:31], -1
	s_cbranch_scc1 .LBB212_9
; %bb.11:                               ;   in Loop: Header=BB212_10 Depth=2
	s_mul_hi_i32 s31, s35, s28
	s_mul_i32 s30, s35, s28
	s_mul_i32 s44, s41, s29
	s_ashr_i32 s45, s44, 31
	s_lshl_b64 s[30:31], s[30:31], 1
	s_add_u32 s34, s24, s30
	s_addc_u32 s43, s25, s31
	s_lshl_b64 s[30:31], s[44:45], 1
	s_add_u32 s48, s34, s30
	s_addc_u32 s30, s43, s31
	s_and_b32 s49, s30, 0xffff
	buffer_load_dwordx4 v[8:11], v19, s[48:51], 0 offen
	s_waitcnt vmcnt(0)
	v_cvt_f32_f16_e32 v12, v8
	v_cvt_f32_f16_sdwa v13, v8 dst_sel:DWORD dst_unused:UNUSED_PAD src0_sel:WORD_1
	v_cvt_f32_f16_e32 v8, v9
	v_cvt_f32_f16_sdwa v9, v9 dst_sel:DWORD dst_unused:UNUSED_PAD src0_sel:WORD_1
	;; [unrolled: 2-line block ×4, first 2 shown]
	v_pk_mul_f32 v[14:15], v[4:5], v[12:13]
	v_pk_mul_f32 v[12:13], v[6:7], v[8:9]
	v_max3_f32 v27, |v14|, s56, |v15|
	v_pk_mul_f32 v[10:11], v[0:1], v[28:29]
	v_max3_f32 v27, v27, |v12|, |v13|
	v_pk_mul_f32 v[8:9], v[2:3], v[30:31]
	v_max3_f32 v27, v27, |v10|, |v11|
	v_max3_f32 v27, v27, |v8|, |v9|
	s_nop 1
	v_mov_b32_dpp v28, v27 quad_perm:[1,0,3,2] row_mask:0xf bank_mask:0xf
	v_cmp_gt_f32_e32 vcc, v27, v28
	v_cndmask_b32_e32 v27, v28, v27, vcc
	s_nop 1
	v_mov_b32_dpp v28, v27 quad_perm:[2,3,0,1] row_mask:0xf bank_mask:0xf
	v_cmp_gt_f32_e32 vcc, v27, v28
	v_cndmask_b32_e32 v27, v28, v27, vcc
	s_nop 1
	v_mov_b32_dpp v28, v27 row_half_mirror row_mask:0xf bank_mask:0xf
	v_cmp_gt_f32_e32 vcc, v27, v28
	v_cndmask_b32_e32 v27, v28, v27, vcc
	s_nop 1
	v_mov_b32_dpp v28, v27 row_mirror row_mask:0xf bank_mask:0xf
	v_cmp_gt_f32_e32 vcc, v27, v28
	v_cndmask_b32_e32 v27, v28, v27, vcc
	s_nop 1
	v_mov_b32_dpp v28, v27 row_bcast:15 row_mask:0xf bank_mask:0xf
	v_cmp_gt_f32_e32 vcc, v27, v28
	v_cndmask_b32_e32 v27, v28, v27, vcc
	s_nop 1
	v_mov_b32_dpp v28, v27 row_bcast:31 row_mask:0xf bank_mask:0xf
	s_and_saveexec_b64 s[30:31], s[0:1]
	s_cbranch_execz .LBB212_13
; %bb.12:                               ;   in Loop: Header=BB212_10 Depth=2
	v_cmp_gt_f32_e32 vcc, v27, v28
	v_cndmask_b32_e32 v27, v28, v27, vcc
	ds_write_b32 v20, v27
.LBB212_13:                             ;   in Loop: Header=BB212_10 Depth=2
	s_or_b64 exec, exec, s[30:31]
	s_waitcnt lgkmcnt(0)
	s_barrier
	ds_read_b32 v27, v21
	s_mov_b64 s[30:31], -1
                                        ; implicit-def: $sgpr34
	s_waitcnt lgkmcnt(0)
	v_mov_b32_dpp v28, v27 quad_perm:[1,0,3,2] row_mask:0xf bank_mask:0xf
	v_cmp_gt_f32_e32 vcc, v27, v28
	v_cndmask_b32_e32 v27, v28, v27, vcc
	s_and_b64 vcc, exec, s[10:11]
	s_nop 0
	v_mov_b32_dpp v28, v27 quad_perm:[2,3,0,1] row_mask:0xf bank_mask:0xf
	s_cbranch_vccz .LBB212_15
; %bb.14:                               ;   in Loop: Header=BB212_10 Depth=2
	s_mul_i32 s30, s35, s17
	s_add_i32 s34, s30, s41
	s_mov_b64 s[30:31], 0
.LBB212_15:                             ;   in Loop: Header=BB212_10 Depth=2
	s_andn2_b64 vcc, exec, s[30:31]
	s_cbranch_vccnz .LBB212_17
; %bb.16:                               ;   in Loop: Header=BB212_10 Depth=2
	s_mul_i32 s30, s41, s13
	s_add_i32 s34, s30, s35
.LBB212_17:                             ;   in Loop: Header=BB212_10 Depth=2
	v_cmp_gt_f32_e32 vcc, v27, v28
	v_cndmask_b32_e32 v27, v28, v27, vcc
	v_mul_f32_e32 v27, 0x3b124925, v27
	s_and_saveexec_b64 s[30:31], s[2:3]
	s_cbranch_execz .LBB212_19
; %bb.18:                               ;   in Loop: Header=BB212_10 Depth=2
	s_ashr_i32 s35, s34, 31
	s_lshl_b64 s[44:45], s[34:35], 2
	s_add_u32 s44, s22, s44
	s_addc_u32 s45, s23, s45
	global_store_dword v22, v27, s[44:45]
.LBB212_19:                             ;   in Loop: Header=BB212_10 Depth=2
	s_or_b64 exec, exec, s[30:31]
	s_and_saveexec_b64 s[30:31], s[4:5]
	s_cbranch_execz .LBB212_8
; %bb.20:                               ;   in Loop: Header=BB212_10 Depth=2
	v_rcp_f32_e32 v28, v27
	s_mul_hi_i32 s35, s34, s16
	s_mul_i32 s34, s34, s16
	s_add_u32 s52, s20, s34
	v_mov_b32_e32 v29, v28
	;;#ASMSTART
	v_pk_mul_f32 v[14:15], v[14:15], v[28:29]
	;;#ASMEND
	;;#ASMSTART
	v_med3_f32 v14, v14, v23, v24
v_med3_f32 v15, v15, v23, v24
v_cvt_pk_fp8_f32 v27, v14, v15
	;;#ASMEND
	;;#ASMSTART
	v_pk_mul_f32 v[12:13], v[12:13], v[28:29]
	;;#ASMEND
	;;#ASMSTART
	v_med3_f32 v12, v12, v23, v24
v_med3_f32 v13, v13, v23, v24
v_cvt_pk_fp8_f32 v14, v12, v13
	;;#ASMEND
	v_perm_b32 v13, v14, v27, s57
	v_and_b32_e32 v12, 0xffffff00, v14
	v_and_b32_sdwa v14, v13, s58 dst_sel:DWORD dst_unused:UNUSED_PAD src0_sel:WORD_1 src1_sel:DWORD
	v_or_b32_sdwa v12, v14, v12 dst_sel:WORD_1 dst_unused:UNUSED_PAD src0_sel:DWORD src1_sel:DWORD
	;;#ASMSTART
	v_pk_mul_f32 v[10:11], v[10:11], v[28:29]
	;;#ASMEND
	v_and_or_b32 v12, v13, s33, v12
	;;#ASMSTART
	v_med3_f32 v10, v10, v23, v24
v_med3_f32 v11, v11, v23, v24
v_cvt_pk_fp8_f32 v13, v10, v11
	;;#ASMEND
	;;#ASMSTART
	v_pk_mul_f32 v[8:9], v[8:9], v[28:29]
	;;#ASMEND
	;;#ASMSTART
	v_med3_f32 v8, v8, v23, v24
v_med3_f32 v9, v9, v23, v24
v_cvt_pk_fp8_f32 v10, v8, v9
	;;#ASMEND
	s_addc_u32 s34, s21, s35
	v_lshlrev_b32_e32 v8, 16, v10
	s_and_b32 s53, s34, 0xffff
	s_mov_b32 s55, s51
	v_and_or_b32 v13, v13, s33, v8
	buffer_store_dwordx2 v[12:13], v17, s[52:55], 0 offen
	;;#ASMSTART
	s_nop 0
	;;#ASMEND
	s_branch .LBB212_8
.LBB212_21:
	s_endpgm
	.section	.rodata,"a",@progbits
	.p2align	6, 0x0
	.amdhsa_kernel _ZN5aiter43moe_smooth_per_token_scaled_quant_kernel_v2IDF16_DB8_Li256ELi8EEEvPT0_PfPT_S4_PiS7_S7_iiiiiiiiiibb
		.amdhsa_group_segment_fixed_size 16
		.amdhsa_private_segment_fixed_size 0
		.amdhsa_kernarg_size 100
		.amdhsa_user_sgpr_count 6
		.amdhsa_user_sgpr_private_segment_buffer 1
		.amdhsa_user_sgpr_dispatch_ptr 0
		.amdhsa_user_sgpr_queue_ptr 0
		.amdhsa_user_sgpr_kernarg_segment_ptr 1
		.amdhsa_user_sgpr_dispatch_id 0
		.amdhsa_user_sgpr_flat_scratch_init 0
		.amdhsa_user_sgpr_kernarg_preload_length 0
		.amdhsa_user_sgpr_kernarg_preload_offset 0
		.amdhsa_user_sgpr_private_segment_size 0
		.amdhsa_uses_dynamic_stack 0
		.amdhsa_system_sgpr_private_segment_wavefront_offset 0
		.amdhsa_system_sgpr_workgroup_id_x 1
		.amdhsa_system_sgpr_workgroup_id_y 0
		.amdhsa_system_sgpr_workgroup_id_z 0
		.amdhsa_system_sgpr_workgroup_info 0
		.amdhsa_system_vgpr_workitem_id 0
		.amdhsa_next_free_vgpr 32
		.amdhsa_next_free_sgpr 59
		.amdhsa_accum_offset 32
		.amdhsa_reserve_vcc 1
		.amdhsa_reserve_flat_scratch 0
		.amdhsa_float_round_mode_32 0
		.amdhsa_float_round_mode_16_64 0
		.amdhsa_float_denorm_mode_32 3
		.amdhsa_float_denorm_mode_16_64 3
		.amdhsa_dx10_clamp 1
		.amdhsa_ieee_mode 1
		.amdhsa_fp16_overflow 0
		.amdhsa_tg_split 0
		.amdhsa_exception_fp_ieee_invalid_op 0
		.amdhsa_exception_fp_denorm_src 0
		.amdhsa_exception_fp_ieee_div_zero 0
		.amdhsa_exception_fp_ieee_overflow 0
		.amdhsa_exception_fp_ieee_underflow 0
		.amdhsa_exception_fp_ieee_inexact 0
		.amdhsa_exception_int_div_zero 0
	.end_amdhsa_kernel
	.section	.text._ZN5aiter43moe_smooth_per_token_scaled_quant_kernel_v2IDF16_DB8_Li256ELi8EEEvPT0_PfPT_S4_PiS7_S7_iiiiiiiiiibb,"axG",@progbits,_ZN5aiter43moe_smooth_per_token_scaled_quant_kernel_v2IDF16_DB8_Li256ELi8EEEvPT0_PfPT_S4_PiS7_S7_iiiiiiiiiibb,comdat
.Lfunc_end212:
	.size	_ZN5aiter43moe_smooth_per_token_scaled_quant_kernel_v2IDF16_DB8_Li256ELi8EEEvPT0_PfPT_S4_PiS7_S7_iiiiiiiiiibb, .Lfunc_end212-_ZN5aiter43moe_smooth_per_token_scaled_quant_kernel_v2IDF16_DB8_Li256ELi8EEEvPT0_PfPT_S4_PiS7_S7_iiiiiiiiiibb
                                        ; -- End function
	.section	.AMDGPU.csdata,"",@progbits
; Kernel info:
; codeLenInByte = 1236
; NumSgprs: 63
; NumVgprs: 32
; NumAgprs: 0
; TotalNumVgprs: 32
; ScratchSize: 0
; MemoryBound: 0
; FloatMode: 240
; IeeeMode: 1
; LDSByteSize: 16 bytes/workgroup (compile time only)
; SGPRBlocks: 7
; VGPRBlocks: 3
; NumSGPRsForWavesPerEU: 63
; NumVGPRsForWavesPerEU: 32
; AccumOffset: 32
; Occupancy: 8
; WaveLimiterHint : 0
; COMPUTE_PGM_RSRC2:SCRATCH_EN: 0
; COMPUTE_PGM_RSRC2:USER_SGPR: 6
; COMPUTE_PGM_RSRC2:TRAP_HANDLER: 0
; COMPUTE_PGM_RSRC2:TGID_X_EN: 1
; COMPUTE_PGM_RSRC2:TGID_Y_EN: 0
; COMPUTE_PGM_RSRC2:TGID_Z_EN: 0
; COMPUTE_PGM_RSRC2:TIDIG_COMP_CNT: 0
; COMPUTE_PGM_RSRC3_GFX90A:ACCUM_OFFSET: 7
; COMPUTE_PGM_RSRC3_GFX90A:TG_SPLIT: 0
	.section	.text._ZN5aiter43moe_smooth_per_token_scaled_quant_kernel_v2ItDB8_Li256ELi8EEEvPT0_PfPT_S4_PiS7_S7_iiiiiiiiiibb,"axG",@progbits,_ZN5aiter43moe_smooth_per_token_scaled_quant_kernel_v2ItDB8_Li256ELi8EEEvPT0_PfPT_S4_PiS7_S7_iiiiiiiiiibb,comdat
	.protected	_ZN5aiter43moe_smooth_per_token_scaled_quant_kernel_v2ItDB8_Li256ELi8EEEvPT0_PfPT_S4_PiS7_S7_iiiiiiiiiibb ; -- Begin function _ZN5aiter43moe_smooth_per_token_scaled_quant_kernel_v2ItDB8_Li256ELi8EEEvPT0_PfPT_S4_PiS7_S7_iiiiiiiiiibb
	.globl	_ZN5aiter43moe_smooth_per_token_scaled_quant_kernel_v2ItDB8_Li256ELi8EEEvPT0_PfPT_S4_PiS7_S7_iiiiiiiiiibb
	.p2align	8
	.type	_ZN5aiter43moe_smooth_per_token_scaled_quant_kernel_v2ItDB8_Li256ELi8EEEvPT0_PfPT_S4_PiS7_S7_iiiiiiiiiibb,@function
_ZN5aiter43moe_smooth_per_token_scaled_quant_kernel_v2ItDB8_Li256ELi8EEEvPT0_PfPT_S4_PiS7_S7_iiiiiiiiiibb: ; @_ZN5aiter43moe_smooth_per_token_scaled_quant_kernel_v2ItDB8_Li256ELi8EEEvPT0_PfPT_S4_PiS7_S7_iiiiiiiiiibb
; %bb.0:
	s_load_dwordx8 s[12:19], s[4:5], 0x38
	s_waitcnt lgkmcnt(0)
	s_cmp_ge_i32 s6, s14
	s_cbranch_scc1 .LBB213_21
; %bb.1:
	s_load_dwordx4 s[28:31], s[4:5], 0x58
	s_load_dwordx2 s[0:1], s[4:5], 0x30
	s_load_dwordx4 s[36:39], s[4:5], 0x20
	s_load_dwordx8 s[20:27], s[4:5], 0x0
	v_and_b32_e32 v1, 63, v0
	s_waitcnt lgkmcnt(0)
	s_bitcmp1_b32 s30, 8
	s_load_dword s7, s[0:1], 0x0
	s_cselect_b64 s[0:1], -1, 0
	s_ashr_i32 s18, s18, s19
	s_xor_b64 s[10:11], s[0:1], -1
	s_lshl_b32 s42, s18, 2
	s_lshl_b32 s46, s16, 2
	s_cmp_gt_i32 s18, 0
	s_cselect_b64 s[8:9], -1, 0
	s_add_i32 s4, s16, 7
	s_ashr_i32 s5, s4, 31
	s_lshr_b32 s5, s5, 29
	s_add_i32 s30, s16, 3
	s_add_i32 s4, s4, s5
	s_ashr_i32 s31, s30, 31
	v_lshlrev_b32_e32 v16, 2, v1
	v_cmp_eq_u32_e64 s[0:1], 63, v1
	v_lshrrev_b32_e32 v1, 4, v0
	s_ashr_i32 s4, s4, 3
	s_lshr_b32 s31, s31, 30
	v_lshlrev_b32_e32 v17, 3, v0
	v_lshlrev_b32_e32 v18, 5, v0
	;; [unrolled: 1-line block ×3, first 2 shown]
	v_and_b32_e32 v20, 60, v1
	v_and_b32_e32 v1, 3, v0
	v_cmp_eq_u32_e64 s[2:3], 0, v0
	v_cmp_gt_u32_e64 s[4:5], s4, v0
	s_add_i32 s30, s30, s31
	v_cndmask_b32_e64 v0, 0, 1, s[8:9]
	s_lshl_b32 s50, s16, 1
	v_lshlrev_b32_e32 v21, 2, v1
	s_and_b32 s54, s30, -4
	s_mov_b32 s33, 0xffff
	s_mov_b32 s51, 0x20000
	;; [unrolled: 1-line block ×3, first 2 shown]
	v_mov_b32_e32 v22, 0
	v_mov_b32_e32 v23, 0xc3e00000
	;; [unrolled: 1-line block ×3, first 2 shown]
	s_mov_b32 s57, 0x5040100
	s_movk_i32 s58, 0xff
	v_cmp_ne_u32_e64 s[8:9], 1, v0
	s_branch .LBB213_4
.LBB213_2:                              ;   in Loop: Header=BB213_4 Depth=1
	s_mov_b64 s[34:35], -1
.LBB213_3:                              ;   in Loop: Header=BB213_4 Depth=1
	s_add_i32 s6, s6, s15
	s_cmp_lt_i32 s6, s14
	s_cselect_b64 s[30:31], -1, 0
	s_and_b64 s[30:31], s[34:35], s[30:31]
	s_and_b64 vcc, exec, s[30:31]
	s_cbranch_vccz .LBB213_21
.LBB213_4:                              ; =>This Loop Header: Depth=1
                                        ;     Child Loop BB213_10 Depth 2
	s_mul_i32 s30, s6, s18
	s_waitcnt lgkmcnt(0)
	s_cmp_ge_i32 s30, s7
	s_mov_b64 s[34:35], 0
	s_cbranch_scc1 .LBB213_3
; %bb.5:                                ;   in Loop: Header=BB213_4 Depth=1
	s_ashr_i32 s34, s6, s19
	s_ashr_i32 s35, s34, 31
	s_lshl_b64 s[34:35], s[34:35], 2
	s_add_u32 s34, s38, s34
	s_addc_u32 s35, s39, s35
	s_load_dword s44, s[34:35], 0x0
	s_mov_b64 s[34:35], 0
	s_waitcnt lgkmcnt(0)
	s_cmp_ge_i32 s44, s12
	s_cbranch_scc1 .LBB213_3
; %bb.6:                                ;   in Loop: Header=BB213_4 Depth=1
	s_and_b64 vcc, exec, s[8:9]
	s_cbranch_vccnz .LBB213_2
; %bb.7:                                ;   in Loop: Header=BB213_4 Depth=1
	s_ashr_i32 s31, s30, 31
	s_lshl_b64 s[30:31], s[30:31], 2
	s_add_u32 s40, s36, s30
	s_addc_u32 s30, s37, s31
	s_and_b32 s41, s30, 0xffff
	s_mul_i32 s30, s44, s16
	s_ashr_i32 s31, s30, 31
	s_lshl_b64 s[30:31], s[30:31], 2
	s_add_u32 s44, s26, s30
	s_mov_b32 s43, s51
	s_addc_u32 s30, s27, s31
	buffer_load_dword v8, v16, s[40:43], 0 offen
	s_and_b32 s45, s30, 0xffff
	s_mov_b32 s47, s51
	buffer_load_dwordx4 v[0:3], v18, s[44:47], 16 offen
	buffer_load_dwordx4 v[4:7], v18, s[44:47], 0 offen
	s_mov_b32 s40, 0
	s_waitcnt vmcnt(2)
	v_and_b32_e32 v25, 0xffffff, v8
	v_ashrrev_i32_e32 v26, 24, v8
	s_branch .LBB213_10
.LBB213_8:                              ;   in Loop: Header=BB213_10 Depth=2
	s_or_b64 exec, exec, s[30:31]
	s_add_i32 s40, s40, 1
	s_cmp_eq_u32 s18, s40
	s_cselect_b64 s[30:31], -1, 0
.LBB213_9:                              ;   in Loop: Header=BB213_10 Depth=2
	s_and_b64 vcc, exec, s[30:31]
	s_cbranch_vccnz .LBB213_2
.LBB213_10:                             ;   Parent Loop BB213_4 Depth=1
                                        ; =>  This Inner Loop Header: Depth=2
	v_readlane_b32 s35, v25, s40
	v_readlane_b32 s41, v26, s40
	s_cmp_ge_i32 s35, s13
	s_mov_b64 s[30:31], -1
	s_cbranch_scc1 .LBB213_9
; %bb.11:                               ;   in Loop: Header=BB213_10 Depth=2
	s_mul_hi_i32 s31, s35, s28
	s_mul_i32 s30, s35, s28
	s_mul_i32 s44, s41, s29
	s_ashr_i32 s45, s44, 31
	s_lshl_b64 s[30:31], s[30:31], 1
	s_add_u32 s34, s24, s30
	s_addc_u32 s43, s25, s31
	s_lshl_b64 s[30:31], s[44:45], 1
	s_add_u32 s48, s34, s30
	s_addc_u32 s30, s43, s31
	s_and_b32 s49, s30, 0xffff
	buffer_load_dwordx4 v[8:11], v19, s[48:51], 0 offen
	s_waitcnt vmcnt(0)
	v_cvt_f32_u32_sdwa v13, v8 dst_sel:DWORD dst_unused:UNUSED_PAD src0_sel:WORD_1
	v_cvt_f32_u32_sdwa v12, v8 dst_sel:DWORD dst_unused:UNUSED_PAD src0_sel:WORD_0
	v_cvt_f32_u32_sdwa v29, v9 dst_sel:DWORD dst_unused:UNUSED_PAD src0_sel:WORD_1
	v_cvt_f32_u32_sdwa v28, v9 dst_sel:DWORD dst_unused:UNUSED_PAD src0_sel:WORD_0
	;; [unrolled: 2-line block ×4, first 2 shown]
	v_pk_mul_f32 v[14:15], v[4:5], v[12:13]
	v_pk_mul_f32 v[12:13], v[6:7], v[28:29]
	v_max3_f32 v27, |v14|, s56, |v15|
	v_pk_mul_f32 v[10:11], v[0:1], v[8:9]
	v_max3_f32 v27, v27, |v12|, |v13|
	v_pk_mul_f32 v[8:9], v[2:3], v[30:31]
	v_max3_f32 v27, v27, |v10|, |v11|
	v_max3_f32 v27, v27, |v8|, |v9|
	s_nop 1
	v_mov_b32_dpp v28, v27 quad_perm:[1,0,3,2] row_mask:0xf bank_mask:0xf
	v_cmp_gt_f32_e32 vcc, v27, v28
	v_cndmask_b32_e32 v27, v28, v27, vcc
	s_nop 1
	v_mov_b32_dpp v28, v27 quad_perm:[2,3,0,1] row_mask:0xf bank_mask:0xf
	v_cmp_gt_f32_e32 vcc, v27, v28
	v_cndmask_b32_e32 v27, v28, v27, vcc
	s_nop 1
	v_mov_b32_dpp v28, v27 row_half_mirror row_mask:0xf bank_mask:0xf
	v_cmp_gt_f32_e32 vcc, v27, v28
	v_cndmask_b32_e32 v27, v28, v27, vcc
	s_nop 1
	v_mov_b32_dpp v28, v27 row_mirror row_mask:0xf bank_mask:0xf
	v_cmp_gt_f32_e32 vcc, v27, v28
	v_cndmask_b32_e32 v27, v28, v27, vcc
	s_nop 1
	v_mov_b32_dpp v28, v27 row_bcast:15 row_mask:0xf bank_mask:0xf
	v_cmp_gt_f32_e32 vcc, v27, v28
	v_cndmask_b32_e32 v27, v28, v27, vcc
	s_nop 1
	v_mov_b32_dpp v28, v27 row_bcast:31 row_mask:0xf bank_mask:0xf
	s_and_saveexec_b64 s[30:31], s[0:1]
	s_cbranch_execz .LBB213_13
; %bb.12:                               ;   in Loop: Header=BB213_10 Depth=2
	v_cmp_gt_f32_e32 vcc, v27, v28
	v_cndmask_b32_e32 v27, v28, v27, vcc
	ds_write_b32 v20, v27
.LBB213_13:                             ;   in Loop: Header=BB213_10 Depth=2
	s_or_b64 exec, exec, s[30:31]
	s_waitcnt lgkmcnt(0)
	s_barrier
	ds_read_b32 v27, v21
	s_mov_b64 s[30:31], -1
                                        ; implicit-def: $sgpr34
	s_waitcnt lgkmcnt(0)
	v_mov_b32_dpp v28, v27 quad_perm:[1,0,3,2] row_mask:0xf bank_mask:0xf
	v_cmp_gt_f32_e32 vcc, v27, v28
	v_cndmask_b32_e32 v27, v28, v27, vcc
	s_and_b64 vcc, exec, s[10:11]
	s_nop 0
	v_mov_b32_dpp v28, v27 quad_perm:[2,3,0,1] row_mask:0xf bank_mask:0xf
	s_cbranch_vccz .LBB213_15
; %bb.14:                               ;   in Loop: Header=BB213_10 Depth=2
	s_mul_i32 s30, s35, s17
	s_add_i32 s34, s30, s41
	s_mov_b64 s[30:31], 0
.LBB213_15:                             ;   in Loop: Header=BB213_10 Depth=2
	s_andn2_b64 vcc, exec, s[30:31]
	s_cbranch_vccnz .LBB213_17
; %bb.16:                               ;   in Loop: Header=BB213_10 Depth=2
	s_mul_i32 s30, s41, s13
	s_add_i32 s34, s30, s35
.LBB213_17:                             ;   in Loop: Header=BB213_10 Depth=2
	v_cmp_gt_f32_e32 vcc, v27, v28
	v_cndmask_b32_e32 v27, v28, v27, vcc
	v_mul_f32_e32 v27, 0x3b124925, v27
	s_and_saveexec_b64 s[30:31], s[2:3]
	s_cbranch_execz .LBB213_19
; %bb.18:                               ;   in Loop: Header=BB213_10 Depth=2
	s_ashr_i32 s35, s34, 31
	s_lshl_b64 s[44:45], s[34:35], 2
	s_add_u32 s44, s22, s44
	s_addc_u32 s45, s23, s45
	global_store_dword v22, v27, s[44:45]
.LBB213_19:                             ;   in Loop: Header=BB213_10 Depth=2
	s_or_b64 exec, exec, s[30:31]
	s_and_saveexec_b64 s[30:31], s[4:5]
	s_cbranch_execz .LBB213_8
; %bb.20:                               ;   in Loop: Header=BB213_10 Depth=2
	v_rcp_f32_e32 v28, v27
	s_mul_hi_i32 s35, s34, s16
	s_mul_i32 s34, s34, s16
	s_add_u32 s52, s20, s34
	v_mov_b32_e32 v29, v28
	;;#ASMSTART
	v_pk_mul_f32 v[14:15], v[14:15], v[28:29]
	;;#ASMEND
	;;#ASMSTART
	v_med3_f32 v14, v14, v23, v24
v_med3_f32 v15, v15, v23, v24
v_cvt_pk_fp8_f32 v27, v14, v15
	;;#ASMEND
	;;#ASMSTART
	v_pk_mul_f32 v[12:13], v[12:13], v[28:29]
	;;#ASMEND
	;;#ASMSTART
	v_med3_f32 v12, v12, v23, v24
v_med3_f32 v13, v13, v23, v24
v_cvt_pk_fp8_f32 v14, v12, v13
	;;#ASMEND
	v_perm_b32 v13, v14, v27, s57
	v_and_b32_e32 v12, 0xffffff00, v14
	v_and_b32_sdwa v14, v13, s58 dst_sel:DWORD dst_unused:UNUSED_PAD src0_sel:WORD_1 src1_sel:DWORD
	v_or_b32_sdwa v12, v14, v12 dst_sel:WORD_1 dst_unused:UNUSED_PAD src0_sel:DWORD src1_sel:DWORD
	;;#ASMSTART
	v_pk_mul_f32 v[10:11], v[10:11], v[28:29]
	;;#ASMEND
	v_and_or_b32 v12, v13, s33, v12
	;;#ASMSTART
	v_med3_f32 v10, v10, v23, v24
v_med3_f32 v11, v11, v23, v24
v_cvt_pk_fp8_f32 v13, v10, v11
	;;#ASMEND
	;;#ASMSTART
	v_pk_mul_f32 v[8:9], v[8:9], v[28:29]
	;;#ASMEND
	;;#ASMSTART
	v_med3_f32 v8, v8, v23, v24
v_med3_f32 v9, v9, v23, v24
v_cvt_pk_fp8_f32 v10, v8, v9
	;;#ASMEND
	s_addc_u32 s34, s21, s35
	v_lshlrev_b32_e32 v8, 16, v10
	s_and_b32 s53, s34, 0xffff
	s_mov_b32 s55, s51
	v_and_or_b32 v13, v13, s33, v8
	buffer_store_dwordx2 v[12:13], v17, s[52:55], 0 offen
	;;#ASMSTART
	s_nop 0
	;;#ASMEND
	s_branch .LBB213_8
.LBB213_21:
	s_endpgm
	.section	.rodata,"a",@progbits
	.p2align	6, 0x0
	.amdhsa_kernel _ZN5aiter43moe_smooth_per_token_scaled_quant_kernel_v2ItDB8_Li256ELi8EEEvPT0_PfPT_S4_PiS7_S7_iiiiiiiiiibb
		.amdhsa_group_segment_fixed_size 16
		.amdhsa_private_segment_fixed_size 0
		.amdhsa_kernarg_size 100
		.amdhsa_user_sgpr_count 6
		.amdhsa_user_sgpr_private_segment_buffer 1
		.amdhsa_user_sgpr_dispatch_ptr 0
		.amdhsa_user_sgpr_queue_ptr 0
		.amdhsa_user_sgpr_kernarg_segment_ptr 1
		.amdhsa_user_sgpr_dispatch_id 0
		.amdhsa_user_sgpr_flat_scratch_init 0
		.amdhsa_user_sgpr_kernarg_preload_length 0
		.amdhsa_user_sgpr_kernarg_preload_offset 0
		.amdhsa_user_sgpr_private_segment_size 0
		.amdhsa_uses_dynamic_stack 0
		.amdhsa_system_sgpr_private_segment_wavefront_offset 0
		.amdhsa_system_sgpr_workgroup_id_x 1
		.amdhsa_system_sgpr_workgroup_id_y 0
		.amdhsa_system_sgpr_workgroup_id_z 0
		.amdhsa_system_sgpr_workgroup_info 0
		.amdhsa_system_vgpr_workitem_id 0
		.amdhsa_next_free_vgpr 32
		.amdhsa_next_free_sgpr 59
		.amdhsa_accum_offset 32
		.amdhsa_reserve_vcc 1
		.amdhsa_reserve_flat_scratch 0
		.amdhsa_float_round_mode_32 0
		.amdhsa_float_round_mode_16_64 0
		.amdhsa_float_denorm_mode_32 3
		.amdhsa_float_denorm_mode_16_64 3
		.amdhsa_dx10_clamp 1
		.amdhsa_ieee_mode 1
		.amdhsa_fp16_overflow 0
		.amdhsa_tg_split 0
		.amdhsa_exception_fp_ieee_invalid_op 0
		.amdhsa_exception_fp_denorm_src 0
		.amdhsa_exception_fp_ieee_div_zero 0
		.amdhsa_exception_fp_ieee_overflow 0
		.amdhsa_exception_fp_ieee_underflow 0
		.amdhsa_exception_fp_ieee_inexact 0
		.amdhsa_exception_int_div_zero 0
	.end_amdhsa_kernel
	.section	.text._ZN5aiter43moe_smooth_per_token_scaled_quant_kernel_v2ItDB8_Li256ELi8EEEvPT0_PfPT_S4_PiS7_S7_iiiiiiiiiibb,"axG",@progbits,_ZN5aiter43moe_smooth_per_token_scaled_quant_kernel_v2ItDB8_Li256ELi8EEEvPT0_PfPT_S4_PiS7_S7_iiiiiiiiiibb,comdat
.Lfunc_end213:
	.size	_ZN5aiter43moe_smooth_per_token_scaled_quant_kernel_v2ItDB8_Li256ELi8EEEvPT0_PfPT_S4_PiS7_S7_iiiiiiiiiibb, .Lfunc_end213-_ZN5aiter43moe_smooth_per_token_scaled_quant_kernel_v2ItDB8_Li256ELi8EEEvPT0_PfPT_S4_PiS7_S7_iiiiiiiiiibb
                                        ; -- End function
	.section	.AMDGPU.csdata,"",@progbits
; Kernel info:
; codeLenInByte = 1252
; NumSgprs: 63
; NumVgprs: 32
; NumAgprs: 0
; TotalNumVgprs: 32
; ScratchSize: 0
; MemoryBound: 0
; FloatMode: 240
; IeeeMode: 1
; LDSByteSize: 16 bytes/workgroup (compile time only)
; SGPRBlocks: 7
; VGPRBlocks: 3
; NumSGPRsForWavesPerEU: 63
; NumVGPRsForWavesPerEU: 32
; AccumOffset: 32
; Occupancy: 8
; WaveLimiterHint : 0
; COMPUTE_PGM_RSRC2:SCRATCH_EN: 0
; COMPUTE_PGM_RSRC2:USER_SGPR: 6
; COMPUTE_PGM_RSRC2:TRAP_HANDLER: 0
; COMPUTE_PGM_RSRC2:TGID_X_EN: 1
; COMPUTE_PGM_RSRC2:TGID_Y_EN: 0
; COMPUTE_PGM_RSRC2:TGID_Z_EN: 0
; COMPUTE_PGM_RSRC2:TIDIG_COMP_CNT: 0
; COMPUTE_PGM_RSRC3_GFX90A:ACCUM_OFFSET: 7
; COMPUTE_PGM_RSRC3_GFX90A:TG_SPLIT: 0
	.section	.text._ZN5aiter43moe_smooth_per_token_scaled_quant_kernel_v2IDF16_DB8_Li256ELi16EEEvPT0_PfPT_S4_PiS7_S7_iiiiiiiiiibb,"axG",@progbits,_ZN5aiter43moe_smooth_per_token_scaled_quant_kernel_v2IDF16_DB8_Li256ELi16EEEvPT0_PfPT_S4_PiS7_S7_iiiiiiiiiibb,comdat
	.protected	_ZN5aiter43moe_smooth_per_token_scaled_quant_kernel_v2IDF16_DB8_Li256ELi16EEEvPT0_PfPT_S4_PiS7_S7_iiiiiiiiiibb ; -- Begin function _ZN5aiter43moe_smooth_per_token_scaled_quant_kernel_v2IDF16_DB8_Li256ELi16EEEvPT0_PfPT_S4_PiS7_S7_iiiiiiiiiibb
	.globl	_ZN5aiter43moe_smooth_per_token_scaled_quant_kernel_v2IDF16_DB8_Li256ELi16EEEvPT0_PfPT_S4_PiS7_S7_iiiiiiiiiibb
	.p2align	8
	.type	_ZN5aiter43moe_smooth_per_token_scaled_quant_kernel_v2IDF16_DB8_Li256ELi16EEEvPT0_PfPT_S4_PiS7_S7_iiiiiiiiiibb,@function
_ZN5aiter43moe_smooth_per_token_scaled_quant_kernel_v2IDF16_DB8_Li256ELi16EEEvPT0_PfPT_S4_PiS7_S7_iiiiiiiiiibb: ; @_ZN5aiter43moe_smooth_per_token_scaled_quant_kernel_v2IDF16_DB8_Li256ELi16EEEvPT0_PfPT_S4_PiS7_S7_iiiiiiiiiibb
; %bb.0:
	s_load_dwordx8 s[12:19], s[4:5], 0x38
	s_waitcnt lgkmcnt(0)
	s_cmp_ge_i32 s6, s14
	s_cbranch_scc1 .LBB214_21
; %bb.1:
	s_load_dwordx4 s[28:31], s[4:5], 0x58
	s_load_dwordx2 s[0:1], s[4:5], 0x30
	s_load_dwordx4 s[36:39], s[4:5], 0x20
	s_load_dwordx8 s[20:27], s[4:5], 0x0
	v_and_b32_e32 v1, 63, v0
	s_waitcnt lgkmcnt(0)
	s_bitcmp1_b32 s30, 8
	s_load_dword s7, s[0:1], 0x0
	s_cselect_b64 s[0:1], -1, 0
	s_ashr_i32 s18, s18, s19
	s_xor_b64 s[10:11], s[0:1], -1
	s_lshl_b32 s42, s18, 2
	s_lshl_b32 s46, s16, 2
	s_cmp_gt_i32 s18, 0
	s_cselect_b64 s[8:9], -1, 0
	s_add_i32 s4, s16, 15
	s_ashr_i32 s5, s4, 31
	s_lshr_b32 s5, s5, 28
	s_add_i32 s30, s16, 3
	s_add_i32 s4, s4, s5
	s_ashr_i32 s31, s30, 31
	v_lshlrev_b32_e32 v32, 2, v1
	v_cmp_eq_u32_e64 s[0:1], 63, v1
	v_lshrrev_b32_e32 v1, 4, v0
	s_ashr_i32 s4, s4, 4
	s_lshr_b32 s31, s31, 30
	v_lshlrev_b32_e32 v33, 4, v0
	v_lshlrev_b32_e32 v34, 6, v0
	;; [unrolled: 1-line block ×3, first 2 shown]
	v_and_b32_e32 v36, 60, v1
	v_and_b32_e32 v1, 3, v0
	v_cmp_eq_u32_e64 s[2:3], 0, v0
	v_cmp_gt_u32_e64 s[4:5], s4, v0
	s_add_i32 s30, s30, s31
	v_cndmask_b32_e64 v0, 0, 1, s[8:9]
	s_lshl_b32 s50, s16, 1
	v_lshlrev_b32_e32 v37, 2, v1
	s_and_b32 s54, s30, -4
	s_mov_b32 s51, 0x20000
	s_mov_b32 s33, 0x2edbe6ff
	v_mov_b32_e32 v38, 0
	v_mov_b32_e32 v39, 0xc3e00000
	;; [unrolled: 1-line block ×3, first 2 shown]
	s_mov_b32 s56, 0x5040100
	s_mov_b32 s57, 0x1060504
	;; [unrolled: 1-line block ×3, first 2 shown]
	v_cmp_ne_u32_e64 s[8:9], 1, v0
	s_branch .LBB214_4
.LBB214_2:                              ;   in Loop: Header=BB214_4 Depth=1
	s_mov_b64 s[34:35], -1
.LBB214_3:                              ;   in Loop: Header=BB214_4 Depth=1
	s_add_i32 s6, s6, s15
	s_cmp_lt_i32 s6, s14
	s_cselect_b64 s[30:31], -1, 0
	s_and_b64 s[30:31], s[34:35], s[30:31]
	s_and_b64 vcc, exec, s[30:31]
	s_cbranch_vccz .LBB214_21
.LBB214_4:                              ; =>This Loop Header: Depth=1
                                        ;     Child Loop BB214_10 Depth 2
	s_mul_i32 s30, s6, s18
	s_waitcnt lgkmcnt(0)
	s_cmp_ge_i32 s30, s7
	s_mov_b64 s[34:35], 0
	s_cbranch_scc1 .LBB214_3
; %bb.5:                                ;   in Loop: Header=BB214_4 Depth=1
	s_ashr_i32 s34, s6, s19
	s_ashr_i32 s35, s34, 31
	s_lshl_b64 s[34:35], s[34:35], 2
	s_add_u32 s34, s38, s34
	s_addc_u32 s35, s39, s35
	s_load_dword s44, s[34:35], 0x0
	s_mov_b64 s[34:35], 0
	s_waitcnt lgkmcnt(0)
	s_cmp_ge_i32 s44, s12
	s_cbranch_scc1 .LBB214_3
; %bb.6:                                ;   in Loop: Header=BB214_4 Depth=1
	s_and_b64 vcc, exec, s[8:9]
	s_cbranch_vccnz .LBB214_2
; %bb.7:                                ;   in Loop: Header=BB214_4 Depth=1
	s_ashr_i32 s31, s30, 31
	s_lshl_b64 s[30:31], s[30:31], 2
	s_add_u32 s40, s36, s30
	s_addc_u32 s30, s37, s31
	s_and_b32 s41, s30, 0xffff
	s_mul_i32 s30, s44, s16
	s_ashr_i32 s31, s30, 31
	s_lshl_b64 s[30:31], s[30:31], 2
	s_add_u32 s44, s26, s30
	s_addc_u32 s30, s27, s31
	s_mov_b32 s43, s51
	s_and_b32 s45, s30, 0xffff
	s_mov_b32 s47, s51
	buffer_load_dword v16, v32, s[40:43], 0 offen
	buffer_load_dwordx4 v[0:3], v34, s[44:47], 48 offen
	buffer_load_dwordx4 v[4:7], v34, s[44:47], 32 offen
	;; [unrolled: 1-line block ×4, first 2 shown]
	s_mov_b32 s40, 0
	s_waitcnt vmcnt(4)
	v_and_b32_e32 v41, 0xffffff, v16
	v_ashrrev_i32_e32 v42, 24, v16
	s_branch .LBB214_10
.LBB214_8:                              ;   in Loop: Header=BB214_10 Depth=2
	s_or_b64 exec, exec, s[30:31]
	s_add_i32 s40, s40, 1
	s_cmp_eq_u32 s18, s40
	s_cselect_b64 s[30:31], -1, 0
.LBB214_9:                              ;   in Loop: Header=BB214_10 Depth=2
	s_and_b64 vcc, exec, s[30:31]
	s_cbranch_vccnz .LBB214_2
.LBB214_10:                             ;   Parent Loop BB214_4 Depth=1
                                        ; =>  This Inner Loop Header: Depth=2
	v_readlane_b32 s35, v41, s40
	v_readlane_b32 s41, v42, s40
	s_cmp_ge_i32 s35, s13
	s_mov_b64 s[30:31], -1
	s_cbranch_scc1 .LBB214_9
; %bb.11:                               ;   in Loop: Header=BB214_10 Depth=2
	s_mul_hi_i32 s31, s35, s28
	s_mul_i32 s30, s35, s28
	s_mul_i32 s44, s41, s29
	s_ashr_i32 s45, s44, 31
	s_lshl_b64 s[30:31], s[30:31], 1
	s_add_u32 s34, s24, s30
	s_addc_u32 s43, s25, s31
	s_lshl_b64 s[30:31], s[44:45], 1
	s_add_u32 s48, s34, s30
	s_addc_u32 s30, s43, s31
	s_and_b32 s49, s30, 0xffff
	buffer_load_dwordx4 v[16:19], v35, s[48:51], 0 offen
	buffer_load_dwordx4 v[20:23], v35, s[48:51], 16 offen
	s_waitcnt vmcnt(1)
	v_cvt_f32_f16_e32 v24, v16
	v_cvt_f32_f16_sdwa v25, v16 dst_sel:DWORD dst_unused:UNUSED_PAD src0_sel:WORD_1
	v_cvt_f32_f16_e32 v16, v17
	v_cvt_f32_f16_sdwa v17, v17 dst_sel:DWORD dst_unused:UNUSED_PAD src0_sel:WORD_1
	;; [unrolled: 2-line block ×4, first 2 shown]
	s_waitcnt vmcnt(0)
	v_cvt_f32_f16_e32 v44, v20
	v_cvt_f32_f16_sdwa v45, v20 dst_sel:DWORD dst_unused:UNUSED_PAD src0_sel:WORD_1
	v_pk_mul_f32 v[30:31], v[12:13], v[24:25]
	v_cvt_f32_f16_e32 v20, v21
	v_cvt_f32_f16_sdwa v21, v21 dst_sel:DWORD dst_unused:UNUSED_PAD src0_sel:WORD_1
	v_pk_mul_f32 v[28:29], v[14:15], v[16:17]
	v_max3_f32 v43, |v30|, s33, |v31|
	v_cvt_f32_f16_e32 v46, v22
	v_cvt_f32_f16_sdwa v47, v22 dst_sel:DWORD dst_unused:UNUSED_PAD src0_sel:WORD_1
	v_pk_mul_f32 v[26:27], v[8:9], v[26:27]
	v_max3_f32 v43, v43, |v28|, |v29|
	v_cvt_f32_f16_e32 v48, v23
	v_cvt_f32_f16_sdwa v49, v23 dst_sel:DWORD dst_unused:UNUSED_PAD src0_sel:WORD_1
	v_pk_mul_f32 v[24:25], v[10:11], v[18:19]
	v_max3_f32 v43, v43, |v26|, |v27|
	v_pk_mul_f32 v[22:23], v[4:5], v[44:45]
	v_max3_f32 v43, v43, |v24|, |v25|
	v_pk_mul_f32 v[20:21], v[6:7], v[20:21]
	v_max3_f32 v43, v43, |v22|, |v23|
	v_pk_mul_f32 v[18:19], v[0:1], v[46:47]
	v_max3_f32 v43, v43, |v20|, |v21|
	v_pk_mul_f32 v[16:17], v[2:3], v[48:49]
	v_max3_f32 v43, v43, |v18|, |v19|
	v_max3_f32 v43, v43, |v16|, |v17|
	s_nop 1
	v_mov_b32_dpp v44, v43 quad_perm:[1,0,3,2] row_mask:0xf bank_mask:0xf
	v_cmp_gt_f32_e32 vcc, v43, v44
	v_cndmask_b32_e32 v43, v44, v43, vcc
	s_nop 1
	v_mov_b32_dpp v44, v43 quad_perm:[2,3,0,1] row_mask:0xf bank_mask:0xf
	v_cmp_gt_f32_e32 vcc, v43, v44
	v_cndmask_b32_e32 v43, v44, v43, vcc
	s_nop 1
	v_mov_b32_dpp v44, v43 row_half_mirror row_mask:0xf bank_mask:0xf
	v_cmp_gt_f32_e32 vcc, v43, v44
	v_cndmask_b32_e32 v43, v44, v43, vcc
	s_nop 1
	v_mov_b32_dpp v44, v43 row_mirror row_mask:0xf bank_mask:0xf
	v_cmp_gt_f32_e32 vcc, v43, v44
	v_cndmask_b32_e32 v43, v44, v43, vcc
	s_nop 1
	v_mov_b32_dpp v44, v43 row_bcast:15 row_mask:0xf bank_mask:0xf
	v_cmp_gt_f32_e32 vcc, v43, v44
	v_cndmask_b32_e32 v43, v44, v43, vcc
	s_nop 1
	v_mov_b32_dpp v44, v43 row_bcast:31 row_mask:0xf bank_mask:0xf
	s_and_saveexec_b64 s[30:31], s[0:1]
	s_cbranch_execz .LBB214_13
; %bb.12:                               ;   in Loop: Header=BB214_10 Depth=2
	v_cmp_gt_f32_e32 vcc, v43, v44
	v_cndmask_b32_e32 v43, v44, v43, vcc
	ds_write_b32 v36, v43
.LBB214_13:                             ;   in Loop: Header=BB214_10 Depth=2
	s_or_b64 exec, exec, s[30:31]
	s_waitcnt lgkmcnt(0)
	s_barrier
	ds_read_b32 v43, v37
	s_mov_b64 s[30:31], -1
                                        ; implicit-def: $sgpr34
	s_waitcnt lgkmcnt(0)
	v_mov_b32_dpp v44, v43 quad_perm:[1,0,3,2] row_mask:0xf bank_mask:0xf
	v_cmp_gt_f32_e32 vcc, v43, v44
	v_cndmask_b32_e32 v43, v44, v43, vcc
	s_and_b64 vcc, exec, s[10:11]
	s_nop 0
	v_mov_b32_dpp v44, v43 quad_perm:[2,3,0,1] row_mask:0xf bank_mask:0xf
	s_cbranch_vccz .LBB214_15
; %bb.14:                               ;   in Loop: Header=BB214_10 Depth=2
	s_mul_i32 s30, s35, s17
	s_add_i32 s34, s30, s41
	s_mov_b64 s[30:31], 0
.LBB214_15:                             ;   in Loop: Header=BB214_10 Depth=2
	s_andn2_b64 vcc, exec, s[30:31]
	s_cbranch_vccnz .LBB214_17
; %bb.16:                               ;   in Loop: Header=BB214_10 Depth=2
	s_mul_i32 s30, s41, s13
	s_add_i32 s34, s30, s35
.LBB214_17:                             ;   in Loop: Header=BB214_10 Depth=2
	v_cmp_gt_f32_e32 vcc, v43, v44
	v_cndmask_b32_e32 v43, v44, v43, vcc
	v_mul_f32_e32 v43, 0x3b124925, v43
	s_and_saveexec_b64 s[30:31], s[2:3]
	s_cbranch_execz .LBB214_19
; %bb.18:                               ;   in Loop: Header=BB214_10 Depth=2
	s_ashr_i32 s35, s34, 31
	s_lshl_b64 s[44:45], s[34:35], 2
	s_add_u32 s44, s22, s44
	s_addc_u32 s45, s23, s45
	global_store_dword v38, v43, s[44:45]
.LBB214_19:                             ;   in Loop: Header=BB214_10 Depth=2
	s_or_b64 exec, exec, s[30:31]
	s_and_saveexec_b64 s[30:31], s[4:5]
	s_cbranch_execz .LBB214_8
; %bb.20:                               ;   in Loop: Header=BB214_10 Depth=2
	v_rcp_f32_e32 v44, v43
	s_mul_hi_i32 s35, s34, s16
	s_mul_i32 s34, s34, s16
	s_add_u32 s52, s20, s34
	v_mov_b32_e32 v45, v44
	;;#ASMSTART
	v_pk_mul_f32 v[30:31], v[30:31], v[44:45]
	;;#ASMEND
	;;#ASMSTART
	v_med3_f32 v30, v30, v39, v40
v_med3_f32 v31, v31, v39, v40
v_cvt_pk_fp8_f32 v43, v30, v31
	;;#ASMEND
	;;#ASMSTART
	v_pk_mul_f32 v[28:29], v[28:29], v[44:45]
	;;#ASMEND
	;;#ASMSTART
	v_med3_f32 v28, v28, v39, v40
v_med3_f32 v29, v29, v39, v40
v_cvt_pk_fp8_f32 v30, v28, v29
	;;#ASMEND
	;; [unrolled: 8-line block ×6, first 2 shown]
	;;#ASMSTART
	v_pk_mul_f32 v[18:19], v[18:19], v[44:45]
	;;#ASMEND
	s_addc_u32 s34, s21, s35
	v_perm_b32 v28, v30, v43, s56
	;;#ASMSTART
	v_med3_f32 v18, v18, v39, v40
v_med3_f32 v19, v19, v39, v40
v_cvt_pk_fp8_f32 v20, v18, v19
	;;#ASMEND
	;;#ASMSTART
	v_pk_mul_f32 v[16:17], v[16:17], v[44:45]
	;;#ASMEND
	s_and_b32 s53, s34, 0xffff
	s_mov_b32 s55, s51
	v_perm_b32 v28, v28, v30, s57
	v_perm_b32 v29, v29, v26, s58
	;; [unrolled: 1-line block ×3, first 2 shown]
	;;#ASMSTART
	v_med3_f32 v16, v16, v39, v40
v_med3_f32 v17, v17, v39, v40
v_cvt_pk_fp8_f32 v18, v16, v17
	;;#ASMEND
	v_perm_b32 v31, v20, v18, s58
	buffer_store_dwordx4 v[28:31], v33, s[52:55], 0 offen
	;;#ASMSTART
	s_nop 0
	;;#ASMEND
	s_branch .LBB214_8
.LBB214_21:
	s_endpgm
	.section	.rodata,"a",@progbits
	.p2align	6, 0x0
	.amdhsa_kernel _ZN5aiter43moe_smooth_per_token_scaled_quant_kernel_v2IDF16_DB8_Li256ELi16EEEvPT0_PfPT_S4_PiS7_S7_iiiiiiiiiibb
		.amdhsa_group_segment_fixed_size 16
		.amdhsa_private_segment_fixed_size 0
		.amdhsa_kernarg_size 100
		.amdhsa_user_sgpr_count 6
		.amdhsa_user_sgpr_private_segment_buffer 1
		.amdhsa_user_sgpr_dispatch_ptr 0
		.amdhsa_user_sgpr_queue_ptr 0
		.amdhsa_user_sgpr_kernarg_segment_ptr 1
		.amdhsa_user_sgpr_dispatch_id 0
		.amdhsa_user_sgpr_flat_scratch_init 0
		.amdhsa_user_sgpr_kernarg_preload_length 0
		.amdhsa_user_sgpr_kernarg_preload_offset 0
		.amdhsa_user_sgpr_private_segment_size 0
		.amdhsa_uses_dynamic_stack 0
		.amdhsa_system_sgpr_private_segment_wavefront_offset 0
		.amdhsa_system_sgpr_workgroup_id_x 1
		.amdhsa_system_sgpr_workgroup_id_y 0
		.amdhsa_system_sgpr_workgroup_id_z 0
		.amdhsa_system_sgpr_workgroup_info 0
		.amdhsa_system_vgpr_workitem_id 0
		.amdhsa_next_free_vgpr 50
		.amdhsa_next_free_sgpr 59
		.amdhsa_accum_offset 52
		.amdhsa_reserve_vcc 1
		.amdhsa_reserve_flat_scratch 0
		.amdhsa_float_round_mode_32 0
		.amdhsa_float_round_mode_16_64 0
		.amdhsa_float_denorm_mode_32 3
		.amdhsa_float_denorm_mode_16_64 3
		.amdhsa_dx10_clamp 1
		.amdhsa_ieee_mode 1
		.amdhsa_fp16_overflow 0
		.amdhsa_tg_split 0
		.amdhsa_exception_fp_ieee_invalid_op 0
		.amdhsa_exception_fp_denorm_src 0
		.amdhsa_exception_fp_ieee_div_zero 0
		.amdhsa_exception_fp_ieee_overflow 0
		.amdhsa_exception_fp_ieee_underflow 0
		.amdhsa_exception_fp_ieee_inexact 0
		.amdhsa_exception_int_div_zero 0
	.end_amdhsa_kernel
	.section	.text._ZN5aiter43moe_smooth_per_token_scaled_quant_kernel_v2IDF16_DB8_Li256ELi16EEEvPT0_PfPT_S4_PiS7_S7_iiiiiiiiiibb,"axG",@progbits,_ZN5aiter43moe_smooth_per_token_scaled_quant_kernel_v2IDF16_DB8_Li256ELi16EEEvPT0_PfPT_S4_PiS7_S7_iiiiiiiiiibb,comdat
.Lfunc_end214:
	.size	_ZN5aiter43moe_smooth_per_token_scaled_quant_kernel_v2IDF16_DB8_Li256ELi16EEEvPT0_PfPT_S4_PiS7_S7_iiiiiiiiiibb, .Lfunc_end214-_ZN5aiter43moe_smooth_per_token_scaled_quant_kernel_v2IDF16_DB8_Li256ELi16EEEvPT0_PfPT_S4_PiS7_S7_iiiiiiiiiibb
                                        ; -- End function
	.section	.AMDGPU.csdata,"",@progbits
; Kernel info:
; codeLenInByte = 1496
; NumSgprs: 63
; NumVgprs: 50
; NumAgprs: 0
; TotalNumVgprs: 50
; ScratchSize: 0
; MemoryBound: 0
; FloatMode: 240
; IeeeMode: 1
; LDSByteSize: 16 bytes/workgroup (compile time only)
; SGPRBlocks: 7
; VGPRBlocks: 6
; NumSGPRsForWavesPerEU: 63
; NumVGPRsForWavesPerEU: 50
; AccumOffset: 52
; Occupancy: 8
; WaveLimiterHint : 0
; COMPUTE_PGM_RSRC2:SCRATCH_EN: 0
; COMPUTE_PGM_RSRC2:USER_SGPR: 6
; COMPUTE_PGM_RSRC2:TRAP_HANDLER: 0
; COMPUTE_PGM_RSRC2:TGID_X_EN: 1
; COMPUTE_PGM_RSRC2:TGID_Y_EN: 0
; COMPUTE_PGM_RSRC2:TGID_Z_EN: 0
; COMPUTE_PGM_RSRC2:TIDIG_COMP_CNT: 0
; COMPUTE_PGM_RSRC3_GFX90A:ACCUM_OFFSET: 12
; COMPUTE_PGM_RSRC3_GFX90A:TG_SPLIT: 0
	.section	.text._ZN5aiter43moe_smooth_per_token_scaled_quant_kernel_v2ItDB8_Li256ELi16EEEvPT0_PfPT_S4_PiS7_S7_iiiiiiiiiibb,"axG",@progbits,_ZN5aiter43moe_smooth_per_token_scaled_quant_kernel_v2ItDB8_Li256ELi16EEEvPT0_PfPT_S4_PiS7_S7_iiiiiiiiiibb,comdat
	.protected	_ZN5aiter43moe_smooth_per_token_scaled_quant_kernel_v2ItDB8_Li256ELi16EEEvPT0_PfPT_S4_PiS7_S7_iiiiiiiiiibb ; -- Begin function _ZN5aiter43moe_smooth_per_token_scaled_quant_kernel_v2ItDB8_Li256ELi16EEEvPT0_PfPT_S4_PiS7_S7_iiiiiiiiiibb
	.globl	_ZN5aiter43moe_smooth_per_token_scaled_quant_kernel_v2ItDB8_Li256ELi16EEEvPT0_PfPT_S4_PiS7_S7_iiiiiiiiiibb
	.p2align	8
	.type	_ZN5aiter43moe_smooth_per_token_scaled_quant_kernel_v2ItDB8_Li256ELi16EEEvPT0_PfPT_S4_PiS7_S7_iiiiiiiiiibb,@function
_ZN5aiter43moe_smooth_per_token_scaled_quant_kernel_v2ItDB8_Li256ELi16EEEvPT0_PfPT_S4_PiS7_S7_iiiiiiiiiibb: ; @_ZN5aiter43moe_smooth_per_token_scaled_quant_kernel_v2ItDB8_Li256ELi16EEEvPT0_PfPT_S4_PiS7_S7_iiiiiiiiiibb
; %bb.0:
	s_load_dwordx8 s[12:19], s[4:5], 0x38
	s_waitcnt lgkmcnt(0)
	s_cmp_ge_i32 s6, s14
	s_cbranch_scc1 .LBB215_21
; %bb.1:
	s_load_dwordx4 s[28:31], s[4:5], 0x58
	s_load_dwordx2 s[0:1], s[4:5], 0x30
	s_load_dwordx4 s[36:39], s[4:5], 0x20
	s_load_dwordx8 s[20:27], s[4:5], 0x0
	v_and_b32_e32 v1, 63, v0
	s_waitcnt lgkmcnt(0)
	s_bitcmp1_b32 s30, 8
	s_load_dword s7, s[0:1], 0x0
	s_cselect_b64 s[0:1], -1, 0
	s_ashr_i32 s18, s18, s19
	s_xor_b64 s[10:11], s[0:1], -1
	s_lshl_b32 s42, s18, 2
	s_lshl_b32 s46, s16, 2
	s_cmp_gt_i32 s18, 0
	s_cselect_b64 s[8:9], -1, 0
	s_add_i32 s4, s16, 15
	s_ashr_i32 s5, s4, 31
	s_lshr_b32 s5, s5, 28
	s_add_i32 s30, s16, 3
	s_add_i32 s4, s4, s5
	s_ashr_i32 s31, s30, 31
	v_lshlrev_b32_e32 v32, 2, v1
	v_cmp_eq_u32_e64 s[0:1], 63, v1
	v_lshrrev_b32_e32 v1, 4, v0
	s_ashr_i32 s4, s4, 4
	s_lshr_b32 s31, s31, 30
	v_lshlrev_b32_e32 v33, 4, v0
	v_lshlrev_b32_e32 v34, 6, v0
	;; [unrolled: 1-line block ×3, first 2 shown]
	v_and_b32_e32 v36, 60, v1
	v_and_b32_e32 v1, 3, v0
	v_cmp_eq_u32_e64 s[2:3], 0, v0
	v_cmp_gt_u32_e64 s[4:5], s4, v0
	s_add_i32 s30, s30, s31
	v_cndmask_b32_e64 v0, 0, 1, s[8:9]
	s_lshl_b32 s50, s16, 1
	v_lshlrev_b32_e32 v37, 2, v1
	s_and_b32 s54, s30, -4
	s_mov_b32 s51, 0x20000
	s_mov_b32 s33, 0x2edbe6ff
	v_mov_b32_e32 v38, 0
	v_mov_b32_e32 v39, 0xc3e00000
	;; [unrolled: 1-line block ×3, first 2 shown]
	s_mov_b32 s56, 0x5040100
	s_mov_b32 s57, 0x1060504
	;; [unrolled: 1-line block ×3, first 2 shown]
	v_cmp_ne_u32_e64 s[8:9], 1, v0
	s_branch .LBB215_4
.LBB215_2:                              ;   in Loop: Header=BB215_4 Depth=1
	s_mov_b64 s[34:35], -1
.LBB215_3:                              ;   in Loop: Header=BB215_4 Depth=1
	s_add_i32 s6, s6, s15
	s_cmp_lt_i32 s6, s14
	s_cselect_b64 s[30:31], -1, 0
	s_and_b64 s[30:31], s[34:35], s[30:31]
	s_and_b64 vcc, exec, s[30:31]
	s_cbranch_vccz .LBB215_21
.LBB215_4:                              ; =>This Loop Header: Depth=1
                                        ;     Child Loop BB215_10 Depth 2
	s_mul_i32 s30, s6, s18
	s_waitcnt lgkmcnt(0)
	s_cmp_ge_i32 s30, s7
	s_mov_b64 s[34:35], 0
	s_cbranch_scc1 .LBB215_3
; %bb.5:                                ;   in Loop: Header=BB215_4 Depth=1
	s_ashr_i32 s34, s6, s19
	s_ashr_i32 s35, s34, 31
	s_lshl_b64 s[34:35], s[34:35], 2
	s_add_u32 s34, s38, s34
	s_addc_u32 s35, s39, s35
	s_load_dword s44, s[34:35], 0x0
	s_mov_b64 s[34:35], 0
	s_waitcnt lgkmcnt(0)
	s_cmp_ge_i32 s44, s12
	s_cbranch_scc1 .LBB215_3
; %bb.6:                                ;   in Loop: Header=BB215_4 Depth=1
	s_and_b64 vcc, exec, s[8:9]
	s_cbranch_vccnz .LBB215_2
; %bb.7:                                ;   in Loop: Header=BB215_4 Depth=1
	s_ashr_i32 s31, s30, 31
	s_lshl_b64 s[30:31], s[30:31], 2
	s_add_u32 s40, s36, s30
	s_addc_u32 s30, s37, s31
	s_and_b32 s41, s30, 0xffff
	s_mul_i32 s30, s44, s16
	s_ashr_i32 s31, s30, 31
	s_lshl_b64 s[30:31], s[30:31], 2
	s_add_u32 s44, s26, s30
	s_addc_u32 s30, s27, s31
	s_mov_b32 s43, s51
	s_and_b32 s45, s30, 0xffff
	s_mov_b32 s47, s51
	buffer_load_dword v16, v32, s[40:43], 0 offen
	buffer_load_dwordx4 v[0:3], v34, s[44:47], 48 offen
	buffer_load_dwordx4 v[4:7], v34, s[44:47], 32 offen
	;; [unrolled: 1-line block ×4, first 2 shown]
	s_mov_b32 s40, 0
	s_waitcnt vmcnt(4)
	v_and_b32_e32 v41, 0xffffff, v16
	v_ashrrev_i32_e32 v42, 24, v16
	s_branch .LBB215_10
.LBB215_8:                              ;   in Loop: Header=BB215_10 Depth=2
	s_or_b64 exec, exec, s[30:31]
	s_add_i32 s40, s40, 1
	s_cmp_eq_u32 s18, s40
	s_cselect_b64 s[30:31], -1, 0
.LBB215_9:                              ;   in Loop: Header=BB215_10 Depth=2
	s_and_b64 vcc, exec, s[30:31]
	s_cbranch_vccnz .LBB215_2
.LBB215_10:                             ;   Parent Loop BB215_4 Depth=1
                                        ; =>  This Inner Loop Header: Depth=2
	v_readlane_b32 s35, v41, s40
	v_readlane_b32 s41, v42, s40
	s_cmp_ge_i32 s35, s13
	s_mov_b64 s[30:31], -1
	s_cbranch_scc1 .LBB215_9
; %bb.11:                               ;   in Loop: Header=BB215_10 Depth=2
	s_mul_hi_i32 s31, s35, s28
	s_mul_i32 s30, s35, s28
	s_mul_i32 s44, s41, s29
	s_ashr_i32 s45, s44, 31
	s_lshl_b64 s[30:31], s[30:31], 1
	s_add_u32 s34, s24, s30
	s_addc_u32 s43, s25, s31
	s_lshl_b64 s[30:31], s[44:45], 1
	s_add_u32 s48, s34, s30
	s_addc_u32 s30, s43, s31
	s_and_b32 s49, s30, 0xffff
	buffer_load_dwordx4 v[16:19], v35, s[48:51], 0 offen
	buffer_load_dwordx4 v[20:23], v35, s[48:51], 16 offen
	s_waitcnt vmcnt(1)
	v_cvt_f32_u32_sdwa v25, v16 dst_sel:DWORD dst_unused:UNUSED_PAD src0_sel:WORD_1
	v_cvt_f32_u32_sdwa v24, v16 dst_sel:DWORD dst_unused:UNUSED_PAD src0_sel:WORD_0
	v_cvt_f32_u32_sdwa v27, v17 dst_sel:DWORD dst_unused:UNUSED_PAD src0_sel:WORD_1
	v_cvt_f32_u32_sdwa v26, v17 dst_sel:DWORD dst_unused:UNUSED_PAD src0_sel:WORD_0
	;; [unrolled: 2-line block ×4, first 2 shown]
	s_waitcnt vmcnt(0)
	v_cvt_f32_u32_sdwa v19, v20 dst_sel:DWORD dst_unused:UNUSED_PAD src0_sel:WORD_1
	v_cvt_f32_u32_sdwa v18, v20 dst_sel:DWORD dst_unused:UNUSED_PAD src0_sel:WORD_0
	v_pk_mul_f32 v[30:31], v[12:13], v[24:25]
	v_cvt_f32_u32_sdwa v47, v21 dst_sel:DWORD dst_unused:UNUSED_PAD src0_sel:WORD_1
	v_cvt_f32_u32_sdwa v46, v21 dst_sel:DWORD dst_unused:UNUSED_PAD src0_sel:WORD_0
	v_pk_mul_f32 v[28:29], v[14:15], v[26:27]
	v_max3_f32 v43, |v30|, s33, |v31|
	v_cvt_f32_u32_sdwa v49, v22 dst_sel:DWORD dst_unused:UNUSED_PAD src0_sel:WORD_1
	v_cvt_f32_u32_sdwa v48, v22 dst_sel:DWORD dst_unused:UNUSED_PAD src0_sel:WORD_0
	v_pk_mul_f32 v[26:27], v[8:9], v[16:17]
	v_max3_f32 v43, v43, |v28|, |v29|
	v_cvt_f32_u32_sdwa v51, v23 dst_sel:DWORD dst_unused:UNUSED_PAD src0_sel:WORD_1
	v_cvt_f32_u32_sdwa v50, v23 dst_sel:DWORD dst_unused:UNUSED_PAD src0_sel:WORD_0
	v_pk_mul_f32 v[24:25], v[10:11], v[44:45]
	v_max3_f32 v43, v43, |v26|, |v27|
	v_pk_mul_f32 v[22:23], v[4:5], v[18:19]
	v_max3_f32 v43, v43, |v24|, |v25|
	;; [unrolled: 2-line block ×5, first 2 shown]
	v_max3_f32 v43, v43, |v16|, |v17|
	s_nop 1
	v_mov_b32_dpp v44, v43 quad_perm:[1,0,3,2] row_mask:0xf bank_mask:0xf
	v_cmp_gt_f32_e32 vcc, v43, v44
	v_cndmask_b32_e32 v43, v44, v43, vcc
	s_nop 1
	v_mov_b32_dpp v44, v43 quad_perm:[2,3,0,1] row_mask:0xf bank_mask:0xf
	v_cmp_gt_f32_e32 vcc, v43, v44
	v_cndmask_b32_e32 v43, v44, v43, vcc
	s_nop 1
	v_mov_b32_dpp v44, v43 row_half_mirror row_mask:0xf bank_mask:0xf
	v_cmp_gt_f32_e32 vcc, v43, v44
	v_cndmask_b32_e32 v43, v44, v43, vcc
	s_nop 1
	v_mov_b32_dpp v44, v43 row_mirror row_mask:0xf bank_mask:0xf
	v_cmp_gt_f32_e32 vcc, v43, v44
	v_cndmask_b32_e32 v43, v44, v43, vcc
	s_nop 1
	v_mov_b32_dpp v44, v43 row_bcast:15 row_mask:0xf bank_mask:0xf
	v_cmp_gt_f32_e32 vcc, v43, v44
	v_cndmask_b32_e32 v43, v44, v43, vcc
	s_nop 1
	v_mov_b32_dpp v44, v43 row_bcast:31 row_mask:0xf bank_mask:0xf
	s_and_saveexec_b64 s[30:31], s[0:1]
	s_cbranch_execz .LBB215_13
; %bb.12:                               ;   in Loop: Header=BB215_10 Depth=2
	v_cmp_gt_f32_e32 vcc, v43, v44
	v_cndmask_b32_e32 v43, v44, v43, vcc
	ds_write_b32 v36, v43
.LBB215_13:                             ;   in Loop: Header=BB215_10 Depth=2
	s_or_b64 exec, exec, s[30:31]
	s_waitcnt lgkmcnt(0)
	s_barrier
	ds_read_b32 v43, v37
	s_mov_b64 s[30:31], -1
                                        ; implicit-def: $sgpr34
	s_waitcnt lgkmcnt(0)
	v_mov_b32_dpp v44, v43 quad_perm:[1,0,3,2] row_mask:0xf bank_mask:0xf
	v_cmp_gt_f32_e32 vcc, v43, v44
	v_cndmask_b32_e32 v43, v44, v43, vcc
	s_and_b64 vcc, exec, s[10:11]
	s_nop 0
	v_mov_b32_dpp v44, v43 quad_perm:[2,3,0,1] row_mask:0xf bank_mask:0xf
	s_cbranch_vccz .LBB215_15
; %bb.14:                               ;   in Loop: Header=BB215_10 Depth=2
	s_mul_i32 s30, s35, s17
	s_add_i32 s34, s30, s41
	s_mov_b64 s[30:31], 0
.LBB215_15:                             ;   in Loop: Header=BB215_10 Depth=2
	s_andn2_b64 vcc, exec, s[30:31]
	s_cbranch_vccnz .LBB215_17
; %bb.16:                               ;   in Loop: Header=BB215_10 Depth=2
	s_mul_i32 s30, s41, s13
	s_add_i32 s34, s30, s35
.LBB215_17:                             ;   in Loop: Header=BB215_10 Depth=2
	v_cmp_gt_f32_e32 vcc, v43, v44
	v_cndmask_b32_e32 v43, v44, v43, vcc
	v_mul_f32_e32 v43, 0x3b124925, v43
	s_and_saveexec_b64 s[30:31], s[2:3]
	s_cbranch_execz .LBB215_19
; %bb.18:                               ;   in Loop: Header=BB215_10 Depth=2
	s_ashr_i32 s35, s34, 31
	s_lshl_b64 s[44:45], s[34:35], 2
	s_add_u32 s44, s22, s44
	s_addc_u32 s45, s23, s45
	global_store_dword v38, v43, s[44:45]
.LBB215_19:                             ;   in Loop: Header=BB215_10 Depth=2
	s_or_b64 exec, exec, s[30:31]
	s_and_saveexec_b64 s[30:31], s[4:5]
	s_cbranch_execz .LBB215_8
; %bb.20:                               ;   in Loop: Header=BB215_10 Depth=2
	v_rcp_f32_e32 v44, v43
	s_mul_hi_i32 s35, s34, s16
	s_mul_i32 s34, s34, s16
	s_add_u32 s52, s20, s34
	v_mov_b32_e32 v45, v44
	;;#ASMSTART
	v_pk_mul_f32 v[30:31], v[30:31], v[44:45]
	;;#ASMEND
	;;#ASMSTART
	v_med3_f32 v30, v30, v39, v40
v_med3_f32 v31, v31, v39, v40
v_cvt_pk_fp8_f32 v43, v30, v31
	;;#ASMEND
	;;#ASMSTART
	v_pk_mul_f32 v[28:29], v[28:29], v[44:45]
	;;#ASMEND
	;;#ASMSTART
	v_med3_f32 v28, v28, v39, v40
v_med3_f32 v29, v29, v39, v40
v_cvt_pk_fp8_f32 v30, v28, v29
	;;#ASMEND
	;; [unrolled: 8-line block ×6, first 2 shown]
	;;#ASMSTART
	v_pk_mul_f32 v[18:19], v[18:19], v[44:45]
	;;#ASMEND
	s_addc_u32 s34, s21, s35
	v_perm_b32 v28, v30, v43, s56
	;;#ASMSTART
	v_med3_f32 v18, v18, v39, v40
v_med3_f32 v19, v19, v39, v40
v_cvt_pk_fp8_f32 v20, v18, v19
	;;#ASMEND
	;;#ASMSTART
	v_pk_mul_f32 v[16:17], v[16:17], v[44:45]
	;;#ASMEND
	s_and_b32 s53, s34, 0xffff
	s_mov_b32 s55, s51
	v_perm_b32 v28, v28, v30, s57
	v_perm_b32 v29, v29, v26, s58
	;; [unrolled: 1-line block ×3, first 2 shown]
	;;#ASMSTART
	v_med3_f32 v16, v16, v39, v40
v_med3_f32 v17, v17, v39, v40
v_cvt_pk_fp8_f32 v18, v16, v17
	;;#ASMEND
	v_perm_b32 v31, v20, v18, s58
	buffer_store_dwordx4 v[28:31], v33, s[52:55], 0 offen
	;;#ASMSTART
	s_nop 0
	;;#ASMEND
	s_branch .LBB215_8
.LBB215_21:
	s_endpgm
	.section	.rodata,"a",@progbits
	.p2align	6, 0x0
	.amdhsa_kernel _ZN5aiter43moe_smooth_per_token_scaled_quant_kernel_v2ItDB8_Li256ELi16EEEvPT0_PfPT_S4_PiS7_S7_iiiiiiiiiibb
		.amdhsa_group_segment_fixed_size 16
		.amdhsa_private_segment_fixed_size 0
		.amdhsa_kernarg_size 100
		.amdhsa_user_sgpr_count 6
		.amdhsa_user_sgpr_private_segment_buffer 1
		.amdhsa_user_sgpr_dispatch_ptr 0
		.amdhsa_user_sgpr_queue_ptr 0
		.amdhsa_user_sgpr_kernarg_segment_ptr 1
		.amdhsa_user_sgpr_dispatch_id 0
		.amdhsa_user_sgpr_flat_scratch_init 0
		.amdhsa_user_sgpr_kernarg_preload_length 0
		.amdhsa_user_sgpr_kernarg_preload_offset 0
		.amdhsa_user_sgpr_private_segment_size 0
		.amdhsa_uses_dynamic_stack 0
		.amdhsa_system_sgpr_private_segment_wavefront_offset 0
		.amdhsa_system_sgpr_workgroup_id_x 1
		.amdhsa_system_sgpr_workgroup_id_y 0
		.amdhsa_system_sgpr_workgroup_id_z 0
		.amdhsa_system_sgpr_workgroup_info 0
		.amdhsa_system_vgpr_workitem_id 0
		.amdhsa_next_free_vgpr 52
		.amdhsa_next_free_sgpr 59
		.amdhsa_accum_offset 52
		.amdhsa_reserve_vcc 1
		.amdhsa_reserve_flat_scratch 0
		.amdhsa_float_round_mode_32 0
		.amdhsa_float_round_mode_16_64 0
		.amdhsa_float_denorm_mode_32 3
		.amdhsa_float_denorm_mode_16_64 3
		.amdhsa_dx10_clamp 1
		.amdhsa_ieee_mode 1
		.amdhsa_fp16_overflow 0
		.amdhsa_tg_split 0
		.amdhsa_exception_fp_ieee_invalid_op 0
		.amdhsa_exception_fp_denorm_src 0
		.amdhsa_exception_fp_ieee_div_zero 0
		.amdhsa_exception_fp_ieee_overflow 0
		.amdhsa_exception_fp_ieee_underflow 0
		.amdhsa_exception_fp_ieee_inexact 0
		.amdhsa_exception_int_div_zero 0
	.end_amdhsa_kernel
	.section	.text._ZN5aiter43moe_smooth_per_token_scaled_quant_kernel_v2ItDB8_Li256ELi16EEEvPT0_PfPT_S4_PiS7_S7_iiiiiiiiiibb,"axG",@progbits,_ZN5aiter43moe_smooth_per_token_scaled_quant_kernel_v2ItDB8_Li256ELi16EEEvPT0_PfPT_S4_PiS7_S7_iiiiiiiiiibb,comdat
.Lfunc_end215:
	.size	_ZN5aiter43moe_smooth_per_token_scaled_quant_kernel_v2ItDB8_Li256ELi16EEEvPT0_PfPT_S4_PiS7_S7_iiiiiiiiiibb, .Lfunc_end215-_ZN5aiter43moe_smooth_per_token_scaled_quant_kernel_v2ItDB8_Li256ELi16EEEvPT0_PfPT_S4_PiS7_S7_iiiiiiiiiibb
                                        ; -- End function
	.section	.AMDGPU.csdata,"",@progbits
; Kernel info:
; codeLenInByte = 1528
; NumSgprs: 63
; NumVgprs: 52
; NumAgprs: 0
; TotalNumVgprs: 52
; ScratchSize: 0
; MemoryBound: 0
; FloatMode: 240
; IeeeMode: 1
; LDSByteSize: 16 bytes/workgroup (compile time only)
; SGPRBlocks: 7
; VGPRBlocks: 6
; NumSGPRsForWavesPerEU: 63
; NumVGPRsForWavesPerEU: 52
; AccumOffset: 52
; Occupancy: 8
; WaveLimiterHint : 0
; COMPUTE_PGM_RSRC2:SCRATCH_EN: 0
; COMPUTE_PGM_RSRC2:USER_SGPR: 6
; COMPUTE_PGM_RSRC2:TRAP_HANDLER: 0
; COMPUTE_PGM_RSRC2:TGID_X_EN: 1
; COMPUTE_PGM_RSRC2:TGID_Y_EN: 0
; COMPUTE_PGM_RSRC2:TGID_Z_EN: 0
; COMPUTE_PGM_RSRC2:TIDIG_COMP_CNT: 0
; COMPUTE_PGM_RSRC3_GFX90A:ACCUM_OFFSET: 12
; COMPUTE_PGM_RSRC3_GFX90A:TG_SPLIT: 0
	.section	.text._ZN5aiter43moe_smooth_per_token_scaled_quant_kernel_v2IDF16_DB8_Li512ELi16EEEvPT0_PfPT_S4_PiS7_S7_iiiiiiiiiibb,"axG",@progbits,_ZN5aiter43moe_smooth_per_token_scaled_quant_kernel_v2IDF16_DB8_Li512ELi16EEEvPT0_PfPT_S4_PiS7_S7_iiiiiiiiiibb,comdat
	.protected	_ZN5aiter43moe_smooth_per_token_scaled_quant_kernel_v2IDF16_DB8_Li512ELi16EEEvPT0_PfPT_S4_PiS7_S7_iiiiiiiiiibb ; -- Begin function _ZN5aiter43moe_smooth_per_token_scaled_quant_kernel_v2IDF16_DB8_Li512ELi16EEEvPT0_PfPT_S4_PiS7_S7_iiiiiiiiiibb
	.globl	_ZN5aiter43moe_smooth_per_token_scaled_quant_kernel_v2IDF16_DB8_Li512ELi16EEEvPT0_PfPT_S4_PiS7_S7_iiiiiiiiiibb
	.p2align	8
	.type	_ZN5aiter43moe_smooth_per_token_scaled_quant_kernel_v2IDF16_DB8_Li512ELi16EEEvPT0_PfPT_S4_PiS7_S7_iiiiiiiiiibb,@function
_ZN5aiter43moe_smooth_per_token_scaled_quant_kernel_v2IDF16_DB8_Li512ELi16EEEvPT0_PfPT_S4_PiS7_S7_iiiiiiiiiibb: ; @_ZN5aiter43moe_smooth_per_token_scaled_quant_kernel_v2IDF16_DB8_Li512ELi16EEEvPT0_PfPT_S4_PiS7_S7_iiiiiiiiiibb
; %bb.0:
	s_load_dwordx8 s[12:19], s[4:5], 0x38
	s_waitcnt lgkmcnt(0)
	s_cmp_ge_i32 s6, s14
	s_cbranch_scc1 .LBB216_21
; %bb.1:
	s_load_dwordx4 s[28:31], s[4:5], 0x58
	s_load_dwordx2 s[0:1], s[4:5], 0x30
	s_load_dwordx4 s[36:39], s[4:5], 0x20
	s_load_dwordx8 s[20:27], s[4:5], 0x0
	v_and_b32_e32 v1, 63, v0
	s_waitcnt lgkmcnt(0)
	s_bitcmp1_b32 s30, 8
	s_load_dword s7, s[0:1], 0x0
	s_cselect_b64 s[0:1], -1, 0
	s_ashr_i32 s18, s18, s19
	s_xor_b64 s[10:11], s[0:1], -1
	s_lshl_b32 s42, s18, 2
	s_lshl_b32 s46, s16, 2
	s_cmp_gt_i32 s18, 0
	s_cselect_b64 s[8:9], -1, 0
	s_add_i32 s4, s16, 15
	s_ashr_i32 s5, s4, 31
	s_lshr_b32 s5, s5, 28
	s_add_i32 s30, s16, 3
	s_add_i32 s4, s4, s5
	s_ashr_i32 s31, s30, 31
	v_lshlrev_b32_e32 v32, 2, v1
	v_cmp_eq_u32_e64 s[0:1], 63, v1
	v_lshrrev_b32_e32 v1, 4, v0
	s_ashr_i32 s4, s4, 4
	s_lshr_b32 s31, s31, 30
	v_lshlrev_b32_e32 v33, 4, v0
	v_lshlrev_b32_e32 v34, 6, v0
	;; [unrolled: 1-line block ×3, first 2 shown]
	v_and_b32_e32 v36, 60, v1
	v_and_b32_e32 v1, 7, v0
	v_cmp_eq_u32_e64 s[2:3], 0, v0
	v_cmp_gt_u32_e64 s[4:5], s4, v0
	s_add_i32 s30, s30, s31
	v_cndmask_b32_e64 v0, 0, 1, s[8:9]
	s_lshl_b32 s50, s16, 1
	v_lshlrev_b32_e32 v37, 2, v1
	s_and_b32 s54, s30, -4
	s_mov_b32 s51, 0x20000
	s_mov_b32 s33, 0x2edbe6ff
	v_mov_b32_e32 v38, 0
	v_mov_b32_e32 v39, 0xc3e00000
	;; [unrolled: 1-line block ×3, first 2 shown]
	s_mov_b32 s56, 0x5040100
	s_mov_b32 s57, 0x1060504
	;; [unrolled: 1-line block ×3, first 2 shown]
	v_cmp_ne_u32_e64 s[8:9], 1, v0
	s_branch .LBB216_4
.LBB216_2:                              ;   in Loop: Header=BB216_4 Depth=1
	s_mov_b64 s[34:35], -1
.LBB216_3:                              ;   in Loop: Header=BB216_4 Depth=1
	s_add_i32 s6, s6, s15
	s_cmp_lt_i32 s6, s14
	s_cselect_b64 s[30:31], -1, 0
	s_and_b64 s[30:31], s[34:35], s[30:31]
	s_and_b64 vcc, exec, s[30:31]
	s_cbranch_vccz .LBB216_21
.LBB216_4:                              ; =>This Loop Header: Depth=1
                                        ;     Child Loop BB216_10 Depth 2
	s_mul_i32 s30, s6, s18
	s_waitcnt lgkmcnt(0)
	s_cmp_ge_i32 s30, s7
	s_mov_b64 s[34:35], 0
	s_cbranch_scc1 .LBB216_3
; %bb.5:                                ;   in Loop: Header=BB216_4 Depth=1
	s_ashr_i32 s34, s6, s19
	s_ashr_i32 s35, s34, 31
	s_lshl_b64 s[34:35], s[34:35], 2
	s_add_u32 s34, s38, s34
	s_addc_u32 s35, s39, s35
	s_load_dword s44, s[34:35], 0x0
	s_mov_b64 s[34:35], 0
	s_waitcnt lgkmcnt(0)
	s_cmp_ge_i32 s44, s12
	s_cbranch_scc1 .LBB216_3
; %bb.6:                                ;   in Loop: Header=BB216_4 Depth=1
	s_and_b64 vcc, exec, s[8:9]
	s_cbranch_vccnz .LBB216_2
; %bb.7:                                ;   in Loop: Header=BB216_4 Depth=1
	s_ashr_i32 s31, s30, 31
	s_lshl_b64 s[30:31], s[30:31], 2
	s_add_u32 s40, s36, s30
	s_addc_u32 s30, s37, s31
	s_and_b32 s41, s30, 0xffff
	s_mul_i32 s30, s44, s16
	s_ashr_i32 s31, s30, 31
	s_lshl_b64 s[30:31], s[30:31], 2
	s_add_u32 s44, s26, s30
	s_addc_u32 s30, s27, s31
	s_mov_b32 s43, s51
	s_and_b32 s45, s30, 0xffff
	s_mov_b32 s47, s51
	buffer_load_dword v16, v32, s[40:43], 0 offen
	buffer_load_dwordx4 v[0:3], v34, s[44:47], 48 offen
	buffer_load_dwordx4 v[4:7], v34, s[44:47], 32 offen
	;; [unrolled: 1-line block ×4, first 2 shown]
	s_mov_b32 s40, 0
	s_waitcnt vmcnt(4)
	v_and_b32_e32 v41, 0xffffff, v16
	v_ashrrev_i32_e32 v42, 24, v16
	s_branch .LBB216_10
.LBB216_8:                              ;   in Loop: Header=BB216_10 Depth=2
	s_or_b64 exec, exec, s[30:31]
	s_add_i32 s40, s40, 1
	s_cmp_eq_u32 s18, s40
	s_cselect_b64 s[30:31], -1, 0
.LBB216_9:                              ;   in Loop: Header=BB216_10 Depth=2
	s_and_b64 vcc, exec, s[30:31]
	s_cbranch_vccnz .LBB216_2
.LBB216_10:                             ;   Parent Loop BB216_4 Depth=1
                                        ; =>  This Inner Loop Header: Depth=2
	v_readlane_b32 s35, v41, s40
	v_readlane_b32 s41, v42, s40
	s_cmp_ge_i32 s35, s13
	s_mov_b64 s[30:31], -1
	s_cbranch_scc1 .LBB216_9
; %bb.11:                               ;   in Loop: Header=BB216_10 Depth=2
	s_mul_hi_i32 s31, s35, s28
	s_mul_i32 s30, s35, s28
	s_mul_i32 s44, s41, s29
	s_ashr_i32 s45, s44, 31
	s_lshl_b64 s[30:31], s[30:31], 1
	s_add_u32 s34, s24, s30
	s_addc_u32 s43, s25, s31
	s_lshl_b64 s[30:31], s[44:45], 1
	s_add_u32 s48, s34, s30
	s_addc_u32 s30, s43, s31
	s_and_b32 s49, s30, 0xffff
	buffer_load_dwordx4 v[16:19], v35, s[48:51], 0 offen
	buffer_load_dwordx4 v[20:23], v35, s[48:51], 16 offen
	s_waitcnt vmcnt(1)
	v_cvt_f32_f16_e32 v24, v16
	v_cvt_f32_f16_sdwa v25, v16 dst_sel:DWORD dst_unused:UNUSED_PAD src0_sel:WORD_1
	v_cvt_f32_f16_e32 v16, v17
	v_cvt_f32_f16_sdwa v17, v17 dst_sel:DWORD dst_unused:UNUSED_PAD src0_sel:WORD_1
	;; [unrolled: 2-line block ×4, first 2 shown]
	s_waitcnt vmcnt(0)
	v_cvt_f32_f16_e32 v44, v20
	v_cvt_f32_f16_sdwa v45, v20 dst_sel:DWORD dst_unused:UNUSED_PAD src0_sel:WORD_1
	v_pk_mul_f32 v[30:31], v[12:13], v[24:25]
	v_cvt_f32_f16_e32 v20, v21
	v_cvt_f32_f16_sdwa v21, v21 dst_sel:DWORD dst_unused:UNUSED_PAD src0_sel:WORD_1
	v_pk_mul_f32 v[28:29], v[14:15], v[16:17]
	v_max3_f32 v43, |v30|, s33, |v31|
	v_cvt_f32_f16_e32 v46, v22
	v_cvt_f32_f16_sdwa v47, v22 dst_sel:DWORD dst_unused:UNUSED_PAD src0_sel:WORD_1
	v_pk_mul_f32 v[26:27], v[8:9], v[26:27]
	v_max3_f32 v43, v43, |v28|, |v29|
	v_cvt_f32_f16_e32 v48, v23
	v_cvt_f32_f16_sdwa v49, v23 dst_sel:DWORD dst_unused:UNUSED_PAD src0_sel:WORD_1
	v_pk_mul_f32 v[24:25], v[10:11], v[18:19]
	v_max3_f32 v43, v43, |v26|, |v27|
	v_pk_mul_f32 v[22:23], v[4:5], v[44:45]
	v_max3_f32 v43, v43, |v24|, |v25|
	v_pk_mul_f32 v[20:21], v[6:7], v[20:21]
	v_max3_f32 v43, v43, |v22|, |v23|
	v_pk_mul_f32 v[18:19], v[0:1], v[46:47]
	v_max3_f32 v43, v43, |v20|, |v21|
	v_pk_mul_f32 v[16:17], v[2:3], v[48:49]
	v_max3_f32 v43, v43, |v18|, |v19|
	v_max3_f32 v43, v43, |v16|, |v17|
	s_nop 1
	v_mov_b32_dpp v44, v43 quad_perm:[1,0,3,2] row_mask:0xf bank_mask:0xf
	v_cmp_gt_f32_e32 vcc, v43, v44
	v_cndmask_b32_e32 v43, v44, v43, vcc
	s_nop 1
	v_mov_b32_dpp v44, v43 quad_perm:[2,3,0,1] row_mask:0xf bank_mask:0xf
	v_cmp_gt_f32_e32 vcc, v43, v44
	v_cndmask_b32_e32 v43, v44, v43, vcc
	s_nop 1
	v_mov_b32_dpp v44, v43 row_half_mirror row_mask:0xf bank_mask:0xf
	v_cmp_gt_f32_e32 vcc, v43, v44
	v_cndmask_b32_e32 v43, v44, v43, vcc
	s_nop 1
	v_mov_b32_dpp v44, v43 row_mirror row_mask:0xf bank_mask:0xf
	v_cmp_gt_f32_e32 vcc, v43, v44
	v_cndmask_b32_e32 v43, v44, v43, vcc
	s_nop 1
	v_mov_b32_dpp v44, v43 row_bcast:15 row_mask:0xf bank_mask:0xf
	v_cmp_gt_f32_e32 vcc, v43, v44
	v_cndmask_b32_e32 v43, v44, v43, vcc
	s_nop 1
	v_mov_b32_dpp v44, v43 row_bcast:31 row_mask:0xf bank_mask:0xf
	s_and_saveexec_b64 s[30:31], s[0:1]
	s_cbranch_execz .LBB216_13
; %bb.12:                               ;   in Loop: Header=BB216_10 Depth=2
	v_cmp_gt_f32_e32 vcc, v43, v44
	v_cndmask_b32_e32 v43, v44, v43, vcc
	ds_write_b32 v36, v43
.LBB216_13:                             ;   in Loop: Header=BB216_10 Depth=2
	s_or_b64 exec, exec, s[30:31]
	s_waitcnt lgkmcnt(0)
	s_barrier
	ds_read_b32 v43, v37
	s_mov_b64 s[30:31], -1
                                        ; implicit-def: $sgpr34
	s_waitcnt lgkmcnt(0)
	v_mov_b32_dpp v44, v43 quad_perm:[1,0,3,2] row_mask:0xf bank_mask:0xf
	v_cmp_gt_f32_e32 vcc, v43, v44
	v_cndmask_b32_e32 v43, v44, v43, vcc
	s_nop 1
	v_mov_b32_dpp v44, v43 quad_perm:[2,3,0,1] row_mask:0xf bank_mask:0xf
	v_cmp_gt_f32_e32 vcc, v43, v44
	v_cndmask_b32_e32 v43, v44, v43, vcc
	s_and_b64 vcc, exec, s[10:11]
	s_nop 0
	v_mov_b32_dpp v44, v43 row_half_mirror row_mask:0xf bank_mask:0xf
	s_cbranch_vccz .LBB216_15
; %bb.14:                               ;   in Loop: Header=BB216_10 Depth=2
	s_mul_i32 s30, s35, s17
	s_add_i32 s34, s30, s41
	s_mov_b64 s[30:31], 0
.LBB216_15:                             ;   in Loop: Header=BB216_10 Depth=2
	s_andn2_b64 vcc, exec, s[30:31]
	s_cbranch_vccnz .LBB216_17
; %bb.16:                               ;   in Loop: Header=BB216_10 Depth=2
	s_mul_i32 s30, s41, s13
	s_add_i32 s34, s30, s35
.LBB216_17:                             ;   in Loop: Header=BB216_10 Depth=2
	v_cmp_gt_f32_e32 vcc, v43, v44
	v_cndmask_b32_e32 v43, v44, v43, vcc
	v_mul_f32_e32 v43, 0x3b124925, v43
	s_and_saveexec_b64 s[30:31], s[2:3]
	s_cbranch_execz .LBB216_19
; %bb.18:                               ;   in Loop: Header=BB216_10 Depth=2
	s_ashr_i32 s35, s34, 31
	s_lshl_b64 s[44:45], s[34:35], 2
	s_add_u32 s44, s22, s44
	s_addc_u32 s45, s23, s45
	global_store_dword v38, v43, s[44:45]
.LBB216_19:                             ;   in Loop: Header=BB216_10 Depth=2
	s_or_b64 exec, exec, s[30:31]
	s_and_saveexec_b64 s[30:31], s[4:5]
	s_cbranch_execz .LBB216_8
; %bb.20:                               ;   in Loop: Header=BB216_10 Depth=2
	v_rcp_f32_e32 v44, v43
	s_mul_hi_i32 s35, s34, s16
	s_mul_i32 s34, s34, s16
	s_add_u32 s52, s20, s34
	v_mov_b32_e32 v45, v44
	;;#ASMSTART
	v_pk_mul_f32 v[30:31], v[30:31], v[44:45]
	;;#ASMEND
	;;#ASMSTART
	v_med3_f32 v30, v30, v39, v40
v_med3_f32 v31, v31, v39, v40
v_cvt_pk_fp8_f32 v43, v30, v31
	;;#ASMEND
	;;#ASMSTART
	v_pk_mul_f32 v[28:29], v[28:29], v[44:45]
	;;#ASMEND
	;;#ASMSTART
	v_med3_f32 v28, v28, v39, v40
v_med3_f32 v29, v29, v39, v40
v_cvt_pk_fp8_f32 v30, v28, v29
	;;#ASMEND
	;; [unrolled: 8-line block ×6, first 2 shown]
	;;#ASMSTART
	v_pk_mul_f32 v[18:19], v[18:19], v[44:45]
	;;#ASMEND
	s_addc_u32 s34, s21, s35
	v_perm_b32 v28, v30, v43, s56
	;;#ASMSTART
	v_med3_f32 v18, v18, v39, v40
v_med3_f32 v19, v19, v39, v40
v_cvt_pk_fp8_f32 v20, v18, v19
	;;#ASMEND
	;;#ASMSTART
	v_pk_mul_f32 v[16:17], v[16:17], v[44:45]
	;;#ASMEND
	s_and_b32 s53, s34, 0xffff
	s_mov_b32 s55, s51
	v_perm_b32 v28, v28, v30, s57
	v_perm_b32 v29, v29, v26, s58
	v_perm_b32 v30, v24, v22, s58
	;;#ASMSTART
	v_med3_f32 v16, v16, v39, v40
v_med3_f32 v17, v17, v39, v40
v_cvt_pk_fp8_f32 v18, v16, v17
	;;#ASMEND
	v_perm_b32 v31, v20, v18, s58
	buffer_store_dwordx4 v[28:31], v33, s[52:55], 0 offen
	;;#ASMSTART
	s_nop 0
	;;#ASMEND
	s_branch .LBB216_8
.LBB216_21:
	s_endpgm
	.section	.rodata,"a",@progbits
	.p2align	6, 0x0
	.amdhsa_kernel _ZN5aiter43moe_smooth_per_token_scaled_quant_kernel_v2IDF16_DB8_Li512ELi16EEEvPT0_PfPT_S4_PiS7_S7_iiiiiiiiiibb
		.amdhsa_group_segment_fixed_size 32
		.amdhsa_private_segment_fixed_size 0
		.amdhsa_kernarg_size 100
		.amdhsa_user_sgpr_count 6
		.amdhsa_user_sgpr_private_segment_buffer 1
		.amdhsa_user_sgpr_dispatch_ptr 0
		.amdhsa_user_sgpr_queue_ptr 0
		.amdhsa_user_sgpr_kernarg_segment_ptr 1
		.amdhsa_user_sgpr_dispatch_id 0
		.amdhsa_user_sgpr_flat_scratch_init 0
		.amdhsa_user_sgpr_kernarg_preload_length 0
		.amdhsa_user_sgpr_kernarg_preload_offset 0
		.amdhsa_user_sgpr_private_segment_size 0
		.amdhsa_uses_dynamic_stack 0
		.amdhsa_system_sgpr_private_segment_wavefront_offset 0
		.amdhsa_system_sgpr_workgroup_id_x 1
		.amdhsa_system_sgpr_workgroup_id_y 0
		.amdhsa_system_sgpr_workgroup_id_z 0
		.amdhsa_system_sgpr_workgroup_info 0
		.amdhsa_system_vgpr_workitem_id 0
		.amdhsa_next_free_vgpr 50
		.amdhsa_next_free_sgpr 59
		.amdhsa_accum_offset 52
		.amdhsa_reserve_vcc 1
		.amdhsa_reserve_flat_scratch 0
		.amdhsa_float_round_mode_32 0
		.amdhsa_float_round_mode_16_64 0
		.amdhsa_float_denorm_mode_32 3
		.amdhsa_float_denorm_mode_16_64 3
		.amdhsa_dx10_clamp 1
		.amdhsa_ieee_mode 1
		.amdhsa_fp16_overflow 0
		.amdhsa_tg_split 0
		.amdhsa_exception_fp_ieee_invalid_op 0
		.amdhsa_exception_fp_denorm_src 0
		.amdhsa_exception_fp_ieee_div_zero 0
		.amdhsa_exception_fp_ieee_overflow 0
		.amdhsa_exception_fp_ieee_underflow 0
		.amdhsa_exception_fp_ieee_inexact 0
		.amdhsa_exception_int_div_zero 0
	.end_amdhsa_kernel
	.section	.text._ZN5aiter43moe_smooth_per_token_scaled_quant_kernel_v2IDF16_DB8_Li512ELi16EEEvPT0_PfPT_S4_PiS7_S7_iiiiiiiiiibb,"axG",@progbits,_ZN5aiter43moe_smooth_per_token_scaled_quant_kernel_v2IDF16_DB8_Li512ELi16EEEvPT0_PfPT_S4_PiS7_S7_iiiiiiiiiibb,comdat
.Lfunc_end216:
	.size	_ZN5aiter43moe_smooth_per_token_scaled_quant_kernel_v2IDF16_DB8_Li512ELi16EEEvPT0_PfPT_S4_PiS7_S7_iiiiiiiiiibb, .Lfunc_end216-_ZN5aiter43moe_smooth_per_token_scaled_quant_kernel_v2IDF16_DB8_Li512ELi16EEEvPT0_PfPT_S4_PiS7_S7_iiiiiiiiiibb
                                        ; -- End function
	.section	.AMDGPU.csdata,"",@progbits
; Kernel info:
; codeLenInByte = 1516
; NumSgprs: 63
; NumVgprs: 50
; NumAgprs: 0
; TotalNumVgprs: 50
; ScratchSize: 0
; MemoryBound: 0
; FloatMode: 240
; IeeeMode: 1
; LDSByteSize: 32 bytes/workgroup (compile time only)
; SGPRBlocks: 7
; VGPRBlocks: 6
; NumSGPRsForWavesPerEU: 63
; NumVGPRsForWavesPerEU: 50
; AccumOffset: 52
; Occupancy: 8
; WaveLimiterHint : 0
; COMPUTE_PGM_RSRC2:SCRATCH_EN: 0
; COMPUTE_PGM_RSRC2:USER_SGPR: 6
; COMPUTE_PGM_RSRC2:TRAP_HANDLER: 0
; COMPUTE_PGM_RSRC2:TGID_X_EN: 1
; COMPUTE_PGM_RSRC2:TGID_Y_EN: 0
; COMPUTE_PGM_RSRC2:TGID_Z_EN: 0
; COMPUTE_PGM_RSRC2:TIDIG_COMP_CNT: 0
; COMPUTE_PGM_RSRC3_GFX90A:ACCUM_OFFSET: 12
; COMPUTE_PGM_RSRC3_GFX90A:TG_SPLIT: 0
	.section	.text._ZN5aiter43moe_smooth_per_token_scaled_quant_kernel_v2ItDB8_Li512ELi16EEEvPT0_PfPT_S4_PiS7_S7_iiiiiiiiiibb,"axG",@progbits,_ZN5aiter43moe_smooth_per_token_scaled_quant_kernel_v2ItDB8_Li512ELi16EEEvPT0_PfPT_S4_PiS7_S7_iiiiiiiiiibb,comdat
	.protected	_ZN5aiter43moe_smooth_per_token_scaled_quant_kernel_v2ItDB8_Li512ELi16EEEvPT0_PfPT_S4_PiS7_S7_iiiiiiiiiibb ; -- Begin function _ZN5aiter43moe_smooth_per_token_scaled_quant_kernel_v2ItDB8_Li512ELi16EEEvPT0_PfPT_S4_PiS7_S7_iiiiiiiiiibb
	.globl	_ZN5aiter43moe_smooth_per_token_scaled_quant_kernel_v2ItDB8_Li512ELi16EEEvPT0_PfPT_S4_PiS7_S7_iiiiiiiiiibb
	.p2align	8
	.type	_ZN5aiter43moe_smooth_per_token_scaled_quant_kernel_v2ItDB8_Li512ELi16EEEvPT0_PfPT_S4_PiS7_S7_iiiiiiiiiibb,@function
_ZN5aiter43moe_smooth_per_token_scaled_quant_kernel_v2ItDB8_Li512ELi16EEEvPT0_PfPT_S4_PiS7_S7_iiiiiiiiiibb: ; @_ZN5aiter43moe_smooth_per_token_scaled_quant_kernel_v2ItDB8_Li512ELi16EEEvPT0_PfPT_S4_PiS7_S7_iiiiiiiiiibb
; %bb.0:
	s_load_dwordx8 s[12:19], s[4:5], 0x38
	s_waitcnt lgkmcnt(0)
	s_cmp_ge_i32 s6, s14
	s_cbranch_scc1 .LBB217_21
; %bb.1:
	s_load_dwordx4 s[28:31], s[4:5], 0x58
	s_load_dwordx2 s[0:1], s[4:5], 0x30
	s_load_dwordx4 s[36:39], s[4:5], 0x20
	s_load_dwordx8 s[20:27], s[4:5], 0x0
	v_and_b32_e32 v1, 63, v0
	s_waitcnt lgkmcnt(0)
	s_bitcmp1_b32 s30, 8
	s_load_dword s7, s[0:1], 0x0
	s_cselect_b64 s[0:1], -1, 0
	s_ashr_i32 s18, s18, s19
	s_xor_b64 s[10:11], s[0:1], -1
	s_lshl_b32 s42, s18, 2
	s_lshl_b32 s46, s16, 2
	s_cmp_gt_i32 s18, 0
	s_cselect_b64 s[8:9], -1, 0
	s_add_i32 s4, s16, 15
	s_ashr_i32 s5, s4, 31
	s_lshr_b32 s5, s5, 28
	s_add_i32 s30, s16, 3
	s_add_i32 s4, s4, s5
	s_ashr_i32 s31, s30, 31
	v_lshlrev_b32_e32 v32, 2, v1
	v_cmp_eq_u32_e64 s[0:1], 63, v1
	v_lshrrev_b32_e32 v1, 4, v0
	s_ashr_i32 s4, s4, 4
	s_lshr_b32 s31, s31, 30
	v_lshlrev_b32_e32 v33, 4, v0
	v_lshlrev_b32_e32 v34, 6, v0
	;; [unrolled: 1-line block ×3, first 2 shown]
	v_and_b32_e32 v36, 60, v1
	v_and_b32_e32 v1, 7, v0
	v_cmp_eq_u32_e64 s[2:3], 0, v0
	v_cmp_gt_u32_e64 s[4:5], s4, v0
	s_add_i32 s30, s30, s31
	v_cndmask_b32_e64 v0, 0, 1, s[8:9]
	s_lshl_b32 s50, s16, 1
	v_lshlrev_b32_e32 v37, 2, v1
	s_and_b32 s54, s30, -4
	s_mov_b32 s51, 0x20000
	s_mov_b32 s33, 0x2edbe6ff
	v_mov_b32_e32 v38, 0
	v_mov_b32_e32 v39, 0xc3e00000
	;; [unrolled: 1-line block ×3, first 2 shown]
	s_mov_b32 s56, 0x5040100
	s_mov_b32 s57, 0x1060504
	;; [unrolled: 1-line block ×3, first 2 shown]
	v_cmp_ne_u32_e64 s[8:9], 1, v0
	s_branch .LBB217_4
.LBB217_2:                              ;   in Loop: Header=BB217_4 Depth=1
	s_mov_b64 s[34:35], -1
.LBB217_3:                              ;   in Loop: Header=BB217_4 Depth=1
	s_add_i32 s6, s6, s15
	s_cmp_lt_i32 s6, s14
	s_cselect_b64 s[30:31], -1, 0
	s_and_b64 s[30:31], s[34:35], s[30:31]
	s_and_b64 vcc, exec, s[30:31]
	s_cbranch_vccz .LBB217_21
.LBB217_4:                              ; =>This Loop Header: Depth=1
                                        ;     Child Loop BB217_10 Depth 2
	s_mul_i32 s30, s6, s18
	s_waitcnt lgkmcnt(0)
	s_cmp_ge_i32 s30, s7
	s_mov_b64 s[34:35], 0
	s_cbranch_scc1 .LBB217_3
; %bb.5:                                ;   in Loop: Header=BB217_4 Depth=1
	s_ashr_i32 s34, s6, s19
	s_ashr_i32 s35, s34, 31
	s_lshl_b64 s[34:35], s[34:35], 2
	s_add_u32 s34, s38, s34
	s_addc_u32 s35, s39, s35
	s_load_dword s44, s[34:35], 0x0
	s_mov_b64 s[34:35], 0
	s_waitcnt lgkmcnt(0)
	s_cmp_ge_i32 s44, s12
	s_cbranch_scc1 .LBB217_3
; %bb.6:                                ;   in Loop: Header=BB217_4 Depth=1
	s_and_b64 vcc, exec, s[8:9]
	s_cbranch_vccnz .LBB217_2
; %bb.7:                                ;   in Loop: Header=BB217_4 Depth=1
	s_ashr_i32 s31, s30, 31
	s_lshl_b64 s[30:31], s[30:31], 2
	s_add_u32 s40, s36, s30
	s_addc_u32 s30, s37, s31
	s_and_b32 s41, s30, 0xffff
	s_mul_i32 s30, s44, s16
	s_ashr_i32 s31, s30, 31
	s_lshl_b64 s[30:31], s[30:31], 2
	s_add_u32 s44, s26, s30
	s_addc_u32 s30, s27, s31
	s_mov_b32 s43, s51
	s_and_b32 s45, s30, 0xffff
	s_mov_b32 s47, s51
	buffer_load_dword v16, v32, s[40:43], 0 offen
	buffer_load_dwordx4 v[0:3], v34, s[44:47], 48 offen
	buffer_load_dwordx4 v[4:7], v34, s[44:47], 32 offen
	;; [unrolled: 1-line block ×4, first 2 shown]
	s_mov_b32 s40, 0
	s_waitcnt vmcnt(4)
	v_and_b32_e32 v41, 0xffffff, v16
	v_ashrrev_i32_e32 v42, 24, v16
	s_branch .LBB217_10
.LBB217_8:                              ;   in Loop: Header=BB217_10 Depth=2
	s_or_b64 exec, exec, s[30:31]
	s_add_i32 s40, s40, 1
	s_cmp_eq_u32 s18, s40
	s_cselect_b64 s[30:31], -1, 0
.LBB217_9:                              ;   in Loop: Header=BB217_10 Depth=2
	s_and_b64 vcc, exec, s[30:31]
	s_cbranch_vccnz .LBB217_2
.LBB217_10:                             ;   Parent Loop BB217_4 Depth=1
                                        ; =>  This Inner Loop Header: Depth=2
	v_readlane_b32 s35, v41, s40
	v_readlane_b32 s41, v42, s40
	s_cmp_ge_i32 s35, s13
	s_mov_b64 s[30:31], -1
	s_cbranch_scc1 .LBB217_9
; %bb.11:                               ;   in Loop: Header=BB217_10 Depth=2
	s_mul_hi_i32 s31, s35, s28
	s_mul_i32 s30, s35, s28
	s_mul_i32 s44, s41, s29
	s_ashr_i32 s45, s44, 31
	s_lshl_b64 s[30:31], s[30:31], 1
	s_add_u32 s34, s24, s30
	s_addc_u32 s43, s25, s31
	s_lshl_b64 s[30:31], s[44:45], 1
	s_add_u32 s48, s34, s30
	s_addc_u32 s30, s43, s31
	s_and_b32 s49, s30, 0xffff
	buffer_load_dwordx4 v[16:19], v35, s[48:51], 0 offen
	buffer_load_dwordx4 v[20:23], v35, s[48:51], 16 offen
	s_waitcnt vmcnt(1)
	v_cvt_f32_u32_sdwa v25, v16 dst_sel:DWORD dst_unused:UNUSED_PAD src0_sel:WORD_1
	v_cvt_f32_u32_sdwa v24, v16 dst_sel:DWORD dst_unused:UNUSED_PAD src0_sel:WORD_0
	v_cvt_f32_u32_sdwa v27, v17 dst_sel:DWORD dst_unused:UNUSED_PAD src0_sel:WORD_1
	v_cvt_f32_u32_sdwa v26, v17 dst_sel:DWORD dst_unused:UNUSED_PAD src0_sel:WORD_0
	;; [unrolled: 2-line block ×4, first 2 shown]
	s_waitcnt vmcnt(0)
	v_cvt_f32_u32_sdwa v19, v20 dst_sel:DWORD dst_unused:UNUSED_PAD src0_sel:WORD_1
	v_cvt_f32_u32_sdwa v18, v20 dst_sel:DWORD dst_unused:UNUSED_PAD src0_sel:WORD_0
	v_pk_mul_f32 v[30:31], v[12:13], v[24:25]
	v_cvt_f32_u32_sdwa v47, v21 dst_sel:DWORD dst_unused:UNUSED_PAD src0_sel:WORD_1
	v_cvt_f32_u32_sdwa v46, v21 dst_sel:DWORD dst_unused:UNUSED_PAD src0_sel:WORD_0
	v_pk_mul_f32 v[28:29], v[14:15], v[26:27]
	v_max3_f32 v43, |v30|, s33, |v31|
	v_cvt_f32_u32_sdwa v49, v22 dst_sel:DWORD dst_unused:UNUSED_PAD src0_sel:WORD_1
	v_cvt_f32_u32_sdwa v48, v22 dst_sel:DWORD dst_unused:UNUSED_PAD src0_sel:WORD_0
	v_pk_mul_f32 v[26:27], v[8:9], v[16:17]
	v_max3_f32 v43, v43, |v28|, |v29|
	v_cvt_f32_u32_sdwa v51, v23 dst_sel:DWORD dst_unused:UNUSED_PAD src0_sel:WORD_1
	v_cvt_f32_u32_sdwa v50, v23 dst_sel:DWORD dst_unused:UNUSED_PAD src0_sel:WORD_0
	v_pk_mul_f32 v[24:25], v[10:11], v[44:45]
	v_max3_f32 v43, v43, |v26|, |v27|
	v_pk_mul_f32 v[22:23], v[4:5], v[18:19]
	v_max3_f32 v43, v43, |v24|, |v25|
	;; [unrolled: 2-line block ×5, first 2 shown]
	v_max3_f32 v43, v43, |v16|, |v17|
	s_nop 1
	v_mov_b32_dpp v44, v43 quad_perm:[1,0,3,2] row_mask:0xf bank_mask:0xf
	v_cmp_gt_f32_e32 vcc, v43, v44
	v_cndmask_b32_e32 v43, v44, v43, vcc
	s_nop 1
	v_mov_b32_dpp v44, v43 quad_perm:[2,3,0,1] row_mask:0xf bank_mask:0xf
	v_cmp_gt_f32_e32 vcc, v43, v44
	v_cndmask_b32_e32 v43, v44, v43, vcc
	s_nop 1
	v_mov_b32_dpp v44, v43 row_half_mirror row_mask:0xf bank_mask:0xf
	v_cmp_gt_f32_e32 vcc, v43, v44
	v_cndmask_b32_e32 v43, v44, v43, vcc
	s_nop 1
	v_mov_b32_dpp v44, v43 row_mirror row_mask:0xf bank_mask:0xf
	v_cmp_gt_f32_e32 vcc, v43, v44
	v_cndmask_b32_e32 v43, v44, v43, vcc
	s_nop 1
	v_mov_b32_dpp v44, v43 row_bcast:15 row_mask:0xf bank_mask:0xf
	v_cmp_gt_f32_e32 vcc, v43, v44
	v_cndmask_b32_e32 v43, v44, v43, vcc
	s_nop 1
	v_mov_b32_dpp v44, v43 row_bcast:31 row_mask:0xf bank_mask:0xf
	s_and_saveexec_b64 s[30:31], s[0:1]
	s_cbranch_execz .LBB217_13
; %bb.12:                               ;   in Loop: Header=BB217_10 Depth=2
	v_cmp_gt_f32_e32 vcc, v43, v44
	v_cndmask_b32_e32 v43, v44, v43, vcc
	ds_write_b32 v36, v43
.LBB217_13:                             ;   in Loop: Header=BB217_10 Depth=2
	s_or_b64 exec, exec, s[30:31]
	s_waitcnt lgkmcnt(0)
	s_barrier
	ds_read_b32 v43, v37
	s_mov_b64 s[30:31], -1
                                        ; implicit-def: $sgpr34
	s_waitcnt lgkmcnt(0)
	v_mov_b32_dpp v44, v43 quad_perm:[1,0,3,2] row_mask:0xf bank_mask:0xf
	v_cmp_gt_f32_e32 vcc, v43, v44
	v_cndmask_b32_e32 v43, v44, v43, vcc
	s_nop 1
	v_mov_b32_dpp v44, v43 quad_perm:[2,3,0,1] row_mask:0xf bank_mask:0xf
	v_cmp_gt_f32_e32 vcc, v43, v44
	v_cndmask_b32_e32 v43, v44, v43, vcc
	s_and_b64 vcc, exec, s[10:11]
	s_nop 0
	v_mov_b32_dpp v44, v43 row_half_mirror row_mask:0xf bank_mask:0xf
	s_cbranch_vccz .LBB217_15
; %bb.14:                               ;   in Loop: Header=BB217_10 Depth=2
	s_mul_i32 s30, s35, s17
	s_add_i32 s34, s30, s41
	s_mov_b64 s[30:31], 0
.LBB217_15:                             ;   in Loop: Header=BB217_10 Depth=2
	s_andn2_b64 vcc, exec, s[30:31]
	s_cbranch_vccnz .LBB217_17
; %bb.16:                               ;   in Loop: Header=BB217_10 Depth=2
	s_mul_i32 s30, s41, s13
	s_add_i32 s34, s30, s35
.LBB217_17:                             ;   in Loop: Header=BB217_10 Depth=2
	v_cmp_gt_f32_e32 vcc, v43, v44
	v_cndmask_b32_e32 v43, v44, v43, vcc
	v_mul_f32_e32 v43, 0x3b124925, v43
	s_and_saveexec_b64 s[30:31], s[2:3]
	s_cbranch_execz .LBB217_19
; %bb.18:                               ;   in Loop: Header=BB217_10 Depth=2
	s_ashr_i32 s35, s34, 31
	s_lshl_b64 s[44:45], s[34:35], 2
	s_add_u32 s44, s22, s44
	s_addc_u32 s45, s23, s45
	global_store_dword v38, v43, s[44:45]
.LBB217_19:                             ;   in Loop: Header=BB217_10 Depth=2
	s_or_b64 exec, exec, s[30:31]
	s_and_saveexec_b64 s[30:31], s[4:5]
	s_cbranch_execz .LBB217_8
; %bb.20:                               ;   in Loop: Header=BB217_10 Depth=2
	v_rcp_f32_e32 v44, v43
	s_mul_hi_i32 s35, s34, s16
	s_mul_i32 s34, s34, s16
	s_add_u32 s52, s20, s34
	v_mov_b32_e32 v45, v44
	;;#ASMSTART
	v_pk_mul_f32 v[30:31], v[30:31], v[44:45]
	;;#ASMEND
	;;#ASMSTART
	v_med3_f32 v30, v30, v39, v40
v_med3_f32 v31, v31, v39, v40
v_cvt_pk_fp8_f32 v43, v30, v31
	;;#ASMEND
	;;#ASMSTART
	v_pk_mul_f32 v[28:29], v[28:29], v[44:45]
	;;#ASMEND
	;;#ASMSTART
	v_med3_f32 v28, v28, v39, v40
v_med3_f32 v29, v29, v39, v40
v_cvt_pk_fp8_f32 v30, v28, v29
	;;#ASMEND
	;; [unrolled: 8-line block ×6, first 2 shown]
	;;#ASMSTART
	v_pk_mul_f32 v[18:19], v[18:19], v[44:45]
	;;#ASMEND
	s_addc_u32 s34, s21, s35
	v_perm_b32 v28, v30, v43, s56
	;;#ASMSTART
	v_med3_f32 v18, v18, v39, v40
v_med3_f32 v19, v19, v39, v40
v_cvt_pk_fp8_f32 v20, v18, v19
	;;#ASMEND
	;;#ASMSTART
	v_pk_mul_f32 v[16:17], v[16:17], v[44:45]
	;;#ASMEND
	s_and_b32 s53, s34, 0xffff
	s_mov_b32 s55, s51
	v_perm_b32 v28, v28, v30, s57
	v_perm_b32 v29, v29, v26, s58
	;; [unrolled: 1-line block ×3, first 2 shown]
	;;#ASMSTART
	v_med3_f32 v16, v16, v39, v40
v_med3_f32 v17, v17, v39, v40
v_cvt_pk_fp8_f32 v18, v16, v17
	;;#ASMEND
	v_perm_b32 v31, v20, v18, s58
	buffer_store_dwordx4 v[28:31], v33, s[52:55], 0 offen
	;;#ASMSTART
	s_nop 0
	;;#ASMEND
	s_branch .LBB217_8
.LBB217_21:
	s_endpgm
	.section	.rodata,"a",@progbits
	.p2align	6, 0x0
	.amdhsa_kernel _ZN5aiter43moe_smooth_per_token_scaled_quant_kernel_v2ItDB8_Li512ELi16EEEvPT0_PfPT_S4_PiS7_S7_iiiiiiiiiibb
		.amdhsa_group_segment_fixed_size 32
		.amdhsa_private_segment_fixed_size 0
		.amdhsa_kernarg_size 100
		.amdhsa_user_sgpr_count 6
		.amdhsa_user_sgpr_private_segment_buffer 1
		.amdhsa_user_sgpr_dispatch_ptr 0
		.amdhsa_user_sgpr_queue_ptr 0
		.amdhsa_user_sgpr_kernarg_segment_ptr 1
		.amdhsa_user_sgpr_dispatch_id 0
		.amdhsa_user_sgpr_flat_scratch_init 0
		.amdhsa_user_sgpr_kernarg_preload_length 0
		.amdhsa_user_sgpr_kernarg_preload_offset 0
		.amdhsa_user_sgpr_private_segment_size 0
		.amdhsa_uses_dynamic_stack 0
		.amdhsa_system_sgpr_private_segment_wavefront_offset 0
		.amdhsa_system_sgpr_workgroup_id_x 1
		.amdhsa_system_sgpr_workgroup_id_y 0
		.amdhsa_system_sgpr_workgroup_id_z 0
		.amdhsa_system_sgpr_workgroup_info 0
		.amdhsa_system_vgpr_workitem_id 0
		.amdhsa_next_free_vgpr 52
		.amdhsa_next_free_sgpr 59
		.amdhsa_accum_offset 52
		.amdhsa_reserve_vcc 1
		.amdhsa_reserve_flat_scratch 0
		.amdhsa_float_round_mode_32 0
		.amdhsa_float_round_mode_16_64 0
		.amdhsa_float_denorm_mode_32 3
		.amdhsa_float_denorm_mode_16_64 3
		.amdhsa_dx10_clamp 1
		.amdhsa_ieee_mode 1
		.amdhsa_fp16_overflow 0
		.amdhsa_tg_split 0
		.amdhsa_exception_fp_ieee_invalid_op 0
		.amdhsa_exception_fp_denorm_src 0
		.amdhsa_exception_fp_ieee_div_zero 0
		.amdhsa_exception_fp_ieee_overflow 0
		.amdhsa_exception_fp_ieee_underflow 0
		.amdhsa_exception_fp_ieee_inexact 0
		.amdhsa_exception_int_div_zero 0
	.end_amdhsa_kernel
	.section	.text._ZN5aiter43moe_smooth_per_token_scaled_quant_kernel_v2ItDB8_Li512ELi16EEEvPT0_PfPT_S4_PiS7_S7_iiiiiiiiiibb,"axG",@progbits,_ZN5aiter43moe_smooth_per_token_scaled_quant_kernel_v2ItDB8_Li512ELi16EEEvPT0_PfPT_S4_PiS7_S7_iiiiiiiiiibb,comdat
.Lfunc_end217:
	.size	_ZN5aiter43moe_smooth_per_token_scaled_quant_kernel_v2ItDB8_Li512ELi16EEEvPT0_PfPT_S4_PiS7_S7_iiiiiiiiiibb, .Lfunc_end217-_ZN5aiter43moe_smooth_per_token_scaled_quant_kernel_v2ItDB8_Li512ELi16EEEvPT0_PfPT_S4_PiS7_S7_iiiiiiiiiibb
                                        ; -- End function
	.section	.AMDGPU.csdata,"",@progbits
; Kernel info:
; codeLenInByte = 1548
; NumSgprs: 63
; NumVgprs: 52
; NumAgprs: 0
; TotalNumVgprs: 52
; ScratchSize: 0
; MemoryBound: 0
; FloatMode: 240
; IeeeMode: 1
; LDSByteSize: 32 bytes/workgroup (compile time only)
; SGPRBlocks: 7
; VGPRBlocks: 6
; NumSGPRsForWavesPerEU: 63
; NumVGPRsForWavesPerEU: 52
; AccumOffset: 52
; Occupancy: 8
; WaveLimiterHint : 0
; COMPUTE_PGM_RSRC2:SCRATCH_EN: 0
; COMPUTE_PGM_RSRC2:USER_SGPR: 6
; COMPUTE_PGM_RSRC2:TRAP_HANDLER: 0
; COMPUTE_PGM_RSRC2:TGID_X_EN: 1
; COMPUTE_PGM_RSRC2:TGID_Y_EN: 0
; COMPUTE_PGM_RSRC2:TGID_Z_EN: 0
; COMPUTE_PGM_RSRC2:TIDIG_COMP_CNT: 0
; COMPUTE_PGM_RSRC3_GFX90A:ACCUM_OFFSET: 12
; COMPUTE_PGM_RSRC3_GFX90A:TG_SPLIT: 0
	.section	.text._ZN5aiter43moe_smooth_per_token_scaled_quant_kernel_v2IDF16_aLi128ELi8EEEvPT0_PfPT_S3_PiS6_S6_iiiiiiiiiibb,"axG",@progbits,_ZN5aiter43moe_smooth_per_token_scaled_quant_kernel_v2IDF16_aLi128ELi8EEEvPT0_PfPT_S3_PiS6_S6_iiiiiiiiiibb,comdat
	.protected	_ZN5aiter43moe_smooth_per_token_scaled_quant_kernel_v2IDF16_aLi128ELi8EEEvPT0_PfPT_S3_PiS6_S6_iiiiiiiiiibb ; -- Begin function _ZN5aiter43moe_smooth_per_token_scaled_quant_kernel_v2IDF16_aLi128ELi8EEEvPT0_PfPT_S3_PiS6_S6_iiiiiiiiiibb
	.globl	_ZN5aiter43moe_smooth_per_token_scaled_quant_kernel_v2IDF16_aLi128ELi8EEEvPT0_PfPT_S3_PiS6_S6_iiiiiiiiiibb
	.p2align	8
	.type	_ZN5aiter43moe_smooth_per_token_scaled_quant_kernel_v2IDF16_aLi128ELi8EEEvPT0_PfPT_S3_PiS6_S6_iiiiiiiiiibb,@function
_ZN5aiter43moe_smooth_per_token_scaled_quant_kernel_v2IDF16_aLi128ELi8EEEvPT0_PfPT_S3_PiS6_S6_iiiiiiiiiibb: ; @_ZN5aiter43moe_smooth_per_token_scaled_quant_kernel_v2IDF16_aLi128ELi8EEEvPT0_PfPT_S3_PiS6_S6_iiiiiiiiiibb
; %bb.0:
	s_load_dwordx8 s[12:19], s[4:5], 0x38
	s_waitcnt lgkmcnt(0)
	s_cmp_ge_i32 s6, s14
	s_cbranch_scc1 .LBB218_21
; %bb.1:
	s_load_dwordx4 s[28:31], s[4:5], 0x58
	s_load_dwordx2 s[0:1], s[4:5], 0x30
	s_load_dwordx4 s[36:39], s[4:5], 0x20
	s_load_dwordx8 s[20:27], s[4:5], 0x0
	v_and_b32_e32 v1, 63, v0
	s_waitcnt lgkmcnt(0)
	s_bitcmp1_b32 s30, 8
	s_load_dword s7, s[0:1], 0x0
	s_cselect_b64 s[0:1], -1, 0
	s_ashr_i32 s18, s18, s19
	s_xor_b64 s[10:11], s[0:1], -1
	s_lshl_b32 s42, s18, 2
	s_lshl_b32 s46, s16, 2
	s_cmp_gt_i32 s18, 0
	s_cselect_b64 s[8:9], -1, 0
	s_add_i32 s4, s16, 7
	s_ashr_i32 s5, s4, 31
	s_lshr_b32 s5, s5, 29
	s_add_i32 s30, s16, 3
	s_add_i32 s4, s4, s5
	s_ashr_i32 s31, s30, 31
	v_lshlrev_b32_e32 v16, 2, v1
	v_cmp_eq_u32_e64 s[0:1], 63, v1
	v_lshrrev_b32_e32 v1, 4, v0
	s_ashr_i32 s4, s4, 3
	s_lshr_b32 s31, s31, 30
	v_lshlrev_b32_e32 v17, 3, v0
	v_lshlrev_b32_e32 v18, 5, v0
	;; [unrolled: 1-line block ×3, first 2 shown]
	v_and_b32_e32 v20, 60, v1
	v_and_b32_e32 v1, 1, v0
	v_cmp_eq_u32_e64 s[2:3], 0, v0
	v_cmp_gt_u32_e64 s[4:5], s4, v0
	s_add_i32 s30, s30, s31
	v_cndmask_b32_e64 v0, 0, 1, s[8:9]
	s_lshl_b32 s50, s16, 1
	v_lshlrev_b32_e32 v21, 2, v1
	s_and_b32 s54, s30, -4
	s_mov_b32 s51, 0x20000
	s_mov_b32 s33, 0x2edbe6ff
	v_mov_b32_e32 v22, 0
	v_cmp_ne_u32_e64 s[8:9], 1, v0
	s_branch .LBB218_4
.LBB218_2:                              ;   in Loop: Header=BB218_4 Depth=1
	s_mov_b64 s[34:35], -1
.LBB218_3:                              ;   in Loop: Header=BB218_4 Depth=1
	s_add_i32 s6, s6, s15
	s_cmp_lt_i32 s6, s14
	s_cselect_b64 s[30:31], -1, 0
	s_and_b64 s[30:31], s[34:35], s[30:31]
	s_and_b64 vcc, exec, s[30:31]
	s_cbranch_vccz .LBB218_21
.LBB218_4:                              ; =>This Loop Header: Depth=1
                                        ;     Child Loop BB218_10 Depth 2
	s_mul_i32 s30, s6, s18
	s_waitcnt lgkmcnt(0)
	s_cmp_ge_i32 s30, s7
	s_mov_b64 s[34:35], 0
	s_cbranch_scc1 .LBB218_3
; %bb.5:                                ;   in Loop: Header=BB218_4 Depth=1
	s_ashr_i32 s34, s6, s19
	s_ashr_i32 s35, s34, 31
	s_lshl_b64 s[34:35], s[34:35], 2
	s_add_u32 s34, s38, s34
	s_addc_u32 s35, s39, s35
	s_load_dword s44, s[34:35], 0x0
	s_mov_b64 s[34:35], 0
	s_waitcnt lgkmcnt(0)
	s_cmp_ge_i32 s44, s12
	s_cbranch_scc1 .LBB218_3
; %bb.6:                                ;   in Loop: Header=BB218_4 Depth=1
	s_and_b64 vcc, exec, s[8:9]
	s_cbranch_vccnz .LBB218_2
; %bb.7:                                ;   in Loop: Header=BB218_4 Depth=1
	s_ashr_i32 s31, s30, 31
	s_lshl_b64 s[30:31], s[30:31], 2
	s_add_u32 s40, s36, s30
	s_addc_u32 s30, s37, s31
	s_and_b32 s41, s30, 0xffff
	s_mul_i32 s30, s44, s16
	s_ashr_i32 s31, s30, 31
	s_lshl_b64 s[30:31], s[30:31], 2
	s_add_u32 s44, s26, s30
	s_mov_b32 s43, s51
	s_addc_u32 s30, s27, s31
	buffer_load_dword v8, v16, s[40:43], 0 offen
	s_and_b32 s45, s30, 0xffff
	s_mov_b32 s47, s51
	buffer_load_dwordx4 v[0:3], v18, s[44:47], 16 offen
	buffer_load_dwordx4 v[4:7], v18, s[44:47], 0 offen
	s_mov_b32 s40, 0
	s_waitcnt vmcnt(2)
	v_and_b32_e32 v23, 0xffffff, v8
	v_ashrrev_i32_e32 v24, 24, v8
	s_branch .LBB218_10
.LBB218_8:                              ;   in Loop: Header=BB218_10 Depth=2
	s_or_b64 exec, exec, s[34:35]
	s_add_i32 s40, s40, 1
	s_cmp_eq_u32 s18, s40
	s_cselect_b64 s[30:31], -1, 0
.LBB218_9:                              ;   in Loop: Header=BB218_10 Depth=2
	s_and_b64 vcc, exec, s[30:31]
	s_cbranch_vccnz .LBB218_2
.LBB218_10:                             ;   Parent Loop BB218_4 Depth=1
                                        ; =>  This Inner Loop Header: Depth=2
	v_readlane_b32 s41, v23, s40
	v_readlane_b32 s43, v24, s40
	s_cmp_ge_i32 s41, s13
	s_mov_b64 s[30:31], -1
	s_cbranch_scc1 .LBB218_9
; %bb.11:                               ;   in Loop: Header=BB218_10 Depth=2
	s_mul_hi_i32 s31, s41, s28
	s_mul_i32 s30, s41, s28
	s_mul_i32 s34, s43, s29
	s_ashr_i32 s35, s34, 31
	s_lshl_b64 s[30:31], s[30:31], 1
	s_add_u32 s44, s24, s30
	s_addc_u32 s45, s25, s31
	s_lshl_b64 s[30:31], s[34:35], 1
	s_add_u32 s48, s44, s30
	s_addc_u32 s30, s45, s31
	s_and_b32 s49, s30, 0xffff
	buffer_load_dwordx4 v[8:11], v19, s[48:51], 0 offen
	s_waitcnt vmcnt(0)
	v_cvt_f32_f16_e32 v12, v8
	v_cvt_f32_f16_sdwa v13, v8 dst_sel:DWORD dst_unused:UNUSED_PAD src0_sel:WORD_1
	v_cvt_f32_f16_e32 v8, v9
	v_cvt_f32_f16_sdwa v9, v9 dst_sel:DWORD dst_unused:UNUSED_PAD src0_sel:WORD_1
	v_cvt_f32_f16_e32 v26, v10
	v_cvt_f32_f16_sdwa v27, v10 dst_sel:DWORD dst_unused:UNUSED_PAD src0_sel:WORD_1
	v_cvt_f32_f16_e32 v28, v11
	v_cvt_f32_f16_sdwa v29, v11 dst_sel:DWORD dst_unused:UNUSED_PAD src0_sel:WORD_1
	v_pk_mul_f32 v[14:15], v[4:5], v[12:13]
	v_pk_mul_f32 v[12:13], v[6:7], v[8:9]
	v_max3_f32 v25, |v14|, s33, |v15|
	v_pk_mul_f32 v[10:11], v[0:1], v[26:27]
	v_max3_f32 v25, v25, |v12|, |v13|
	v_pk_mul_f32 v[8:9], v[2:3], v[28:29]
	v_max3_f32 v25, v25, |v10|, |v11|
	v_max3_f32 v25, v25, |v8|, |v9|
	s_nop 1
	v_mov_b32_dpp v26, v25 quad_perm:[1,0,3,2] row_mask:0xf bank_mask:0xf
	v_cmp_gt_f32_e32 vcc, v25, v26
	v_cndmask_b32_e32 v25, v26, v25, vcc
	s_nop 1
	v_mov_b32_dpp v26, v25 quad_perm:[2,3,0,1] row_mask:0xf bank_mask:0xf
	v_cmp_gt_f32_e32 vcc, v25, v26
	v_cndmask_b32_e32 v25, v26, v25, vcc
	s_nop 1
	v_mov_b32_dpp v26, v25 row_half_mirror row_mask:0xf bank_mask:0xf
	v_cmp_gt_f32_e32 vcc, v25, v26
	v_cndmask_b32_e32 v25, v26, v25, vcc
	s_nop 1
	v_mov_b32_dpp v26, v25 row_mirror row_mask:0xf bank_mask:0xf
	v_cmp_gt_f32_e32 vcc, v25, v26
	v_cndmask_b32_e32 v25, v26, v25, vcc
	s_nop 1
	v_mov_b32_dpp v26, v25 row_bcast:15 row_mask:0xf bank_mask:0xf
	v_cmp_gt_f32_e32 vcc, v25, v26
	v_cndmask_b32_e32 v25, v26, v25, vcc
	s_nop 1
	v_mov_b32_dpp v26, v25 row_bcast:31 row_mask:0xf bank_mask:0xf
	s_and_saveexec_b64 s[30:31], s[0:1]
	s_cbranch_execz .LBB218_13
; %bb.12:                               ;   in Loop: Header=BB218_10 Depth=2
	v_cmp_gt_f32_e32 vcc, v25, v26
	v_cndmask_b32_e32 v25, v26, v25, vcc
	ds_write_b32 v20, v25
.LBB218_13:                             ;   in Loop: Header=BB218_10 Depth=2
	s_or_b64 exec, exec, s[30:31]
	s_waitcnt lgkmcnt(0)
	s_barrier
	ds_read_b32 v25, v21
	s_mov_b64 s[34:35], -1
	s_and_b64 vcc, exec, s[10:11]
                                        ; implicit-def: $sgpr30
	s_waitcnt lgkmcnt(0)
	v_mov_b32_dpp v26, v25 quad_perm:[1,0,3,2] row_mask:0xf bank_mask:0xf
	s_cbranch_vccz .LBB218_15
; %bb.14:                               ;   in Loop: Header=BB218_10 Depth=2
	s_mul_i32 s30, s41, s17
	s_add_i32 s30, s30, s43
	s_mov_b64 s[34:35], 0
.LBB218_15:                             ;   in Loop: Header=BB218_10 Depth=2
	s_andn2_b64 vcc, exec, s[34:35]
	s_cbranch_vccnz .LBB218_17
; %bb.16:                               ;   in Loop: Header=BB218_10 Depth=2
	s_mul_i32 s30, s43, s13
	s_add_i32 s30, s30, s41
.LBB218_17:                             ;   in Loop: Header=BB218_10 Depth=2
	v_cmp_gt_f32_e32 vcc, v25, v26
	v_cndmask_b32_e32 v25, v26, v25, vcc
	v_mul_f32_e32 v25, 0x3c010204, v25
	s_and_saveexec_b64 s[34:35], s[2:3]
	s_cbranch_execz .LBB218_19
; %bb.18:                               ;   in Loop: Header=BB218_10 Depth=2
	s_ashr_i32 s31, s30, 31
	s_lshl_b64 s[44:45], s[30:31], 2
	s_add_u32 s44, s22, s44
	s_addc_u32 s45, s23, s45
	global_store_dword v22, v25, s[44:45]
.LBB218_19:                             ;   in Loop: Header=BB218_10 Depth=2
	s_or_b64 exec, exec, s[34:35]
	s_and_saveexec_b64 s[34:35], s[4:5]
	s_cbranch_execz .LBB218_8
; %bb.20:                               ;   in Loop: Header=BB218_10 Depth=2
	v_rcp_f32_e32 v26, v25
	s_mul_hi_i32 s31, s30, s16
	s_mul_i32 s30, s30, s16
	s_add_u32 s52, s20, s30
	v_mov_b32_e32 v27, v26
	;;#ASMSTART
	v_pk_mul_f32 v[14:15], v[14:15], v[26:27]
	;;#ASMEND
	;;#ASMSTART
	v_pk_mul_f32 v[12:13], v[12:13], v[26:27]
	;;#ASMEND
	;; [unrolled: 3-line block ×4, first 2 shown]
	v_cvt_i32_f32_e32 v14, v14
	v_cvt_i32_f32_sdwa v15, v15 dst_sel:BYTE_1 dst_unused:UNUSED_PAD src0_sel:DWORD
	v_cvt_i32_f32_e32 v12, v12
	v_cvt_i32_f32_sdwa v13, v13 dst_sel:BYTE_1 dst_unused:UNUSED_PAD src0_sel:DWORD
	;; [unrolled: 2-line block ×4, first 2 shown]
	s_addc_u32 s30, s21, s31
	v_or_b32_sdwa v8, v14, v15 dst_sel:DWORD dst_unused:UNUSED_PAD src0_sel:BYTE_0 src1_sel:DWORD
	v_or_b32_sdwa v12, v12, v13 dst_sel:WORD_1 dst_unused:UNUSED_PAD src0_sel:BYTE_0 src1_sel:DWORD
	v_or_b32_sdwa v10, v10, v11 dst_sel:DWORD dst_unused:UNUSED_PAD src0_sel:BYTE_0 src1_sel:DWORD
	v_or_b32_sdwa v9, v25, v9 dst_sel:WORD_1 dst_unused:UNUSED_PAD src0_sel:BYTE_0 src1_sel:DWORD
	s_and_b32 s53, s30, 0xffff
	s_mov_b32 s55, s51
	v_or_b32_sdwa v8, v8, v12 dst_sel:DWORD dst_unused:UNUSED_PAD src0_sel:WORD_0 src1_sel:DWORD
	v_or_b32_sdwa v9, v10, v9 dst_sel:DWORD dst_unused:UNUSED_PAD src0_sel:WORD_0 src1_sel:DWORD
	buffer_store_dwordx2 v[8:9], v17, s[52:55], 0 offen
	;;#ASMSTART
	s_nop 0
	;;#ASMEND
	s_branch .LBB218_8
.LBB218_21:
	s_endpgm
	.section	.rodata,"a",@progbits
	.p2align	6, 0x0
	.amdhsa_kernel _ZN5aiter43moe_smooth_per_token_scaled_quant_kernel_v2IDF16_aLi128ELi8EEEvPT0_PfPT_S3_PiS6_S6_iiiiiiiiiibb
		.amdhsa_group_segment_fixed_size 8
		.amdhsa_private_segment_fixed_size 0
		.amdhsa_kernarg_size 100
		.amdhsa_user_sgpr_count 6
		.amdhsa_user_sgpr_private_segment_buffer 1
		.amdhsa_user_sgpr_dispatch_ptr 0
		.amdhsa_user_sgpr_queue_ptr 0
		.amdhsa_user_sgpr_kernarg_segment_ptr 1
		.amdhsa_user_sgpr_dispatch_id 0
		.amdhsa_user_sgpr_flat_scratch_init 0
		.amdhsa_user_sgpr_kernarg_preload_length 0
		.amdhsa_user_sgpr_kernarg_preload_offset 0
		.amdhsa_user_sgpr_private_segment_size 0
		.amdhsa_uses_dynamic_stack 0
		.amdhsa_system_sgpr_private_segment_wavefront_offset 0
		.amdhsa_system_sgpr_workgroup_id_x 1
		.amdhsa_system_sgpr_workgroup_id_y 0
		.amdhsa_system_sgpr_workgroup_id_z 0
		.amdhsa_system_sgpr_workgroup_info 0
		.amdhsa_system_vgpr_workitem_id 0
		.amdhsa_next_free_vgpr 30
		.amdhsa_next_free_sgpr 56
		.amdhsa_accum_offset 32
		.amdhsa_reserve_vcc 1
		.amdhsa_reserve_flat_scratch 0
		.amdhsa_float_round_mode_32 0
		.amdhsa_float_round_mode_16_64 0
		.amdhsa_float_denorm_mode_32 3
		.amdhsa_float_denorm_mode_16_64 3
		.amdhsa_dx10_clamp 1
		.amdhsa_ieee_mode 1
		.amdhsa_fp16_overflow 0
		.amdhsa_tg_split 0
		.amdhsa_exception_fp_ieee_invalid_op 0
		.amdhsa_exception_fp_denorm_src 0
		.amdhsa_exception_fp_ieee_div_zero 0
		.amdhsa_exception_fp_ieee_overflow 0
		.amdhsa_exception_fp_ieee_underflow 0
		.amdhsa_exception_fp_ieee_inexact 0
		.amdhsa_exception_int_div_zero 0
	.end_amdhsa_kernel
	.section	.text._ZN5aiter43moe_smooth_per_token_scaled_quant_kernel_v2IDF16_aLi128ELi8EEEvPT0_PfPT_S3_PiS6_S6_iiiiiiiiiibb,"axG",@progbits,_ZN5aiter43moe_smooth_per_token_scaled_quant_kernel_v2IDF16_aLi128ELi8EEEvPT0_PfPT_S3_PiS6_S6_iiiiiiiiiibb,comdat
.Lfunc_end218:
	.size	_ZN5aiter43moe_smooth_per_token_scaled_quant_kernel_v2IDF16_aLi128ELi8EEEvPT0_PfPT_S3_PiS6_S6_iiiiiiiiiibb, .Lfunc_end218-_ZN5aiter43moe_smooth_per_token_scaled_quant_kernel_v2IDF16_aLi128ELi8EEEvPT0_PfPT_S3_PiS6_S6_iiiiiiiiiibb
                                        ; -- End function
	.section	.AMDGPU.csdata,"",@progbits
; Kernel info:
; codeLenInByte = 1128
; NumSgprs: 60
; NumVgprs: 30
; NumAgprs: 0
; TotalNumVgprs: 30
; ScratchSize: 0
; MemoryBound: 0
; FloatMode: 240
; IeeeMode: 1
; LDSByteSize: 8 bytes/workgroup (compile time only)
; SGPRBlocks: 7
; VGPRBlocks: 3
; NumSGPRsForWavesPerEU: 60
; NumVGPRsForWavesPerEU: 30
; AccumOffset: 32
; Occupancy: 8
; WaveLimiterHint : 0
; COMPUTE_PGM_RSRC2:SCRATCH_EN: 0
; COMPUTE_PGM_RSRC2:USER_SGPR: 6
; COMPUTE_PGM_RSRC2:TRAP_HANDLER: 0
; COMPUTE_PGM_RSRC2:TGID_X_EN: 1
; COMPUTE_PGM_RSRC2:TGID_Y_EN: 0
; COMPUTE_PGM_RSRC2:TGID_Z_EN: 0
; COMPUTE_PGM_RSRC2:TIDIG_COMP_CNT: 0
; COMPUTE_PGM_RSRC3_GFX90A:ACCUM_OFFSET: 7
; COMPUTE_PGM_RSRC3_GFX90A:TG_SPLIT: 0
	.section	.text._ZN5aiter43moe_smooth_per_token_scaled_quant_kernel_v2ItaLi128ELi8EEEvPT0_PfPT_S3_PiS6_S6_iiiiiiiiiibb,"axG",@progbits,_ZN5aiter43moe_smooth_per_token_scaled_quant_kernel_v2ItaLi128ELi8EEEvPT0_PfPT_S3_PiS6_S6_iiiiiiiiiibb,comdat
	.protected	_ZN5aiter43moe_smooth_per_token_scaled_quant_kernel_v2ItaLi128ELi8EEEvPT0_PfPT_S3_PiS6_S6_iiiiiiiiiibb ; -- Begin function _ZN5aiter43moe_smooth_per_token_scaled_quant_kernel_v2ItaLi128ELi8EEEvPT0_PfPT_S3_PiS6_S6_iiiiiiiiiibb
	.globl	_ZN5aiter43moe_smooth_per_token_scaled_quant_kernel_v2ItaLi128ELi8EEEvPT0_PfPT_S3_PiS6_S6_iiiiiiiiiibb
	.p2align	8
	.type	_ZN5aiter43moe_smooth_per_token_scaled_quant_kernel_v2ItaLi128ELi8EEEvPT0_PfPT_S3_PiS6_S6_iiiiiiiiiibb,@function
_ZN5aiter43moe_smooth_per_token_scaled_quant_kernel_v2ItaLi128ELi8EEEvPT0_PfPT_S3_PiS6_S6_iiiiiiiiiibb: ; @_ZN5aiter43moe_smooth_per_token_scaled_quant_kernel_v2ItaLi128ELi8EEEvPT0_PfPT_S3_PiS6_S6_iiiiiiiiiibb
; %bb.0:
	s_load_dwordx8 s[12:19], s[4:5], 0x38
	s_waitcnt lgkmcnt(0)
	s_cmp_ge_i32 s6, s14
	s_cbranch_scc1 .LBB219_21
; %bb.1:
	s_load_dwordx4 s[28:31], s[4:5], 0x58
	s_load_dwordx2 s[0:1], s[4:5], 0x30
	s_load_dwordx4 s[36:39], s[4:5], 0x20
	s_load_dwordx8 s[20:27], s[4:5], 0x0
	v_and_b32_e32 v1, 63, v0
	s_waitcnt lgkmcnt(0)
	s_bitcmp1_b32 s30, 8
	s_load_dword s7, s[0:1], 0x0
	s_cselect_b64 s[0:1], -1, 0
	s_ashr_i32 s18, s18, s19
	s_xor_b64 s[10:11], s[0:1], -1
	s_lshl_b32 s42, s18, 2
	s_lshl_b32 s46, s16, 2
	s_cmp_gt_i32 s18, 0
	s_cselect_b64 s[8:9], -1, 0
	s_add_i32 s4, s16, 7
	s_ashr_i32 s5, s4, 31
	s_lshr_b32 s5, s5, 29
	s_add_i32 s30, s16, 3
	s_add_i32 s4, s4, s5
	s_ashr_i32 s31, s30, 31
	v_lshlrev_b32_e32 v16, 2, v1
	v_cmp_eq_u32_e64 s[0:1], 63, v1
	v_lshrrev_b32_e32 v1, 4, v0
	s_ashr_i32 s4, s4, 3
	s_lshr_b32 s31, s31, 30
	v_lshlrev_b32_e32 v17, 3, v0
	v_lshlrev_b32_e32 v18, 5, v0
	;; [unrolled: 1-line block ×3, first 2 shown]
	v_and_b32_e32 v20, 60, v1
	v_and_b32_e32 v1, 1, v0
	v_cmp_eq_u32_e64 s[2:3], 0, v0
	v_cmp_gt_u32_e64 s[4:5], s4, v0
	s_add_i32 s30, s30, s31
	v_cndmask_b32_e64 v0, 0, 1, s[8:9]
	s_lshl_b32 s50, s16, 1
	v_lshlrev_b32_e32 v21, 2, v1
	s_and_b32 s54, s30, -4
	s_mov_b32 s51, 0x20000
	s_mov_b32 s33, 0x2edbe6ff
	v_mov_b32_e32 v22, 0
	v_cmp_ne_u32_e64 s[8:9], 1, v0
	s_branch .LBB219_4
.LBB219_2:                              ;   in Loop: Header=BB219_4 Depth=1
	s_mov_b64 s[34:35], -1
.LBB219_3:                              ;   in Loop: Header=BB219_4 Depth=1
	s_add_i32 s6, s6, s15
	s_cmp_lt_i32 s6, s14
	s_cselect_b64 s[30:31], -1, 0
	s_and_b64 s[30:31], s[34:35], s[30:31]
	s_and_b64 vcc, exec, s[30:31]
	s_cbranch_vccz .LBB219_21
.LBB219_4:                              ; =>This Loop Header: Depth=1
                                        ;     Child Loop BB219_10 Depth 2
	s_mul_i32 s30, s6, s18
	s_waitcnt lgkmcnt(0)
	s_cmp_ge_i32 s30, s7
	s_mov_b64 s[34:35], 0
	s_cbranch_scc1 .LBB219_3
; %bb.5:                                ;   in Loop: Header=BB219_4 Depth=1
	s_ashr_i32 s34, s6, s19
	s_ashr_i32 s35, s34, 31
	s_lshl_b64 s[34:35], s[34:35], 2
	s_add_u32 s34, s38, s34
	s_addc_u32 s35, s39, s35
	s_load_dword s44, s[34:35], 0x0
	s_mov_b64 s[34:35], 0
	s_waitcnt lgkmcnt(0)
	s_cmp_ge_i32 s44, s12
	s_cbranch_scc1 .LBB219_3
; %bb.6:                                ;   in Loop: Header=BB219_4 Depth=1
	s_and_b64 vcc, exec, s[8:9]
	s_cbranch_vccnz .LBB219_2
; %bb.7:                                ;   in Loop: Header=BB219_4 Depth=1
	s_ashr_i32 s31, s30, 31
	s_lshl_b64 s[30:31], s[30:31], 2
	s_add_u32 s40, s36, s30
	s_addc_u32 s30, s37, s31
	s_and_b32 s41, s30, 0xffff
	s_mul_i32 s30, s44, s16
	s_ashr_i32 s31, s30, 31
	s_lshl_b64 s[30:31], s[30:31], 2
	s_add_u32 s44, s26, s30
	s_mov_b32 s43, s51
	s_addc_u32 s30, s27, s31
	buffer_load_dword v8, v16, s[40:43], 0 offen
	s_and_b32 s45, s30, 0xffff
	s_mov_b32 s47, s51
	buffer_load_dwordx4 v[0:3], v18, s[44:47], 16 offen
	buffer_load_dwordx4 v[4:7], v18, s[44:47], 0 offen
	s_mov_b32 s40, 0
	s_waitcnt vmcnt(2)
	v_and_b32_e32 v23, 0xffffff, v8
	v_ashrrev_i32_e32 v24, 24, v8
	s_branch .LBB219_10
.LBB219_8:                              ;   in Loop: Header=BB219_10 Depth=2
	s_or_b64 exec, exec, s[34:35]
	s_add_i32 s40, s40, 1
	s_cmp_eq_u32 s18, s40
	s_cselect_b64 s[30:31], -1, 0
.LBB219_9:                              ;   in Loop: Header=BB219_10 Depth=2
	s_and_b64 vcc, exec, s[30:31]
	s_cbranch_vccnz .LBB219_2
.LBB219_10:                             ;   Parent Loop BB219_4 Depth=1
                                        ; =>  This Inner Loop Header: Depth=2
	v_readlane_b32 s41, v23, s40
	v_readlane_b32 s43, v24, s40
	s_cmp_ge_i32 s41, s13
	s_mov_b64 s[30:31], -1
	s_cbranch_scc1 .LBB219_9
; %bb.11:                               ;   in Loop: Header=BB219_10 Depth=2
	s_mul_hi_i32 s31, s41, s28
	s_mul_i32 s30, s41, s28
	s_mul_i32 s34, s43, s29
	s_ashr_i32 s35, s34, 31
	s_lshl_b64 s[30:31], s[30:31], 1
	s_add_u32 s44, s24, s30
	s_addc_u32 s45, s25, s31
	s_lshl_b64 s[30:31], s[34:35], 1
	s_add_u32 s48, s44, s30
	s_addc_u32 s30, s45, s31
	s_and_b32 s49, s30, 0xffff
	buffer_load_dwordx4 v[8:11], v19, s[48:51], 0 offen
	s_waitcnt vmcnt(0)
	v_cvt_f32_u32_sdwa v13, v8 dst_sel:DWORD dst_unused:UNUSED_PAD src0_sel:WORD_1
	v_cvt_f32_u32_sdwa v12, v8 dst_sel:DWORD dst_unused:UNUSED_PAD src0_sel:WORD_0
	v_cvt_f32_u32_sdwa v27, v9 dst_sel:DWORD dst_unused:UNUSED_PAD src0_sel:WORD_1
	v_cvt_f32_u32_sdwa v26, v9 dst_sel:DWORD dst_unused:UNUSED_PAD src0_sel:WORD_0
	;; [unrolled: 2-line block ×4, first 2 shown]
	v_pk_mul_f32 v[14:15], v[4:5], v[12:13]
	v_pk_mul_f32 v[12:13], v[6:7], v[26:27]
	v_max3_f32 v25, |v14|, s33, |v15|
	v_pk_mul_f32 v[10:11], v[0:1], v[8:9]
	v_max3_f32 v25, v25, |v12|, |v13|
	v_pk_mul_f32 v[8:9], v[2:3], v[28:29]
	v_max3_f32 v25, v25, |v10|, |v11|
	v_max3_f32 v25, v25, |v8|, |v9|
	s_nop 1
	v_mov_b32_dpp v26, v25 quad_perm:[1,0,3,2] row_mask:0xf bank_mask:0xf
	v_cmp_gt_f32_e32 vcc, v25, v26
	v_cndmask_b32_e32 v25, v26, v25, vcc
	s_nop 1
	v_mov_b32_dpp v26, v25 quad_perm:[2,3,0,1] row_mask:0xf bank_mask:0xf
	v_cmp_gt_f32_e32 vcc, v25, v26
	v_cndmask_b32_e32 v25, v26, v25, vcc
	s_nop 1
	v_mov_b32_dpp v26, v25 row_half_mirror row_mask:0xf bank_mask:0xf
	v_cmp_gt_f32_e32 vcc, v25, v26
	v_cndmask_b32_e32 v25, v26, v25, vcc
	s_nop 1
	v_mov_b32_dpp v26, v25 row_mirror row_mask:0xf bank_mask:0xf
	v_cmp_gt_f32_e32 vcc, v25, v26
	v_cndmask_b32_e32 v25, v26, v25, vcc
	s_nop 1
	v_mov_b32_dpp v26, v25 row_bcast:15 row_mask:0xf bank_mask:0xf
	v_cmp_gt_f32_e32 vcc, v25, v26
	v_cndmask_b32_e32 v25, v26, v25, vcc
	s_nop 1
	v_mov_b32_dpp v26, v25 row_bcast:31 row_mask:0xf bank_mask:0xf
	s_and_saveexec_b64 s[30:31], s[0:1]
	s_cbranch_execz .LBB219_13
; %bb.12:                               ;   in Loop: Header=BB219_10 Depth=2
	v_cmp_gt_f32_e32 vcc, v25, v26
	v_cndmask_b32_e32 v25, v26, v25, vcc
	ds_write_b32 v20, v25
.LBB219_13:                             ;   in Loop: Header=BB219_10 Depth=2
	s_or_b64 exec, exec, s[30:31]
	s_waitcnt lgkmcnt(0)
	s_barrier
	ds_read_b32 v25, v21
	s_mov_b64 s[34:35], -1
	s_and_b64 vcc, exec, s[10:11]
                                        ; implicit-def: $sgpr30
	s_waitcnt lgkmcnt(0)
	v_mov_b32_dpp v26, v25 quad_perm:[1,0,3,2] row_mask:0xf bank_mask:0xf
	s_cbranch_vccz .LBB219_15
; %bb.14:                               ;   in Loop: Header=BB219_10 Depth=2
	s_mul_i32 s30, s41, s17
	s_add_i32 s30, s30, s43
	s_mov_b64 s[34:35], 0
.LBB219_15:                             ;   in Loop: Header=BB219_10 Depth=2
	s_andn2_b64 vcc, exec, s[34:35]
	s_cbranch_vccnz .LBB219_17
; %bb.16:                               ;   in Loop: Header=BB219_10 Depth=2
	s_mul_i32 s30, s43, s13
	s_add_i32 s30, s30, s41
.LBB219_17:                             ;   in Loop: Header=BB219_10 Depth=2
	v_cmp_gt_f32_e32 vcc, v25, v26
	v_cndmask_b32_e32 v25, v26, v25, vcc
	v_mul_f32_e32 v25, 0x3c010204, v25
	s_and_saveexec_b64 s[34:35], s[2:3]
	s_cbranch_execz .LBB219_19
; %bb.18:                               ;   in Loop: Header=BB219_10 Depth=2
	s_ashr_i32 s31, s30, 31
	s_lshl_b64 s[44:45], s[30:31], 2
	s_add_u32 s44, s22, s44
	s_addc_u32 s45, s23, s45
	global_store_dword v22, v25, s[44:45]
.LBB219_19:                             ;   in Loop: Header=BB219_10 Depth=2
	s_or_b64 exec, exec, s[34:35]
	s_and_saveexec_b64 s[34:35], s[4:5]
	s_cbranch_execz .LBB219_8
; %bb.20:                               ;   in Loop: Header=BB219_10 Depth=2
	v_rcp_f32_e32 v26, v25
	s_mul_hi_i32 s31, s30, s16
	s_mul_i32 s30, s30, s16
	s_add_u32 s52, s20, s30
	v_mov_b32_e32 v27, v26
	;;#ASMSTART
	v_pk_mul_f32 v[14:15], v[14:15], v[26:27]
	;;#ASMEND
	;;#ASMSTART
	v_pk_mul_f32 v[12:13], v[12:13], v[26:27]
	;;#ASMEND
	;; [unrolled: 3-line block ×4, first 2 shown]
	v_cvt_i32_f32_e32 v14, v14
	v_cvt_i32_f32_sdwa v15, v15 dst_sel:BYTE_1 dst_unused:UNUSED_PAD src0_sel:DWORD
	v_cvt_i32_f32_e32 v12, v12
	v_cvt_i32_f32_sdwa v13, v13 dst_sel:BYTE_1 dst_unused:UNUSED_PAD src0_sel:DWORD
	;; [unrolled: 2-line block ×4, first 2 shown]
	s_addc_u32 s30, s21, s31
	v_or_b32_sdwa v8, v14, v15 dst_sel:DWORD dst_unused:UNUSED_PAD src0_sel:BYTE_0 src1_sel:DWORD
	v_or_b32_sdwa v12, v12, v13 dst_sel:WORD_1 dst_unused:UNUSED_PAD src0_sel:BYTE_0 src1_sel:DWORD
	v_or_b32_sdwa v10, v10, v11 dst_sel:DWORD dst_unused:UNUSED_PAD src0_sel:BYTE_0 src1_sel:DWORD
	v_or_b32_sdwa v9, v25, v9 dst_sel:WORD_1 dst_unused:UNUSED_PAD src0_sel:BYTE_0 src1_sel:DWORD
	s_and_b32 s53, s30, 0xffff
	s_mov_b32 s55, s51
	v_or_b32_sdwa v8, v8, v12 dst_sel:DWORD dst_unused:UNUSED_PAD src0_sel:WORD_0 src1_sel:DWORD
	v_or_b32_sdwa v9, v10, v9 dst_sel:DWORD dst_unused:UNUSED_PAD src0_sel:WORD_0 src1_sel:DWORD
	buffer_store_dwordx2 v[8:9], v17, s[52:55], 0 offen
	;;#ASMSTART
	s_nop 0
	;;#ASMEND
	s_branch .LBB219_8
.LBB219_21:
	s_endpgm
	.section	.rodata,"a",@progbits
	.p2align	6, 0x0
	.amdhsa_kernel _ZN5aiter43moe_smooth_per_token_scaled_quant_kernel_v2ItaLi128ELi8EEEvPT0_PfPT_S3_PiS6_S6_iiiiiiiiiibb
		.amdhsa_group_segment_fixed_size 8
		.amdhsa_private_segment_fixed_size 0
		.amdhsa_kernarg_size 100
		.amdhsa_user_sgpr_count 6
		.amdhsa_user_sgpr_private_segment_buffer 1
		.amdhsa_user_sgpr_dispatch_ptr 0
		.amdhsa_user_sgpr_queue_ptr 0
		.amdhsa_user_sgpr_kernarg_segment_ptr 1
		.amdhsa_user_sgpr_dispatch_id 0
		.amdhsa_user_sgpr_flat_scratch_init 0
		.amdhsa_user_sgpr_kernarg_preload_length 0
		.amdhsa_user_sgpr_kernarg_preload_offset 0
		.amdhsa_user_sgpr_private_segment_size 0
		.amdhsa_uses_dynamic_stack 0
		.amdhsa_system_sgpr_private_segment_wavefront_offset 0
		.amdhsa_system_sgpr_workgroup_id_x 1
		.amdhsa_system_sgpr_workgroup_id_y 0
		.amdhsa_system_sgpr_workgroup_id_z 0
		.amdhsa_system_sgpr_workgroup_info 0
		.amdhsa_system_vgpr_workitem_id 0
		.amdhsa_next_free_vgpr 30
		.amdhsa_next_free_sgpr 56
		.amdhsa_accum_offset 32
		.amdhsa_reserve_vcc 1
		.amdhsa_reserve_flat_scratch 0
		.amdhsa_float_round_mode_32 0
		.amdhsa_float_round_mode_16_64 0
		.amdhsa_float_denorm_mode_32 3
		.amdhsa_float_denorm_mode_16_64 3
		.amdhsa_dx10_clamp 1
		.amdhsa_ieee_mode 1
		.amdhsa_fp16_overflow 0
		.amdhsa_tg_split 0
		.amdhsa_exception_fp_ieee_invalid_op 0
		.amdhsa_exception_fp_denorm_src 0
		.amdhsa_exception_fp_ieee_div_zero 0
		.amdhsa_exception_fp_ieee_overflow 0
		.amdhsa_exception_fp_ieee_underflow 0
		.amdhsa_exception_fp_ieee_inexact 0
		.amdhsa_exception_int_div_zero 0
	.end_amdhsa_kernel
	.section	.text._ZN5aiter43moe_smooth_per_token_scaled_quant_kernel_v2ItaLi128ELi8EEEvPT0_PfPT_S3_PiS6_S6_iiiiiiiiiibb,"axG",@progbits,_ZN5aiter43moe_smooth_per_token_scaled_quant_kernel_v2ItaLi128ELi8EEEvPT0_PfPT_S3_PiS6_S6_iiiiiiiiiibb,comdat
.Lfunc_end219:
	.size	_ZN5aiter43moe_smooth_per_token_scaled_quant_kernel_v2ItaLi128ELi8EEEvPT0_PfPT_S3_PiS6_S6_iiiiiiiiiibb, .Lfunc_end219-_ZN5aiter43moe_smooth_per_token_scaled_quant_kernel_v2ItaLi128ELi8EEEvPT0_PfPT_S3_PiS6_S6_iiiiiiiiiibb
                                        ; -- End function
	.section	.AMDGPU.csdata,"",@progbits
; Kernel info:
; codeLenInByte = 1144
; NumSgprs: 60
; NumVgprs: 30
; NumAgprs: 0
; TotalNumVgprs: 30
; ScratchSize: 0
; MemoryBound: 0
; FloatMode: 240
; IeeeMode: 1
; LDSByteSize: 8 bytes/workgroup (compile time only)
; SGPRBlocks: 7
; VGPRBlocks: 3
; NumSGPRsForWavesPerEU: 60
; NumVGPRsForWavesPerEU: 30
; AccumOffset: 32
; Occupancy: 8
; WaveLimiterHint : 0
; COMPUTE_PGM_RSRC2:SCRATCH_EN: 0
; COMPUTE_PGM_RSRC2:USER_SGPR: 6
; COMPUTE_PGM_RSRC2:TRAP_HANDLER: 0
; COMPUTE_PGM_RSRC2:TGID_X_EN: 1
; COMPUTE_PGM_RSRC2:TGID_Y_EN: 0
; COMPUTE_PGM_RSRC2:TGID_Z_EN: 0
; COMPUTE_PGM_RSRC2:TIDIG_COMP_CNT: 0
; COMPUTE_PGM_RSRC3_GFX90A:ACCUM_OFFSET: 7
; COMPUTE_PGM_RSRC3_GFX90A:TG_SPLIT: 0
	.section	.text._ZN5aiter43moe_smooth_per_token_scaled_quant_kernel_v2IDF16_aLi256ELi8EEEvPT0_PfPT_S3_PiS6_S6_iiiiiiiiiibb,"axG",@progbits,_ZN5aiter43moe_smooth_per_token_scaled_quant_kernel_v2IDF16_aLi256ELi8EEEvPT0_PfPT_S3_PiS6_S6_iiiiiiiiiibb,comdat
	.protected	_ZN5aiter43moe_smooth_per_token_scaled_quant_kernel_v2IDF16_aLi256ELi8EEEvPT0_PfPT_S3_PiS6_S6_iiiiiiiiiibb ; -- Begin function _ZN5aiter43moe_smooth_per_token_scaled_quant_kernel_v2IDF16_aLi256ELi8EEEvPT0_PfPT_S3_PiS6_S6_iiiiiiiiiibb
	.globl	_ZN5aiter43moe_smooth_per_token_scaled_quant_kernel_v2IDF16_aLi256ELi8EEEvPT0_PfPT_S3_PiS6_S6_iiiiiiiiiibb
	.p2align	8
	.type	_ZN5aiter43moe_smooth_per_token_scaled_quant_kernel_v2IDF16_aLi256ELi8EEEvPT0_PfPT_S3_PiS6_S6_iiiiiiiiiibb,@function
_ZN5aiter43moe_smooth_per_token_scaled_quant_kernel_v2IDF16_aLi256ELi8EEEvPT0_PfPT_S3_PiS6_S6_iiiiiiiiiibb: ; @_ZN5aiter43moe_smooth_per_token_scaled_quant_kernel_v2IDF16_aLi256ELi8EEEvPT0_PfPT_S3_PiS6_S6_iiiiiiiiiibb
; %bb.0:
	s_load_dwordx8 s[12:19], s[4:5], 0x38
	s_waitcnt lgkmcnt(0)
	s_cmp_ge_i32 s6, s14
	s_cbranch_scc1 .LBB220_21
; %bb.1:
	s_load_dwordx4 s[28:31], s[4:5], 0x58
	s_load_dwordx2 s[0:1], s[4:5], 0x30
	s_load_dwordx4 s[36:39], s[4:5], 0x20
	s_load_dwordx8 s[20:27], s[4:5], 0x0
	v_and_b32_e32 v1, 63, v0
	s_waitcnt lgkmcnt(0)
	s_bitcmp1_b32 s30, 8
	s_load_dword s7, s[0:1], 0x0
	s_cselect_b64 s[0:1], -1, 0
	s_ashr_i32 s18, s18, s19
	s_xor_b64 s[10:11], s[0:1], -1
	s_lshl_b32 s42, s18, 2
	s_lshl_b32 s46, s16, 2
	s_cmp_gt_i32 s18, 0
	s_cselect_b64 s[8:9], -1, 0
	s_add_i32 s4, s16, 7
	s_ashr_i32 s5, s4, 31
	s_lshr_b32 s5, s5, 29
	s_add_i32 s30, s16, 3
	s_add_i32 s4, s4, s5
	s_ashr_i32 s31, s30, 31
	v_lshlrev_b32_e32 v16, 2, v1
	v_cmp_eq_u32_e64 s[0:1], 63, v1
	v_lshrrev_b32_e32 v1, 4, v0
	s_ashr_i32 s4, s4, 3
	s_lshr_b32 s31, s31, 30
	v_lshlrev_b32_e32 v17, 3, v0
	v_lshlrev_b32_e32 v18, 5, v0
	;; [unrolled: 1-line block ×3, first 2 shown]
	v_and_b32_e32 v20, 60, v1
	v_and_b32_e32 v1, 3, v0
	v_cmp_eq_u32_e64 s[2:3], 0, v0
	v_cmp_gt_u32_e64 s[4:5], s4, v0
	s_add_i32 s30, s30, s31
	v_cndmask_b32_e64 v0, 0, 1, s[8:9]
	s_lshl_b32 s50, s16, 1
	v_lshlrev_b32_e32 v21, 2, v1
	s_and_b32 s54, s30, -4
	s_mov_b32 s51, 0x20000
	s_mov_b32 s33, 0x2edbe6ff
	v_mov_b32_e32 v22, 0
	v_cmp_ne_u32_e64 s[8:9], 1, v0
	s_branch .LBB220_4
.LBB220_2:                              ;   in Loop: Header=BB220_4 Depth=1
	s_mov_b64 s[34:35], -1
.LBB220_3:                              ;   in Loop: Header=BB220_4 Depth=1
	s_add_i32 s6, s6, s15
	s_cmp_lt_i32 s6, s14
	s_cselect_b64 s[30:31], -1, 0
	s_and_b64 s[30:31], s[34:35], s[30:31]
	s_and_b64 vcc, exec, s[30:31]
	s_cbranch_vccz .LBB220_21
.LBB220_4:                              ; =>This Loop Header: Depth=1
                                        ;     Child Loop BB220_10 Depth 2
	s_mul_i32 s30, s6, s18
	s_waitcnt lgkmcnt(0)
	s_cmp_ge_i32 s30, s7
	s_mov_b64 s[34:35], 0
	s_cbranch_scc1 .LBB220_3
; %bb.5:                                ;   in Loop: Header=BB220_4 Depth=1
	s_ashr_i32 s34, s6, s19
	s_ashr_i32 s35, s34, 31
	s_lshl_b64 s[34:35], s[34:35], 2
	s_add_u32 s34, s38, s34
	s_addc_u32 s35, s39, s35
	s_load_dword s44, s[34:35], 0x0
	s_mov_b64 s[34:35], 0
	s_waitcnt lgkmcnt(0)
	s_cmp_ge_i32 s44, s12
	s_cbranch_scc1 .LBB220_3
; %bb.6:                                ;   in Loop: Header=BB220_4 Depth=1
	s_and_b64 vcc, exec, s[8:9]
	s_cbranch_vccnz .LBB220_2
; %bb.7:                                ;   in Loop: Header=BB220_4 Depth=1
	s_ashr_i32 s31, s30, 31
	s_lshl_b64 s[30:31], s[30:31], 2
	s_add_u32 s40, s36, s30
	s_addc_u32 s30, s37, s31
	s_and_b32 s41, s30, 0xffff
	s_mul_i32 s30, s44, s16
	s_ashr_i32 s31, s30, 31
	s_lshl_b64 s[30:31], s[30:31], 2
	s_add_u32 s44, s26, s30
	s_mov_b32 s43, s51
	s_addc_u32 s30, s27, s31
	buffer_load_dword v8, v16, s[40:43], 0 offen
	s_and_b32 s45, s30, 0xffff
	s_mov_b32 s47, s51
	buffer_load_dwordx4 v[0:3], v18, s[44:47], 16 offen
	buffer_load_dwordx4 v[4:7], v18, s[44:47], 0 offen
	s_mov_b32 s40, 0
	s_waitcnt vmcnt(2)
	v_and_b32_e32 v23, 0xffffff, v8
	v_ashrrev_i32_e32 v24, 24, v8
	s_branch .LBB220_10
.LBB220_8:                              ;   in Loop: Header=BB220_10 Depth=2
	s_or_b64 exec, exec, s[34:35]
	s_add_i32 s40, s40, 1
	s_cmp_eq_u32 s18, s40
	s_cselect_b64 s[30:31], -1, 0
.LBB220_9:                              ;   in Loop: Header=BB220_10 Depth=2
	s_and_b64 vcc, exec, s[30:31]
	s_cbranch_vccnz .LBB220_2
.LBB220_10:                             ;   Parent Loop BB220_4 Depth=1
                                        ; =>  This Inner Loop Header: Depth=2
	v_readlane_b32 s41, v23, s40
	v_readlane_b32 s43, v24, s40
	s_cmp_ge_i32 s41, s13
	s_mov_b64 s[30:31], -1
	s_cbranch_scc1 .LBB220_9
; %bb.11:                               ;   in Loop: Header=BB220_10 Depth=2
	s_mul_hi_i32 s31, s41, s28
	s_mul_i32 s30, s41, s28
	s_mul_i32 s34, s43, s29
	s_ashr_i32 s35, s34, 31
	s_lshl_b64 s[30:31], s[30:31], 1
	s_add_u32 s44, s24, s30
	s_addc_u32 s45, s25, s31
	s_lshl_b64 s[30:31], s[34:35], 1
	s_add_u32 s48, s44, s30
	s_addc_u32 s30, s45, s31
	s_and_b32 s49, s30, 0xffff
	buffer_load_dwordx4 v[8:11], v19, s[48:51], 0 offen
	s_waitcnt vmcnt(0)
	v_cvt_f32_f16_e32 v12, v8
	v_cvt_f32_f16_sdwa v13, v8 dst_sel:DWORD dst_unused:UNUSED_PAD src0_sel:WORD_1
	v_cvt_f32_f16_e32 v8, v9
	v_cvt_f32_f16_sdwa v9, v9 dst_sel:DWORD dst_unused:UNUSED_PAD src0_sel:WORD_1
	v_cvt_f32_f16_e32 v26, v10
	v_cvt_f32_f16_sdwa v27, v10 dst_sel:DWORD dst_unused:UNUSED_PAD src0_sel:WORD_1
	v_cvt_f32_f16_e32 v28, v11
	v_cvt_f32_f16_sdwa v29, v11 dst_sel:DWORD dst_unused:UNUSED_PAD src0_sel:WORD_1
	v_pk_mul_f32 v[14:15], v[4:5], v[12:13]
	v_pk_mul_f32 v[12:13], v[6:7], v[8:9]
	v_max3_f32 v25, |v14|, s33, |v15|
	v_pk_mul_f32 v[10:11], v[0:1], v[26:27]
	v_max3_f32 v25, v25, |v12|, |v13|
	v_pk_mul_f32 v[8:9], v[2:3], v[28:29]
	v_max3_f32 v25, v25, |v10|, |v11|
	v_max3_f32 v25, v25, |v8|, |v9|
	s_nop 1
	v_mov_b32_dpp v26, v25 quad_perm:[1,0,3,2] row_mask:0xf bank_mask:0xf
	v_cmp_gt_f32_e32 vcc, v25, v26
	v_cndmask_b32_e32 v25, v26, v25, vcc
	s_nop 1
	v_mov_b32_dpp v26, v25 quad_perm:[2,3,0,1] row_mask:0xf bank_mask:0xf
	v_cmp_gt_f32_e32 vcc, v25, v26
	v_cndmask_b32_e32 v25, v26, v25, vcc
	s_nop 1
	v_mov_b32_dpp v26, v25 row_half_mirror row_mask:0xf bank_mask:0xf
	v_cmp_gt_f32_e32 vcc, v25, v26
	v_cndmask_b32_e32 v25, v26, v25, vcc
	s_nop 1
	v_mov_b32_dpp v26, v25 row_mirror row_mask:0xf bank_mask:0xf
	v_cmp_gt_f32_e32 vcc, v25, v26
	v_cndmask_b32_e32 v25, v26, v25, vcc
	s_nop 1
	v_mov_b32_dpp v26, v25 row_bcast:15 row_mask:0xf bank_mask:0xf
	v_cmp_gt_f32_e32 vcc, v25, v26
	v_cndmask_b32_e32 v25, v26, v25, vcc
	s_nop 1
	v_mov_b32_dpp v26, v25 row_bcast:31 row_mask:0xf bank_mask:0xf
	s_and_saveexec_b64 s[30:31], s[0:1]
	s_cbranch_execz .LBB220_13
; %bb.12:                               ;   in Loop: Header=BB220_10 Depth=2
	v_cmp_gt_f32_e32 vcc, v25, v26
	v_cndmask_b32_e32 v25, v26, v25, vcc
	ds_write_b32 v20, v25
.LBB220_13:                             ;   in Loop: Header=BB220_10 Depth=2
	s_or_b64 exec, exec, s[30:31]
	s_waitcnt lgkmcnt(0)
	s_barrier
	ds_read_b32 v25, v21
	s_mov_b64 s[34:35], -1
                                        ; implicit-def: $sgpr30
	s_waitcnt lgkmcnt(0)
	v_mov_b32_dpp v26, v25 quad_perm:[1,0,3,2] row_mask:0xf bank_mask:0xf
	v_cmp_gt_f32_e32 vcc, v25, v26
	v_cndmask_b32_e32 v25, v26, v25, vcc
	s_and_b64 vcc, exec, s[10:11]
	s_nop 0
	v_mov_b32_dpp v26, v25 quad_perm:[2,3,0,1] row_mask:0xf bank_mask:0xf
	s_cbranch_vccz .LBB220_15
; %bb.14:                               ;   in Loop: Header=BB220_10 Depth=2
	s_mul_i32 s30, s41, s17
	s_add_i32 s30, s30, s43
	s_mov_b64 s[34:35], 0
.LBB220_15:                             ;   in Loop: Header=BB220_10 Depth=2
	s_andn2_b64 vcc, exec, s[34:35]
	s_cbranch_vccnz .LBB220_17
; %bb.16:                               ;   in Loop: Header=BB220_10 Depth=2
	s_mul_i32 s30, s43, s13
	s_add_i32 s30, s30, s41
.LBB220_17:                             ;   in Loop: Header=BB220_10 Depth=2
	v_cmp_gt_f32_e32 vcc, v25, v26
	v_cndmask_b32_e32 v25, v26, v25, vcc
	v_mul_f32_e32 v25, 0x3c010204, v25
	s_and_saveexec_b64 s[34:35], s[2:3]
	s_cbranch_execz .LBB220_19
; %bb.18:                               ;   in Loop: Header=BB220_10 Depth=2
	s_ashr_i32 s31, s30, 31
	s_lshl_b64 s[44:45], s[30:31], 2
	s_add_u32 s44, s22, s44
	s_addc_u32 s45, s23, s45
	global_store_dword v22, v25, s[44:45]
.LBB220_19:                             ;   in Loop: Header=BB220_10 Depth=2
	s_or_b64 exec, exec, s[34:35]
	s_and_saveexec_b64 s[34:35], s[4:5]
	s_cbranch_execz .LBB220_8
; %bb.20:                               ;   in Loop: Header=BB220_10 Depth=2
	v_rcp_f32_e32 v26, v25
	s_mul_hi_i32 s31, s30, s16
	s_mul_i32 s30, s30, s16
	s_add_u32 s52, s20, s30
	v_mov_b32_e32 v27, v26
	;;#ASMSTART
	v_pk_mul_f32 v[14:15], v[14:15], v[26:27]
	;;#ASMEND
	;;#ASMSTART
	v_pk_mul_f32 v[12:13], v[12:13], v[26:27]
	;;#ASMEND
	;; [unrolled: 3-line block ×4, first 2 shown]
	v_cvt_i32_f32_e32 v14, v14
	v_cvt_i32_f32_sdwa v15, v15 dst_sel:BYTE_1 dst_unused:UNUSED_PAD src0_sel:DWORD
	v_cvt_i32_f32_e32 v12, v12
	v_cvt_i32_f32_sdwa v13, v13 dst_sel:BYTE_1 dst_unused:UNUSED_PAD src0_sel:DWORD
	;; [unrolled: 2-line block ×4, first 2 shown]
	s_addc_u32 s30, s21, s31
	v_or_b32_sdwa v8, v14, v15 dst_sel:DWORD dst_unused:UNUSED_PAD src0_sel:BYTE_0 src1_sel:DWORD
	v_or_b32_sdwa v12, v12, v13 dst_sel:WORD_1 dst_unused:UNUSED_PAD src0_sel:BYTE_0 src1_sel:DWORD
	v_or_b32_sdwa v10, v10, v11 dst_sel:DWORD dst_unused:UNUSED_PAD src0_sel:BYTE_0 src1_sel:DWORD
	v_or_b32_sdwa v9, v25, v9 dst_sel:WORD_1 dst_unused:UNUSED_PAD src0_sel:BYTE_0 src1_sel:DWORD
	s_and_b32 s53, s30, 0xffff
	s_mov_b32 s55, s51
	v_or_b32_sdwa v8, v8, v12 dst_sel:DWORD dst_unused:UNUSED_PAD src0_sel:WORD_0 src1_sel:DWORD
	v_or_b32_sdwa v9, v10, v9 dst_sel:DWORD dst_unused:UNUSED_PAD src0_sel:WORD_0 src1_sel:DWORD
	buffer_store_dwordx2 v[8:9], v17, s[52:55], 0 offen
	;;#ASMSTART
	s_nop 0
	;;#ASMEND
	s_branch .LBB220_8
.LBB220_21:
	s_endpgm
	.section	.rodata,"a",@progbits
	.p2align	6, 0x0
	.amdhsa_kernel _ZN5aiter43moe_smooth_per_token_scaled_quant_kernel_v2IDF16_aLi256ELi8EEEvPT0_PfPT_S3_PiS6_S6_iiiiiiiiiibb
		.amdhsa_group_segment_fixed_size 16
		.amdhsa_private_segment_fixed_size 0
		.amdhsa_kernarg_size 100
		.amdhsa_user_sgpr_count 6
		.amdhsa_user_sgpr_private_segment_buffer 1
		.amdhsa_user_sgpr_dispatch_ptr 0
		.amdhsa_user_sgpr_queue_ptr 0
		.amdhsa_user_sgpr_kernarg_segment_ptr 1
		.amdhsa_user_sgpr_dispatch_id 0
		.amdhsa_user_sgpr_flat_scratch_init 0
		.amdhsa_user_sgpr_kernarg_preload_length 0
		.amdhsa_user_sgpr_kernarg_preload_offset 0
		.amdhsa_user_sgpr_private_segment_size 0
		.amdhsa_uses_dynamic_stack 0
		.amdhsa_system_sgpr_private_segment_wavefront_offset 0
		.amdhsa_system_sgpr_workgroup_id_x 1
		.amdhsa_system_sgpr_workgroup_id_y 0
		.amdhsa_system_sgpr_workgroup_id_z 0
		.amdhsa_system_sgpr_workgroup_info 0
		.amdhsa_system_vgpr_workitem_id 0
		.amdhsa_next_free_vgpr 30
		.amdhsa_next_free_sgpr 56
		.amdhsa_accum_offset 32
		.amdhsa_reserve_vcc 1
		.amdhsa_reserve_flat_scratch 0
		.amdhsa_float_round_mode_32 0
		.amdhsa_float_round_mode_16_64 0
		.amdhsa_float_denorm_mode_32 3
		.amdhsa_float_denorm_mode_16_64 3
		.amdhsa_dx10_clamp 1
		.amdhsa_ieee_mode 1
		.amdhsa_fp16_overflow 0
		.amdhsa_tg_split 0
		.amdhsa_exception_fp_ieee_invalid_op 0
		.amdhsa_exception_fp_denorm_src 0
		.amdhsa_exception_fp_ieee_div_zero 0
		.amdhsa_exception_fp_ieee_overflow 0
		.amdhsa_exception_fp_ieee_underflow 0
		.amdhsa_exception_fp_ieee_inexact 0
		.amdhsa_exception_int_div_zero 0
	.end_amdhsa_kernel
	.section	.text._ZN5aiter43moe_smooth_per_token_scaled_quant_kernel_v2IDF16_aLi256ELi8EEEvPT0_PfPT_S3_PiS6_S6_iiiiiiiiiibb,"axG",@progbits,_ZN5aiter43moe_smooth_per_token_scaled_quant_kernel_v2IDF16_aLi256ELi8EEEvPT0_PfPT_S3_PiS6_S6_iiiiiiiiiibb,comdat
.Lfunc_end220:
	.size	_ZN5aiter43moe_smooth_per_token_scaled_quant_kernel_v2IDF16_aLi256ELi8EEEvPT0_PfPT_S3_PiS6_S6_iiiiiiiiiibb, .Lfunc_end220-_ZN5aiter43moe_smooth_per_token_scaled_quant_kernel_v2IDF16_aLi256ELi8EEEvPT0_PfPT_S3_PiS6_S6_iiiiiiiiiibb
                                        ; -- End function
	.section	.AMDGPU.csdata,"",@progbits
; Kernel info:
; codeLenInByte = 1148
; NumSgprs: 60
; NumVgprs: 30
; NumAgprs: 0
; TotalNumVgprs: 30
; ScratchSize: 0
; MemoryBound: 0
; FloatMode: 240
; IeeeMode: 1
; LDSByteSize: 16 bytes/workgroup (compile time only)
; SGPRBlocks: 7
; VGPRBlocks: 3
; NumSGPRsForWavesPerEU: 60
; NumVGPRsForWavesPerEU: 30
; AccumOffset: 32
; Occupancy: 8
; WaveLimiterHint : 0
; COMPUTE_PGM_RSRC2:SCRATCH_EN: 0
; COMPUTE_PGM_RSRC2:USER_SGPR: 6
; COMPUTE_PGM_RSRC2:TRAP_HANDLER: 0
; COMPUTE_PGM_RSRC2:TGID_X_EN: 1
; COMPUTE_PGM_RSRC2:TGID_Y_EN: 0
; COMPUTE_PGM_RSRC2:TGID_Z_EN: 0
; COMPUTE_PGM_RSRC2:TIDIG_COMP_CNT: 0
; COMPUTE_PGM_RSRC3_GFX90A:ACCUM_OFFSET: 7
; COMPUTE_PGM_RSRC3_GFX90A:TG_SPLIT: 0
	.section	.text._ZN5aiter43moe_smooth_per_token_scaled_quant_kernel_v2ItaLi256ELi8EEEvPT0_PfPT_S3_PiS6_S6_iiiiiiiiiibb,"axG",@progbits,_ZN5aiter43moe_smooth_per_token_scaled_quant_kernel_v2ItaLi256ELi8EEEvPT0_PfPT_S3_PiS6_S6_iiiiiiiiiibb,comdat
	.protected	_ZN5aiter43moe_smooth_per_token_scaled_quant_kernel_v2ItaLi256ELi8EEEvPT0_PfPT_S3_PiS6_S6_iiiiiiiiiibb ; -- Begin function _ZN5aiter43moe_smooth_per_token_scaled_quant_kernel_v2ItaLi256ELi8EEEvPT0_PfPT_S3_PiS6_S6_iiiiiiiiiibb
	.globl	_ZN5aiter43moe_smooth_per_token_scaled_quant_kernel_v2ItaLi256ELi8EEEvPT0_PfPT_S3_PiS6_S6_iiiiiiiiiibb
	.p2align	8
	.type	_ZN5aiter43moe_smooth_per_token_scaled_quant_kernel_v2ItaLi256ELi8EEEvPT0_PfPT_S3_PiS6_S6_iiiiiiiiiibb,@function
_ZN5aiter43moe_smooth_per_token_scaled_quant_kernel_v2ItaLi256ELi8EEEvPT0_PfPT_S3_PiS6_S6_iiiiiiiiiibb: ; @_ZN5aiter43moe_smooth_per_token_scaled_quant_kernel_v2ItaLi256ELi8EEEvPT0_PfPT_S3_PiS6_S6_iiiiiiiiiibb
; %bb.0:
	s_load_dwordx8 s[12:19], s[4:5], 0x38
	s_waitcnt lgkmcnt(0)
	s_cmp_ge_i32 s6, s14
	s_cbranch_scc1 .LBB221_21
; %bb.1:
	s_load_dwordx4 s[28:31], s[4:5], 0x58
	s_load_dwordx2 s[0:1], s[4:5], 0x30
	s_load_dwordx4 s[36:39], s[4:5], 0x20
	s_load_dwordx8 s[20:27], s[4:5], 0x0
	v_and_b32_e32 v1, 63, v0
	s_waitcnt lgkmcnt(0)
	s_bitcmp1_b32 s30, 8
	s_load_dword s7, s[0:1], 0x0
	s_cselect_b64 s[0:1], -1, 0
	s_ashr_i32 s18, s18, s19
	s_xor_b64 s[10:11], s[0:1], -1
	s_lshl_b32 s42, s18, 2
	s_lshl_b32 s46, s16, 2
	s_cmp_gt_i32 s18, 0
	s_cselect_b64 s[8:9], -1, 0
	s_add_i32 s4, s16, 7
	s_ashr_i32 s5, s4, 31
	s_lshr_b32 s5, s5, 29
	s_add_i32 s30, s16, 3
	s_add_i32 s4, s4, s5
	s_ashr_i32 s31, s30, 31
	v_lshlrev_b32_e32 v16, 2, v1
	v_cmp_eq_u32_e64 s[0:1], 63, v1
	v_lshrrev_b32_e32 v1, 4, v0
	s_ashr_i32 s4, s4, 3
	s_lshr_b32 s31, s31, 30
	v_lshlrev_b32_e32 v17, 3, v0
	v_lshlrev_b32_e32 v18, 5, v0
	;; [unrolled: 1-line block ×3, first 2 shown]
	v_and_b32_e32 v20, 60, v1
	v_and_b32_e32 v1, 3, v0
	v_cmp_eq_u32_e64 s[2:3], 0, v0
	v_cmp_gt_u32_e64 s[4:5], s4, v0
	s_add_i32 s30, s30, s31
	v_cndmask_b32_e64 v0, 0, 1, s[8:9]
	s_lshl_b32 s50, s16, 1
	v_lshlrev_b32_e32 v21, 2, v1
	s_and_b32 s54, s30, -4
	s_mov_b32 s51, 0x20000
	s_mov_b32 s33, 0x2edbe6ff
	v_mov_b32_e32 v22, 0
	v_cmp_ne_u32_e64 s[8:9], 1, v0
	s_branch .LBB221_4
.LBB221_2:                              ;   in Loop: Header=BB221_4 Depth=1
	s_mov_b64 s[34:35], -1
.LBB221_3:                              ;   in Loop: Header=BB221_4 Depth=1
	s_add_i32 s6, s6, s15
	s_cmp_lt_i32 s6, s14
	s_cselect_b64 s[30:31], -1, 0
	s_and_b64 s[30:31], s[34:35], s[30:31]
	s_and_b64 vcc, exec, s[30:31]
	s_cbranch_vccz .LBB221_21
.LBB221_4:                              ; =>This Loop Header: Depth=1
                                        ;     Child Loop BB221_10 Depth 2
	s_mul_i32 s30, s6, s18
	s_waitcnt lgkmcnt(0)
	s_cmp_ge_i32 s30, s7
	s_mov_b64 s[34:35], 0
	s_cbranch_scc1 .LBB221_3
; %bb.5:                                ;   in Loop: Header=BB221_4 Depth=1
	s_ashr_i32 s34, s6, s19
	s_ashr_i32 s35, s34, 31
	s_lshl_b64 s[34:35], s[34:35], 2
	s_add_u32 s34, s38, s34
	s_addc_u32 s35, s39, s35
	s_load_dword s44, s[34:35], 0x0
	s_mov_b64 s[34:35], 0
	s_waitcnt lgkmcnt(0)
	s_cmp_ge_i32 s44, s12
	s_cbranch_scc1 .LBB221_3
; %bb.6:                                ;   in Loop: Header=BB221_4 Depth=1
	s_and_b64 vcc, exec, s[8:9]
	s_cbranch_vccnz .LBB221_2
; %bb.7:                                ;   in Loop: Header=BB221_4 Depth=1
	s_ashr_i32 s31, s30, 31
	s_lshl_b64 s[30:31], s[30:31], 2
	s_add_u32 s40, s36, s30
	s_addc_u32 s30, s37, s31
	s_and_b32 s41, s30, 0xffff
	s_mul_i32 s30, s44, s16
	s_ashr_i32 s31, s30, 31
	s_lshl_b64 s[30:31], s[30:31], 2
	s_add_u32 s44, s26, s30
	s_mov_b32 s43, s51
	s_addc_u32 s30, s27, s31
	buffer_load_dword v8, v16, s[40:43], 0 offen
	s_and_b32 s45, s30, 0xffff
	s_mov_b32 s47, s51
	buffer_load_dwordx4 v[0:3], v18, s[44:47], 16 offen
	buffer_load_dwordx4 v[4:7], v18, s[44:47], 0 offen
	s_mov_b32 s40, 0
	s_waitcnt vmcnt(2)
	v_and_b32_e32 v23, 0xffffff, v8
	v_ashrrev_i32_e32 v24, 24, v8
	s_branch .LBB221_10
.LBB221_8:                              ;   in Loop: Header=BB221_10 Depth=2
	s_or_b64 exec, exec, s[34:35]
	s_add_i32 s40, s40, 1
	s_cmp_eq_u32 s18, s40
	s_cselect_b64 s[30:31], -1, 0
.LBB221_9:                              ;   in Loop: Header=BB221_10 Depth=2
	s_and_b64 vcc, exec, s[30:31]
	s_cbranch_vccnz .LBB221_2
.LBB221_10:                             ;   Parent Loop BB221_4 Depth=1
                                        ; =>  This Inner Loop Header: Depth=2
	v_readlane_b32 s41, v23, s40
	v_readlane_b32 s43, v24, s40
	s_cmp_ge_i32 s41, s13
	s_mov_b64 s[30:31], -1
	s_cbranch_scc1 .LBB221_9
; %bb.11:                               ;   in Loop: Header=BB221_10 Depth=2
	s_mul_hi_i32 s31, s41, s28
	s_mul_i32 s30, s41, s28
	s_mul_i32 s34, s43, s29
	s_ashr_i32 s35, s34, 31
	s_lshl_b64 s[30:31], s[30:31], 1
	s_add_u32 s44, s24, s30
	s_addc_u32 s45, s25, s31
	s_lshl_b64 s[30:31], s[34:35], 1
	s_add_u32 s48, s44, s30
	s_addc_u32 s30, s45, s31
	s_and_b32 s49, s30, 0xffff
	buffer_load_dwordx4 v[8:11], v19, s[48:51], 0 offen
	s_waitcnt vmcnt(0)
	v_cvt_f32_u32_sdwa v13, v8 dst_sel:DWORD dst_unused:UNUSED_PAD src0_sel:WORD_1
	v_cvt_f32_u32_sdwa v12, v8 dst_sel:DWORD dst_unused:UNUSED_PAD src0_sel:WORD_0
	v_cvt_f32_u32_sdwa v27, v9 dst_sel:DWORD dst_unused:UNUSED_PAD src0_sel:WORD_1
	v_cvt_f32_u32_sdwa v26, v9 dst_sel:DWORD dst_unused:UNUSED_PAD src0_sel:WORD_0
	;; [unrolled: 2-line block ×4, first 2 shown]
	v_pk_mul_f32 v[14:15], v[4:5], v[12:13]
	v_pk_mul_f32 v[12:13], v[6:7], v[26:27]
	v_max3_f32 v25, |v14|, s33, |v15|
	v_pk_mul_f32 v[10:11], v[0:1], v[8:9]
	v_max3_f32 v25, v25, |v12|, |v13|
	v_pk_mul_f32 v[8:9], v[2:3], v[28:29]
	v_max3_f32 v25, v25, |v10|, |v11|
	v_max3_f32 v25, v25, |v8|, |v9|
	s_nop 1
	v_mov_b32_dpp v26, v25 quad_perm:[1,0,3,2] row_mask:0xf bank_mask:0xf
	v_cmp_gt_f32_e32 vcc, v25, v26
	v_cndmask_b32_e32 v25, v26, v25, vcc
	s_nop 1
	v_mov_b32_dpp v26, v25 quad_perm:[2,3,0,1] row_mask:0xf bank_mask:0xf
	v_cmp_gt_f32_e32 vcc, v25, v26
	v_cndmask_b32_e32 v25, v26, v25, vcc
	s_nop 1
	v_mov_b32_dpp v26, v25 row_half_mirror row_mask:0xf bank_mask:0xf
	v_cmp_gt_f32_e32 vcc, v25, v26
	v_cndmask_b32_e32 v25, v26, v25, vcc
	s_nop 1
	v_mov_b32_dpp v26, v25 row_mirror row_mask:0xf bank_mask:0xf
	v_cmp_gt_f32_e32 vcc, v25, v26
	v_cndmask_b32_e32 v25, v26, v25, vcc
	s_nop 1
	v_mov_b32_dpp v26, v25 row_bcast:15 row_mask:0xf bank_mask:0xf
	v_cmp_gt_f32_e32 vcc, v25, v26
	v_cndmask_b32_e32 v25, v26, v25, vcc
	s_nop 1
	v_mov_b32_dpp v26, v25 row_bcast:31 row_mask:0xf bank_mask:0xf
	s_and_saveexec_b64 s[30:31], s[0:1]
	s_cbranch_execz .LBB221_13
; %bb.12:                               ;   in Loop: Header=BB221_10 Depth=2
	v_cmp_gt_f32_e32 vcc, v25, v26
	v_cndmask_b32_e32 v25, v26, v25, vcc
	ds_write_b32 v20, v25
.LBB221_13:                             ;   in Loop: Header=BB221_10 Depth=2
	s_or_b64 exec, exec, s[30:31]
	s_waitcnt lgkmcnt(0)
	s_barrier
	ds_read_b32 v25, v21
	s_mov_b64 s[34:35], -1
                                        ; implicit-def: $sgpr30
	s_waitcnt lgkmcnt(0)
	v_mov_b32_dpp v26, v25 quad_perm:[1,0,3,2] row_mask:0xf bank_mask:0xf
	v_cmp_gt_f32_e32 vcc, v25, v26
	v_cndmask_b32_e32 v25, v26, v25, vcc
	s_and_b64 vcc, exec, s[10:11]
	s_nop 0
	v_mov_b32_dpp v26, v25 quad_perm:[2,3,0,1] row_mask:0xf bank_mask:0xf
	s_cbranch_vccz .LBB221_15
; %bb.14:                               ;   in Loop: Header=BB221_10 Depth=2
	s_mul_i32 s30, s41, s17
	s_add_i32 s30, s30, s43
	s_mov_b64 s[34:35], 0
.LBB221_15:                             ;   in Loop: Header=BB221_10 Depth=2
	s_andn2_b64 vcc, exec, s[34:35]
	s_cbranch_vccnz .LBB221_17
; %bb.16:                               ;   in Loop: Header=BB221_10 Depth=2
	s_mul_i32 s30, s43, s13
	s_add_i32 s30, s30, s41
.LBB221_17:                             ;   in Loop: Header=BB221_10 Depth=2
	v_cmp_gt_f32_e32 vcc, v25, v26
	v_cndmask_b32_e32 v25, v26, v25, vcc
	v_mul_f32_e32 v25, 0x3c010204, v25
	s_and_saveexec_b64 s[34:35], s[2:3]
	s_cbranch_execz .LBB221_19
; %bb.18:                               ;   in Loop: Header=BB221_10 Depth=2
	s_ashr_i32 s31, s30, 31
	s_lshl_b64 s[44:45], s[30:31], 2
	s_add_u32 s44, s22, s44
	s_addc_u32 s45, s23, s45
	global_store_dword v22, v25, s[44:45]
.LBB221_19:                             ;   in Loop: Header=BB221_10 Depth=2
	s_or_b64 exec, exec, s[34:35]
	s_and_saveexec_b64 s[34:35], s[4:5]
	s_cbranch_execz .LBB221_8
; %bb.20:                               ;   in Loop: Header=BB221_10 Depth=2
	v_rcp_f32_e32 v26, v25
	s_mul_hi_i32 s31, s30, s16
	s_mul_i32 s30, s30, s16
	s_add_u32 s52, s20, s30
	v_mov_b32_e32 v27, v26
	;;#ASMSTART
	v_pk_mul_f32 v[14:15], v[14:15], v[26:27]
	;;#ASMEND
	;;#ASMSTART
	v_pk_mul_f32 v[12:13], v[12:13], v[26:27]
	;;#ASMEND
	;; [unrolled: 3-line block ×4, first 2 shown]
	v_cvt_i32_f32_e32 v14, v14
	v_cvt_i32_f32_sdwa v15, v15 dst_sel:BYTE_1 dst_unused:UNUSED_PAD src0_sel:DWORD
	v_cvt_i32_f32_e32 v12, v12
	v_cvt_i32_f32_sdwa v13, v13 dst_sel:BYTE_1 dst_unused:UNUSED_PAD src0_sel:DWORD
	;; [unrolled: 2-line block ×4, first 2 shown]
	s_addc_u32 s30, s21, s31
	v_or_b32_sdwa v8, v14, v15 dst_sel:DWORD dst_unused:UNUSED_PAD src0_sel:BYTE_0 src1_sel:DWORD
	v_or_b32_sdwa v12, v12, v13 dst_sel:WORD_1 dst_unused:UNUSED_PAD src0_sel:BYTE_0 src1_sel:DWORD
	v_or_b32_sdwa v10, v10, v11 dst_sel:DWORD dst_unused:UNUSED_PAD src0_sel:BYTE_0 src1_sel:DWORD
	v_or_b32_sdwa v9, v25, v9 dst_sel:WORD_1 dst_unused:UNUSED_PAD src0_sel:BYTE_0 src1_sel:DWORD
	s_and_b32 s53, s30, 0xffff
	s_mov_b32 s55, s51
	v_or_b32_sdwa v8, v8, v12 dst_sel:DWORD dst_unused:UNUSED_PAD src0_sel:WORD_0 src1_sel:DWORD
	v_or_b32_sdwa v9, v10, v9 dst_sel:DWORD dst_unused:UNUSED_PAD src0_sel:WORD_0 src1_sel:DWORD
	buffer_store_dwordx2 v[8:9], v17, s[52:55], 0 offen
	;;#ASMSTART
	s_nop 0
	;;#ASMEND
	s_branch .LBB221_8
.LBB221_21:
	s_endpgm
	.section	.rodata,"a",@progbits
	.p2align	6, 0x0
	.amdhsa_kernel _ZN5aiter43moe_smooth_per_token_scaled_quant_kernel_v2ItaLi256ELi8EEEvPT0_PfPT_S3_PiS6_S6_iiiiiiiiiibb
		.amdhsa_group_segment_fixed_size 16
		.amdhsa_private_segment_fixed_size 0
		.amdhsa_kernarg_size 100
		.amdhsa_user_sgpr_count 6
		.amdhsa_user_sgpr_private_segment_buffer 1
		.amdhsa_user_sgpr_dispatch_ptr 0
		.amdhsa_user_sgpr_queue_ptr 0
		.amdhsa_user_sgpr_kernarg_segment_ptr 1
		.amdhsa_user_sgpr_dispatch_id 0
		.amdhsa_user_sgpr_flat_scratch_init 0
		.amdhsa_user_sgpr_kernarg_preload_length 0
		.amdhsa_user_sgpr_kernarg_preload_offset 0
		.amdhsa_user_sgpr_private_segment_size 0
		.amdhsa_uses_dynamic_stack 0
		.amdhsa_system_sgpr_private_segment_wavefront_offset 0
		.amdhsa_system_sgpr_workgroup_id_x 1
		.amdhsa_system_sgpr_workgroup_id_y 0
		.amdhsa_system_sgpr_workgroup_id_z 0
		.amdhsa_system_sgpr_workgroup_info 0
		.amdhsa_system_vgpr_workitem_id 0
		.amdhsa_next_free_vgpr 30
		.amdhsa_next_free_sgpr 56
		.amdhsa_accum_offset 32
		.amdhsa_reserve_vcc 1
		.amdhsa_reserve_flat_scratch 0
		.amdhsa_float_round_mode_32 0
		.amdhsa_float_round_mode_16_64 0
		.amdhsa_float_denorm_mode_32 3
		.amdhsa_float_denorm_mode_16_64 3
		.amdhsa_dx10_clamp 1
		.amdhsa_ieee_mode 1
		.amdhsa_fp16_overflow 0
		.amdhsa_tg_split 0
		.amdhsa_exception_fp_ieee_invalid_op 0
		.amdhsa_exception_fp_denorm_src 0
		.amdhsa_exception_fp_ieee_div_zero 0
		.amdhsa_exception_fp_ieee_overflow 0
		.amdhsa_exception_fp_ieee_underflow 0
		.amdhsa_exception_fp_ieee_inexact 0
		.amdhsa_exception_int_div_zero 0
	.end_amdhsa_kernel
	.section	.text._ZN5aiter43moe_smooth_per_token_scaled_quant_kernel_v2ItaLi256ELi8EEEvPT0_PfPT_S3_PiS6_S6_iiiiiiiiiibb,"axG",@progbits,_ZN5aiter43moe_smooth_per_token_scaled_quant_kernel_v2ItaLi256ELi8EEEvPT0_PfPT_S3_PiS6_S6_iiiiiiiiiibb,comdat
.Lfunc_end221:
	.size	_ZN5aiter43moe_smooth_per_token_scaled_quant_kernel_v2ItaLi256ELi8EEEvPT0_PfPT_S3_PiS6_S6_iiiiiiiiiibb, .Lfunc_end221-_ZN5aiter43moe_smooth_per_token_scaled_quant_kernel_v2ItaLi256ELi8EEEvPT0_PfPT_S3_PiS6_S6_iiiiiiiiiibb
                                        ; -- End function
	.section	.AMDGPU.csdata,"",@progbits
; Kernel info:
; codeLenInByte = 1164
; NumSgprs: 60
; NumVgprs: 30
; NumAgprs: 0
; TotalNumVgprs: 30
; ScratchSize: 0
; MemoryBound: 0
; FloatMode: 240
; IeeeMode: 1
; LDSByteSize: 16 bytes/workgroup (compile time only)
; SGPRBlocks: 7
; VGPRBlocks: 3
; NumSGPRsForWavesPerEU: 60
; NumVGPRsForWavesPerEU: 30
; AccumOffset: 32
; Occupancy: 8
; WaveLimiterHint : 0
; COMPUTE_PGM_RSRC2:SCRATCH_EN: 0
; COMPUTE_PGM_RSRC2:USER_SGPR: 6
; COMPUTE_PGM_RSRC2:TRAP_HANDLER: 0
; COMPUTE_PGM_RSRC2:TGID_X_EN: 1
; COMPUTE_PGM_RSRC2:TGID_Y_EN: 0
; COMPUTE_PGM_RSRC2:TGID_Z_EN: 0
; COMPUTE_PGM_RSRC2:TIDIG_COMP_CNT: 0
; COMPUTE_PGM_RSRC3_GFX90A:ACCUM_OFFSET: 7
; COMPUTE_PGM_RSRC3_GFX90A:TG_SPLIT: 0
	.section	.text._ZN5aiter43moe_smooth_per_token_scaled_quant_kernel_v2IDF16_aLi256ELi16EEEvPT0_PfPT_S3_PiS6_S6_iiiiiiiiiibb,"axG",@progbits,_ZN5aiter43moe_smooth_per_token_scaled_quant_kernel_v2IDF16_aLi256ELi16EEEvPT0_PfPT_S3_PiS6_S6_iiiiiiiiiibb,comdat
	.protected	_ZN5aiter43moe_smooth_per_token_scaled_quant_kernel_v2IDF16_aLi256ELi16EEEvPT0_PfPT_S3_PiS6_S6_iiiiiiiiiibb ; -- Begin function _ZN5aiter43moe_smooth_per_token_scaled_quant_kernel_v2IDF16_aLi256ELi16EEEvPT0_PfPT_S3_PiS6_S6_iiiiiiiiiibb
	.globl	_ZN5aiter43moe_smooth_per_token_scaled_quant_kernel_v2IDF16_aLi256ELi16EEEvPT0_PfPT_S3_PiS6_S6_iiiiiiiiiibb
	.p2align	8
	.type	_ZN5aiter43moe_smooth_per_token_scaled_quant_kernel_v2IDF16_aLi256ELi16EEEvPT0_PfPT_S3_PiS6_S6_iiiiiiiiiibb,@function
_ZN5aiter43moe_smooth_per_token_scaled_quant_kernel_v2IDF16_aLi256ELi16EEEvPT0_PfPT_S3_PiS6_S6_iiiiiiiiiibb: ; @_ZN5aiter43moe_smooth_per_token_scaled_quant_kernel_v2IDF16_aLi256ELi16EEEvPT0_PfPT_S3_PiS6_S6_iiiiiiiiiibb
; %bb.0:
	s_load_dwordx8 s[12:19], s[4:5], 0x38
	s_waitcnt lgkmcnt(0)
	s_cmp_ge_i32 s6, s14
	s_cbranch_scc1 .LBB222_21
; %bb.1:
	s_load_dwordx4 s[28:31], s[4:5], 0x58
	s_load_dwordx2 s[0:1], s[4:5], 0x30
	s_load_dwordx4 s[36:39], s[4:5], 0x20
	s_load_dwordx8 s[20:27], s[4:5], 0x0
	v_and_b32_e32 v1, 63, v0
	s_waitcnt lgkmcnt(0)
	s_bitcmp1_b32 s30, 8
	s_load_dword s7, s[0:1], 0x0
	s_cselect_b64 s[0:1], -1, 0
	s_ashr_i32 s18, s18, s19
	s_xor_b64 s[10:11], s[0:1], -1
	s_lshl_b32 s42, s18, 2
	s_lshl_b32 s46, s16, 2
	s_cmp_gt_i32 s18, 0
	s_cselect_b64 s[8:9], -1, 0
	s_add_i32 s4, s16, 15
	s_ashr_i32 s5, s4, 31
	s_lshr_b32 s5, s5, 28
	s_add_i32 s30, s16, 3
	s_add_i32 s4, s4, s5
	s_ashr_i32 s31, s30, 31
	v_lshlrev_b32_e32 v32, 2, v1
	v_cmp_eq_u32_e64 s[0:1], 63, v1
	v_lshrrev_b32_e32 v1, 4, v0
	s_ashr_i32 s4, s4, 4
	s_lshr_b32 s31, s31, 30
	v_lshlrev_b32_e32 v33, 4, v0
	v_lshlrev_b32_e32 v34, 6, v0
	;; [unrolled: 1-line block ×3, first 2 shown]
	v_and_b32_e32 v36, 60, v1
	v_and_b32_e32 v1, 3, v0
	v_cmp_eq_u32_e64 s[2:3], 0, v0
	v_cmp_gt_u32_e64 s[4:5], s4, v0
	s_add_i32 s30, s30, s31
	v_cndmask_b32_e64 v0, 0, 1, s[8:9]
	s_lshl_b32 s50, s16, 1
	v_lshlrev_b32_e32 v37, 2, v1
	s_and_b32 s54, s30, -4
	s_mov_b32 s51, 0x20000
	s_mov_b32 s33, 0x2edbe6ff
	v_mov_b32_e32 v38, 0
	v_cmp_ne_u32_e64 s[8:9], 1, v0
	s_branch .LBB222_4
.LBB222_2:                              ;   in Loop: Header=BB222_4 Depth=1
	s_mov_b64 s[34:35], -1
.LBB222_3:                              ;   in Loop: Header=BB222_4 Depth=1
	s_add_i32 s6, s6, s15
	s_cmp_lt_i32 s6, s14
	s_cselect_b64 s[30:31], -1, 0
	s_and_b64 s[30:31], s[34:35], s[30:31]
	s_and_b64 vcc, exec, s[30:31]
	s_cbranch_vccz .LBB222_21
.LBB222_4:                              ; =>This Loop Header: Depth=1
                                        ;     Child Loop BB222_10 Depth 2
	s_mul_i32 s30, s6, s18
	s_waitcnt lgkmcnt(0)
	s_cmp_ge_i32 s30, s7
	s_mov_b64 s[34:35], 0
	s_cbranch_scc1 .LBB222_3
; %bb.5:                                ;   in Loop: Header=BB222_4 Depth=1
	s_ashr_i32 s34, s6, s19
	s_ashr_i32 s35, s34, 31
	s_lshl_b64 s[34:35], s[34:35], 2
	s_add_u32 s34, s38, s34
	s_addc_u32 s35, s39, s35
	s_load_dword s44, s[34:35], 0x0
	s_mov_b64 s[34:35], 0
	s_waitcnt lgkmcnt(0)
	s_cmp_ge_i32 s44, s12
	s_cbranch_scc1 .LBB222_3
; %bb.6:                                ;   in Loop: Header=BB222_4 Depth=1
	s_and_b64 vcc, exec, s[8:9]
	s_cbranch_vccnz .LBB222_2
; %bb.7:                                ;   in Loop: Header=BB222_4 Depth=1
	s_ashr_i32 s31, s30, 31
	s_lshl_b64 s[30:31], s[30:31], 2
	s_add_u32 s40, s36, s30
	s_addc_u32 s30, s37, s31
	s_and_b32 s41, s30, 0xffff
	s_mul_i32 s30, s44, s16
	s_ashr_i32 s31, s30, 31
	s_lshl_b64 s[30:31], s[30:31], 2
	s_add_u32 s44, s26, s30
	s_addc_u32 s30, s27, s31
	s_mov_b32 s43, s51
	s_and_b32 s45, s30, 0xffff
	s_mov_b32 s47, s51
	buffer_load_dword v16, v32, s[40:43], 0 offen
	buffer_load_dwordx4 v[0:3], v34, s[44:47], 48 offen
	buffer_load_dwordx4 v[4:7], v34, s[44:47], 32 offen
	;; [unrolled: 1-line block ×4, first 2 shown]
	s_mov_b32 s40, 0
	s_waitcnt vmcnt(4)
	v_and_b32_e32 v39, 0xffffff, v16
	v_ashrrev_i32_e32 v40, 24, v16
	s_branch .LBB222_10
.LBB222_8:                              ;   in Loop: Header=BB222_10 Depth=2
	s_or_b64 exec, exec, s[30:31]
	s_add_i32 s40, s40, 1
	s_cmp_eq_u32 s18, s40
	s_cselect_b64 s[30:31], -1, 0
.LBB222_9:                              ;   in Loop: Header=BB222_10 Depth=2
	s_and_b64 vcc, exec, s[30:31]
	s_cbranch_vccnz .LBB222_2
.LBB222_10:                             ;   Parent Loop BB222_4 Depth=1
                                        ; =>  This Inner Loop Header: Depth=2
	v_readlane_b32 s35, v39, s40
	v_readlane_b32 s41, v40, s40
	s_cmp_ge_i32 s35, s13
	s_mov_b64 s[30:31], -1
	s_cbranch_scc1 .LBB222_9
; %bb.11:                               ;   in Loop: Header=BB222_10 Depth=2
	s_mul_hi_i32 s31, s35, s28
	s_mul_i32 s30, s35, s28
	s_mul_i32 s44, s41, s29
	s_ashr_i32 s45, s44, 31
	s_lshl_b64 s[30:31], s[30:31], 1
	s_add_u32 s34, s24, s30
	s_addc_u32 s43, s25, s31
	s_lshl_b64 s[30:31], s[44:45], 1
	s_add_u32 s48, s34, s30
	s_addc_u32 s30, s43, s31
	s_and_b32 s49, s30, 0xffff
	buffer_load_dwordx4 v[16:19], v35, s[48:51], 0 offen
	buffer_load_dwordx4 v[20:23], v35, s[48:51], 16 offen
	s_waitcnt vmcnt(1)
	v_cvt_f32_f16_e32 v24, v16
	v_cvt_f32_f16_sdwa v25, v16 dst_sel:DWORD dst_unused:UNUSED_PAD src0_sel:WORD_1
	v_cvt_f32_f16_e32 v16, v17
	v_cvt_f32_f16_sdwa v17, v17 dst_sel:DWORD dst_unused:UNUSED_PAD src0_sel:WORD_1
	;; [unrolled: 2-line block ×4, first 2 shown]
	s_waitcnt vmcnt(0)
	v_cvt_f32_f16_e32 v42, v20
	v_cvt_f32_f16_sdwa v43, v20 dst_sel:DWORD dst_unused:UNUSED_PAD src0_sel:WORD_1
	v_pk_mul_f32 v[30:31], v[12:13], v[24:25]
	v_cvt_f32_f16_e32 v20, v21
	v_cvt_f32_f16_sdwa v21, v21 dst_sel:DWORD dst_unused:UNUSED_PAD src0_sel:WORD_1
	v_pk_mul_f32 v[28:29], v[14:15], v[16:17]
	v_max3_f32 v41, |v30|, s33, |v31|
	v_cvt_f32_f16_e32 v44, v22
	v_cvt_f32_f16_sdwa v45, v22 dst_sel:DWORD dst_unused:UNUSED_PAD src0_sel:WORD_1
	v_pk_mul_f32 v[26:27], v[8:9], v[26:27]
	v_max3_f32 v41, v41, |v28|, |v29|
	v_cvt_f32_f16_e32 v46, v23
	v_cvt_f32_f16_sdwa v47, v23 dst_sel:DWORD dst_unused:UNUSED_PAD src0_sel:WORD_1
	v_pk_mul_f32 v[24:25], v[10:11], v[18:19]
	v_max3_f32 v41, v41, |v26|, |v27|
	v_pk_mul_f32 v[22:23], v[4:5], v[42:43]
	v_max3_f32 v41, v41, |v24|, |v25|
	;; [unrolled: 2-line block ×5, first 2 shown]
	v_max3_f32 v41, v41, |v16|, |v17|
	s_nop 1
	v_mov_b32_dpp v42, v41 quad_perm:[1,0,3,2] row_mask:0xf bank_mask:0xf
	v_cmp_gt_f32_e32 vcc, v41, v42
	v_cndmask_b32_e32 v41, v42, v41, vcc
	s_nop 1
	v_mov_b32_dpp v42, v41 quad_perm:[2,3,0,1] row_mask:0xf bank_mask:0xf
	v_cmp_gt_f32_e32 vcc, v41, v42
	v_cndmask_b32_e32 v41, v42, v41, vcc
	s_nop 1
	v_mov_b32_dpp v42, v41 row_half_mirror row_mask:0xf bank_mask:0xf
	v_cmp_gt_f32_e32 vcc, v41, v42
	v_cndmask_b32_e32 v41, v42, v41, vcc
	s_nop 1
	v_mov_b32_dpp v42, v41 row_mirror row_mask:0xf bank_mask:0xf
	v_cmp_gt_f32_e32 vcc, v41, v42
	v_cndmask_b32_e32 v41, v42, v41, vcc
	s_nop 1
	v_mov_b32_dpp v42, v41 row_bcast:15 row_mask:0xf bank_mask:0xf
	v_cmp_gt_f32_e32 vcc, v41, v42
	v_cndmask_b32_e32 v41, v42, v41, vcc
	s_nop 1
	v_mov_b32_dpp v42, v41 row_bcast:31 row_mask:0xf bank_mask:0xf
	s_and_saveexec_b64 s[30:31], s[0:1]
	s_cbranch_execz .LBB222_13
; %bb.12:                               ;   in Loop: Header=BB222_10 Depth=2
	v_cmp_gt_f32_e32 vcc, v41, v42
	v_cndmask_b32_e32 v41, v42, v41, vcc
	ds_write_b32 v36, v41
.LBB222_13:                             ;   in Loop: Header=BB222_10 Depth=2
	s_or_b64 exec, exec, s[30:31]
	s_waitcnt lgkmcnt(0)
	s_barrier
	ds_read_b32 v41, v37
	s_mov_b64 s[30:31], -1
                                        ; implicit-def: $sgpr34
	s_waitcnt lgkmcnt(0)
	v_mov_b32_dpp v42, v41 quad_perm:[1,0,3,2] row_mask:0xf bank_mask:0xf
	v_cmp_gt_f32_e32 vcc, v41, v42
	v_cndmask_b32_e32 v41, v42, v41, vcc
	s_and_b64 vcc, exec, s[10:11]
	s_nop 0
	v_mov_b32_dpp v42, v41 quad_perm:[2,3,0,1] row_mask:0xf bank_mask:0xf
	s_cbranch_vccz .LBB222_15
; %bb.14:                               ;   in Loop: Header=BB222_10 Depth=2
	s_mul_i32 s30, s35, s17
	s_add_i32 s34, s30, s41
	s_mov_b64 s[30:31], 0
.LBB222_15:                             ;   in Loop: Header=BB222_10 Depth=2
	s_andn2_b64 vcc, exec, s[30:31]
	s_cbranch_vccnz .LBB222_17
; %bb.16:                               ;   in Loop: Header=BB222_10 Depth=2
	s_mul_i32 s30, s41, s13
	s_add_i32 s34, s30, s35
.LBB222_17:                             ;   in Loop: Header=BB222_10 Depth=2
	v_cmp_gt_f32_e32 vcc, v41, v42
	v_cndmask_b32_e32 v41, v42, v41, vcc
	v_mul_f32_e32 v41, 0x3c010204, v41
	s_and_saveexec_b64 s[30:31], s[2:3]
	s_cbranch_execz .LBB222_19
; %bb.18:                               ;   in Loop: Header=BB222_10 Depth=2
	s_ashr_i32 s35, s34, 31
	s_lshl_b64 s[44:45], s[34:35], 2
	s_add_u32 s44, s22, s44
	s_addc_u32 s45, s23, s45
	global_store_dword v38, v41, s[44:45]
.LBB222_19:                             ;   in Loop: Header=BB222_10 Depth=2
	s_or_b64 exec, exec, s[30:31]
	s_and_saveexec_b64 s[30:31], s[4:5]
	s_cbranch_execz .LBB222_8
; %bb.20:                               ;   in Loop: Header=BB222_10 Depth=2
	v_rcp_f32_e32 v42, v41
	s_mul_hi_i32 s35, s34, s16
	s_mul_i32 s34, s34, s16
	s_add_u32 s52, s20, s34
	v_mov_b32_e32 v43, v42
	;;#ASMSTART
	v_pk_mul_f32 v[30:31], v[30:31], v[42:43]
	;;#ASMEND
	;;#ASMSTART
	v_pk_mul_f32 v[28:29], v[28:29], v[42:43]
	;;#ASMEND
	v_cvt_i32_f32_e32 v30, v30
	v_cvt_i32_f32_sdwa v31, v31 dst_sel:BYTE_1 dst_unused:UNUSED_PAD src0_sel:DWORD
	v_cvt_i32_f32_e32 v28, v28
	v_cvt_i32_f32_sdwa v29, v29 dst_sel:BYTE_1 dst_unused:UNUSED_PAD src0_sel:DWORD
	;;#ASMSTART
	v_pk_mul_f32 v[26:27], v[26:27], v[42:43]
	;;#ASMEND
	;;#ASMSTART
	v_pk_mul_f32 v[24:25], v[24:25], v[42:43]
	;;#ASMEND
	v_cvt_i32_f32_e32 v26, v26
	v_cvt_i32_f32_sdwa v27, v27 dst_sel:BYTE_1 dst_unused:UNUSED_PAD src0_sel:DWORD
	v_cvt_i32_f32_e32 v24, v24
	v_cvt_i32_f32_sdwa v25, v25 dst_sel:BYTE_1 dst_unused:UNUSED_PAD src0_sel:DWORD
	;; [unrolled: 10-line block ×3, first 2 shown]
	;;#ASMSTART
	v_pk_mul_f32 v[18:19], v[18:19], v[42:43]
	;;#ASMEND
	v_cvt_i32_f32_e32 v41, v18
	v_cvt_i32_f32_sdwa v19, v19 dst_sel:BYTE_1 dst_unused:UNUSED_PAD src0_sel:DWORD
	;;#ASMSTART
	v_pk_mul_f32 v[16:17], v[16:17], v[42:43]
	;;#ASMEND
	v_cvt_i32_f32_e32 v42, v16
	v_cvt_i32_f32_sdwa v43, v17 dst_sel:BYTE_1 dst_unused:UNUSED_PAD src0_sel:DWORD
	v_or_b32_sdwa v16, v30, v31 dst_sel:DWORD dst_unused:UNUSED_PAD src0_sel:BYTE_0 src1_sel:DWORD
	v_or_b32_sdwa v17, v28, v29 dst_sel:WORD_1 dst_unused:UNUSED_PAD src0_sel:BYTE_0 src1_sel:DWORD
	v_or_b32_sdwa v16, v16, v17 dst_sel:DWORD dst_unused:UNUSED_PAD src0_sel:WORD_0 src1_sel:DWORD
	v_or_b32_sdwa v17, v26, v27 dst_sel:DWORD dst_unused:UNUSED_PAD src0_sel:BYTE_0 src1_sel:DWORD
	v_or_b32_sdwa v18, v24, v25 dst_sel:WORD_1 dst_unused:UNUSED_PAD src0_sel:BYTE_0 src1_sel:DWORD
	v_or_b32_sdwa v17, v17, v18 dst_sel:DWORD dst_unused:UNUSED_PAD src0_sel:WORD_0 src1_sel:DWORD
	v_or_b32_sdwa v18, v22, v23 dst_sel:DWORD dst_unused:UNUSED_PAD src0_sel:BYTE_0 src1_sel:DWORD
	v_or_b32_sdwa v20, v20, v21 dst_sel:WORD_1 dst_unused:UNUSED_PAD src0_sel:BYTE_0 src1_sel:DWORD
	s_addc_u32 s34, s21, s35
	v_or_b32_sdwa v18, v18, v20 dst_sel:DWORD dst_unused:UNUSED_PAD src0_sel:WORD_0 src1_sel:DWORD
	v_or_b32_sdwa v19, v41, v19 dst_sel:DWORD dst_unused:UNUSED_PAD src0_sel:BYTE_0 src1_sel:DWORD
	v_or_b32_sdwa v20, v42, v43 dst_sel:WORD_1 dst_unused:UNUSED_PAD src0_sel:BYTE_0 src1_sel:DWORD
	s_and_b32 s53, s34, 0xffff
	s_mov_b32 s55, s51
	v_or_b32_sdwa v19, v19, v20 dst_sel:DWORD dst_unused:UNUSED_PAD src0_sel:WORD_0 src1_sel:DWORD
	buffer_store_dwordx4 v[16:19], v33, s[52:55], 0 offen
	;;#ASMSTART
	s_nop 0
	;;#ASMEND
	s_branch .LBB222_8
.LBB222_21:
	s_endpgm
	.section	.rodata,"a",@progbits
	.p2align	6, 0x0
	.amdhsa_kernel _ZN5aiter43moe_smooth_per_token_scaled_quant_kernel_v2IDF16_aLi256ELi16EEEvPT0_PfPT_S3_PiS6_S6_iiiiiiiiiibb
		.amdhsa_group_segment_fixed_size 16
		.amdhsa_private_segment_fixed_size 0
		.amdhsa_kernarg_size 100
		.amdhsa_user_sgpr_count 6
		.amdhsa_user_sgpr_private_segment_buffer 1
		.amdhsa_user_sgpr_dispatch_ptr 0
		.amdhsa_user_sgpr_queue_ptr 0
		.amdhsa_user_sgpr_kernarg_segment_ptr 1
		.amdhsa_user_sgpr_dispatch_id 0
		.amdhsa_user_sgpr_flat_scratch_init 0
		.amdhsa_user_sgpr_kernarg_preload_length 0
		.amdhsa_user_sgpr_kernarg_preload_offset 0
		.amdhsa_user_sgpr_private_segment_size 0
		.amdhsa_uses_dynamic_stack 0
		.amdhsa_system_sgpr_private_segment_wavefront_offset 0
		.amdhsa_system_sgpr_workgroup_id_x 1
		.amdhsa_system_sgpr_workgroup_id_y 0
		.amdhsa_system_sgpr_workgroup_id_z 0
		.amdhsa_system_sgpr_workgroup_info 0
		.amdhsa_system_vgpr_workitem_id 0
		.amdhsa_next_free_vgpr 48
		.amdhsa_next_free_sgpr 56
		.amdhsa_accum_offset 48
		.amdhsa_reserve_vcc 1
		.amdhsa_reserve_flat_scratch 0
		.amdhsa_float_round_mode_32 0
		.amdhsa_float_round_mode_16_64 0
		.amdhsa_float_denorm_mode_32 3
		.amdhsa_float_denorm_mode_16_64 3
		.amdhsa_dx10_clamp 1
		.amdhsa_ieee_mode 1
		.amdhsa_fp16_overflow 0
		.amdhsa_tg_split 0
		.amdhsa_exception_fp_ieee_invalid_op 0
		.amdhsa_exception_fp_denorm_src 0
		.amdhsa_exception_fp_ieee_div_zero 0
		.amdhsa_exception_fp_ieee_overflow 0
		.amdhsa_exception_fp_ieee_underflow 0
		.amdhsa_exception_fp_ieee_inexact 0
		.amdhsa_exception_int_div_zero 0
	.end_amdhsa_kernel
	.section	.text._ZN5aiter43moe_smooth_per_token_scaled_quant_kernel_v2IDF16_aLi256ELi16EEEvPT0_PfPT_S3_PiS6_S6_iiiiiiiiiibb,"axG",@progbits,_ZN5aiter43moe_smooth_per_token_scaled_quant_kernel_v2IDF16_aLi256ELi16EEEvPT0_PfPT_S3_PiS6_S6_iiiiiiiiiibb,comdat
.Lfunc_end222:
	.size	_ZN5aiter43moe_smooth_per_token_scaled_quant_kernel_v2IDF16_aLi256ELi16EEEvPT0_PfPT_S3_PiS6_S6_iiiiiiiiiibb, .Lfunc_end222-_ZN5aiter43moe_smooth_per_token_scaled_quant_kernel_v2IDF16_aLi256ELi16EEEvPT0_PfPT_S3_PiS6_S6_iiiiiiiiiibb
                                        ; -- End function
	.section	.AMDGPU.csdata,"",@progbits
; Kernel info:
; codeLenInByte = 1416
; NumSgprs: 60
; NumVgprs: 48
; NumAgprs: 0
; TotalNumVgprs: 48
; ScratchSize: 0
; MemoryBound: 0
; FloatMode: 240
; IeeeMode: 1
; LDSByteSize: 16 bytes/workgroup (compile time only)
; SGPRBlocks: 7
; VGPRBlocks: 5
; NumSGPRsForWavesPerEU: 60
; NumVGPRsForWavesPerEU: 48
; AccumOffset: 48
; Occupancy: 8
; WaveLimiterHint : 0
; COMPUTE_PGM_RSRC2:SCRATCH_EN: 0
; COMPUTE_PGM_RSRC2:USER_SGPR: 6
; COMPUTE_PGM_RSRC2:TRAP_HANDLER: 0
; COMPUTE_PGM_RSRC2:TGID_X_EN: 1
; COMPUTE_PGM_RSRC2:TGID_Y_EN: 0
; COMPUTE_PGM_RSRC2:TGID_Z_EN: 0
; COMPUTE_PGM_RSRC2:TIDIG_COMP_CNT: 0
; COMPUTE_PGM_RSRC3_GFX90A:ACCUM_OFFSET: 11
; COMPUTE_PGM_RSRC3_GFX90A:TG_SPLIT: 0
	.section	.text._ZN5aiter43moe_smooth_per_token_scaled_quant_kernel_v2ItaLi256ELi16EEEvPT0_PfPT_S3_PiS6_S6_iiiiiiiiiibb,"axG",@progbits,_ZN5aiter43moe_smooth_per_token_scaled_quant_kernel_v2ItaLi256ELi16EEEvPT0_PfPT_S3_PiS6_S6_iiiiiiiiiibb,comdat
	.protected	_ZN5aiter43moe_smooth_per_token_scaled_quant_kernel_v2ItaLi256ELi16EEEvPT0_PfPT_S3_PiS6_S6_iiiiiiiiiibb ; -- Begin function _ZN5aiter43moe_smooth_per_token_scaled_quant_kernel_v2ItaLi256ELi16EEEvPT0_PfPT_S3_PiS6_S6_iiiiiiiiiibb
	.globl	_ZN5aiter43moe_smooth_per_token_scaled_quant_kernel_v2ItaLi256ELi16EEEvPT0_PfPT_S3_PiS6_S6_iiiiiiiiiibb
	.p2align	8
	.type	_ZN5aiter43moe_smooth_per_token_scaled_quant_kernel_v2ItaLi256ELi16EEEvPT0_PfPT_S3_PiS6_S6_iiiiiiiiiibb,@function
_ZN5aiter43moe_smooth_per_token_scaled_quant_kernel_v2ItaLi256ELi16EEEvPT0_PfPT_S3_PiS6_S6_iiiiiiiiiibb: ; @_ZN5aiter43moe_smooth_per_token_scaled_quant_kernel_v2ItaLi256ELi16EEEvPT0_PfPT_S3_PiS6_S6_iiiiiiiiiibb
; %bb.0:
	s_load_dwordx8 s[12:19], s[4:5], 0x38
	s_waitcnt lgkmcnt(0)
	s_cmp_ge_i32 s6, s14
	s_cbranch_scc1 .LBB223_21
; %bb.1:
	s_load_dwordx4 s[28:31], s[4:5], 0x58
	s_load_dwordx2 s[0:1], s[4:5], 0x30
	s_load_dwordx4 s[36:39], s[4:5], 0x20
	s_load_dwordx8 s[20:27], s[4:5], 0x0
	v_and_b32_e32 v1, 63, v0
	s_waitcnt lgkmcnt(0)
	s_bitcmp1_b32 s30, 8
	s_load_dword s7, s[0:1], 0x0
	s_cselect_b64 s[0:1], -1, 0
	s_ashr_i32 s18, s18, s19
	s_xor_b64 s[10:11], s[0:1], -1
	s_lshl_b32 s42, s18, 2
	s_lshl_b32 s46, s16, 2
	s_cmp_gt_i32 s18, 0
	s_cselect_b64 s[8:9], -1, 0
	s_add_i32 s4, s16, 15
	s_ashr_i32 s5, s4, 31
	s_lshr_b32 s5, s5, 28
	s_add_i32 s30, s16, 3
	s_add_i32 s4, s4, s5
	s_ashr_i32 s31, s30, 31
	v_lshlrev_b32_e32 v32, 2, v1
	v_cmp_eq_u32_e64 s[0:1], 63, v1
	v_lshrrev_b32_e32 v1, 4, v0
	s_ashr_i32 s4, s4, 4
	s_lshr_b32 s31, s31, 30
	v_lshlrev_b32_e32 v33, 4, v0
	v_lshlrev_b32_e32 v34, 6, v0
	;; [unrolled: 1-line block ×3, first 2 shown]
	v_and_b32_e32 v36, 60, v1
	v_and_b32_e32 v1, 3, v0
	v_cmp_eq_u32_e64 s[2:3], 0, v0
	v_cmp_gt_u32_e64 s[4:5], s4, v0
	s_add_i32 s30, s30, s31
	v_cndmask_b32_e64 v0, 0, 1, s[8:9]
	s_lshl_b32 s50, s16, 1
	v_lshlrev_b32_e32 v37, 2, v1
	s_and_b32 s54, s30, -4
	s_mov_b32 s51, 0x20000
	s_mov_b32 s33, 0x2edbe6ff
	v_mov_b32_e32 v38, 0
	v_cmp_ne_u32_e64 s[8:9], 1, v0
	s_branch .LBB223_4
.LBB223_2:                              ;   in Loop: Header=BB223_4 Depth=1
	s_mov_b64 s[34:35], -1
.LBB223_3:                              ;   in Loop: Header=BB223_4 Depth=1
	s_add_i32 s6, s6, s15
	s_cmp_lt_i32 s6, s14
	s_cselect_b64 s[30:31], -1, 0
	s_and_b64 s[30:31], s[34:35], s[30:31]
	s_and_b64 vcc, exec, s[30:31]
	s_cbranch_vccz .LBB223_21
.LBB223_4:                              ; =>This Loop Header: Depth=1
                                        ;     Child Loop BB223_10 Depth 2
	s_mul_i32 s30, s6, s18
	s_waitcnt lgkmcnt(0)
	s_cmp_ge_i32 s30, s7
	s_mov_b64 s[34:35], 0
	s_cbranch_scc1 .LBB223_3
; %bb.5:                                ;   in Loop: Header=BB223_4 Depth=1
	s_ashr_i32 s34, s6, s19
	s_ashr_i32 s35, s34, 31
	s_lshl_b64 s[34:35], s[34:35], 2
	s_add_u32 s34, s38, s34
	s_addc_u32 s35, s39, s35
	s_load_dword s44, s[34:35], 0x0
	s_mov_b64 s[34:35], 0
	s_waitcnt lgkmcnt(0)
	s_cmp_ge_i32 s44, s12
	s_cbranch_scc1 .LBB223_3
; %bb.6:                                ;   in Loop: Header=BB223_4 Depth=1
	s_and_b64 vcc, exec, s[8:9]
	s_cbranch_vccnz .LBB223_2
; %bb.7:                                ;   in Loop: Header=BB223_4 Depth=1
	s_ashr_i32 s31, s30, 31
	s_lshl_b64 s[30:31], s[30:31], 2
	s_add_u32 s40, s36, s30
	s_addc_u32 s30, s37, s31
	s_and_b32 s41, s30, 0xffff
	s_mul_i32 s30, s44, s16
	s_ashr_i32 s31, s30, 31
	s_lshl_b64 s[30:31], s[30:31], 2
	s_add_u32 s44, s26, s30
	s_addc_u32 s30, s27, s31
	s_mov_b32 s43, s51
	s_and_b32 s45, s30, 0xffff
	s_mov_b32 s47, s51
	buffer_load_dword v16, v32, s[40:43], 0 offen
	buffer_load_dwordx4 v[0:3], v34, s[44:47], 48 offen
	buffer_load_dwordx4 v[4:7], v34, s[44:47], 32 offen
	;; [unrolled: 1-line block ×4, first 2 shown]
	s_mov_b32 s40, 0
	s_waitcnt vmcnt(4)
	v_and_b32_e32 v39, 0xffffff, v16
	v_ashrrev_i32_e32 v40, 24, v16
	s_branch .LBB223_10
.LBB223_8:                              ;   in Loop: Header=BB223_10 Depth=2
	s_or_b64 exec, exec, s[30:31]
	s_add_i32 s40, s40, 1
	s_cmp_eq_u32 s18, s40
	s_cselect_b64 s[30:31], -1, 0
.LBB223_9:                              ;   in Loop: Header=BB223_10 Depth=2
	s_and_b64 vcc, exec, s[30:31]
	s_cbranch_vccnz .LBB223_2
.LBB223_10:                             ;   Parent Loop BB223_4 Depth=1
                                        ; =>  This Inner Loop Header: Depth=2
	v_readlane_b32 s35, v39, s40
	v_readlane_b32 s41, v40, s40
	s_cmp_ge_i32 s35, s13
	s_mov_b64 s[30:31], -1
	s_cbranch_scc1 .LBB223_9
; %bb.11:                               ;   in Loop: Header=BB223_10 Depth=2
	s_mul_hi_i32 s31, s35, s28
	s_mul_i32 s30, s35, s28
	s_mul_i32 s44, s41, s29
	s_ashr_i32 s45, s44, 31
	s_lshl_b64 s[30:31], s[30:31], 1
	s_add_u32 s34, s24, s30
	s_addc_u32 s43, s25, s31
	s_lshl_b64 s[30:31], s[44:45], 1
	s_add_u32 s48, s34, s30
	s_addc_u32 s30, s43, s31
	s_and_b32 s49, s30, 0xffff
	buffer_load_dwordx4 v[16:19], v35, s[48:51], 0 offen
	buffer_load_dwordx4 v[20:23], v35, s[48:51], 16 offen
	s_waitcnt vmcnt(1)
	v_cvt_f32_u32_sdwa v25, v16 dst_sel:DWORD dst_unused:UNUSED_PAD src0_sel:WORD_1
	v_cvt_f32_u32_sdwa v24, v16 dst_sel:DWORD dst_unused:UNUSED_PAD src0_sel:WORD_0
	v_cvt_f32_u32_sdwa v27, v17 dst_sel:DWORD dst_unused:UNUSED_PAD src0_sel:WORD_1
	v_cvt_f32_u32_sdwa v26, v17 dst_sel:DWORD dst_unused:UNUSED_PAD src0_sel:WORD_0
	v_cvt_f32_u32_sdwa v17, v18 dst_sel:DWORD dst_unused:UNUSED_PAD src0_sel:WORD_1
	v_cvt_f32_u32_sdwa v16, v18 dst_sel:DWORD dst_unused:UNUSED_PAD src0_sel:WORD_0
	v_cvt_f32_u32_sdwa v43, v19 dst_sel:DWORD dst_unused:UNUSED_PAD src0_sel:WORD_1
	v_cvt_f32_u32_sdwa v42, v19 dst_sel:DWORD dst_unused:UNUSED_PAD src0_sel:WORD_0
	s_waitcnt vmcnt(0)
	v_cvt_f32_u32_sdwa v19, v20 dst_sel:DWORD dst_unused:UNUSED_PAD src0_sel:WORD_1
	v_cvt_f32_u32_sdwa v18, v20 dst_sel:DWORD dst_unused:UNUSED_PAD src0_sel:WORD_0
	v_pk_mul_f32 v[30:31], v[12:13], v[24:25]
	v_cvt_f32_u32_sdwa v45, v21 dst_sel:DWORD dst_unused:UNUSED_PAD src0_sel:WORD_1
	v_cvt_f32_u32_sdwa v44, v21 dst_sel:DWORD dst_unused:UNUSED_PAD src0_sel:WORD_0
	v_pk_mul_f32 v[28:29], v[14:15], v[26:27]
	v_max3_f32 v41, |v30|, s33, |v31|
	v_cvt_f32_u32_sdwa v47, v22 dst_sel:DWORD dst_unused:UNUSED_PAD src0_sel:WORD_1
	v_cvt_f32_u32_sdwa v46, v22 dst_sel:DWORD dst_unused:UNUSED_PAD src0_sel:WORD_0
	v_pk_mul_f32 v[26:27], v[8:9], v[16:17]
	v_max3_f32 v41, v41, |v28|, |v29|
	v_cvt_f32_u32_sdwa v49, v23 dst_sel:DWORD dst_unused:UNUSED_PAD src0_sel:WORD_1
	v_cvt_f32_u32_sdwa v48, v23 dst_sel:DWORD dst_unused:UNUSED_PAD src0_sel:WORD_0
	v_pk_mul_f32 v[24:25], v[10:11], v[42:43]
	v_max3_f32 v41, v41, |v26|, |v27|
	v_pk_mul_f32 v[22:23], v[4:5], v[18:19]
	v_max3_f32 v41, v41, |v24|, |v25|
	;; [unrolled: 2-line block ×5, first 2 shown]
	v_max3_f32 v41, v41, |v16|, |v17|
	s_nop 1
	v_mov_b32_dpp v42, v41 quad_perm:[1,0,3,2] row_mask:0xf bank_mask:0xf
	v_cmp_gt_f32_e32 vcc, v41, v42
	v_cndmask_b32_e32 v41, v42, v41, vcc
	s_nop 1
	v_mov_b32_dpp v42, v41 quad_perm:[2,3,0,1] row_mask:0xf bank_mask:0xf
	v_cmp_gt_f32_e32 vcc, v41, v42
	v_cndmask_b32_e32 v41, v42, v41, vcc
	s_nop 1
	v_mov_b32_dpp v42, v41 row_half_mirror row_mask:0xf bank_mask:0xf
	v_cmp_gt_f32_e32 vcc, v41, v42
	v_cndmask_b32_e32 v41, v42, v41, vcc
	s_nop 1
	v_mov_b32_dpp v42, v41 row_mirror row_mask:0xf bank_mask:0xf
	v_cmp_gt_f32_e32 vcc, v41, v42
	v_cndmask_b32_e32 v41, v42, v41, vcc
	s_nop 1
	v_mov_b32_dpp v42, v41 row_bcast:15 row_mask:0xf bank_mask:0xf
	v_cmp_gt_f32_e32 vcc, v41, v42
	v_cndmask_b32_e32 v41, v42, v41, vcc
	s_nop 1
	v_mov_b32_dpp v42, v41 row_bcast:31 row_mask:0xf bank_mask:0xf
	s_and_saveexec_b64 s[30:31], s[0:1]
	s_cbranch_execz .LBB223_13
; %bb.12:                               ;   in Loop: Header=BB223_10 Depth=2
	v_cmp_gt_f32_e32 vcc, v41, v42
	v_cndmask_b32_e32 v41, v42, v41, vcc
	ds_write_b32 v36, v41
.LBB223_13:                             ;   in Loop: Header=BB223_10 Depth=2
	s_or_b64 exec, exec, s[30:31]
	s_waitcnt lgkmcnt(0)
	s_barrier
	ds_read_b32 v41, v37
	s_mov_b64 s[30:31], -1
                                        ; implicit-def: $sgpr34
	s_waitcnt lgkmcnt(0)
	v_mov_b32_dpp v42, v41 quad_perm:[1,0,3,2] row_mask:0xf bank_mask:0xf
	v_cmp_gt_f32_e32 vcc, v41, v42
	v_cndmask_b32_e32 v41, v42, v41, vcc
	s_and_b64 vcc, exec, s[10:11]
	s_nop 0
	v_mov_b32_dpp v42, v41 quad_perm:[2,3,0,1] row_mask:0xf bank_mask:0xf
	s_cbranch_vccz .LBB223_15
; %bb.14:                               ;   in Loop: Header=BB223_10 Depth=2
	s_mul_i32 s30, s35, s17
	s_add_i32 s34, s30, s41
	s_mov_b64 s[30:31], 0
.LBB223_15:                             ;   in Loop: Header=BB223_10 Depth=2
	s_andn2_b64 vcc, exec, s[30:31]
	s_cbranch_vccnz .LBB223_17
; %bb.16:                               ;   in Loop: Header=BB223_10 Depth=2
	s_mul_i32 s30, s41, s13
	s_add_i32 s34, s30, s35
.LBB223_17:                             ;   in Loop: Header=BB223_10 Depth=2
	v_cmp_gt_f32_e32 vcc, v41, v42
	v_cndmask_b32_e32 v41, v42, v41, vcc
	v_mul_f32_e32 v41, 0x3c010204, v41
	s_and_saveexec_b64 s[30:31], s[2:3]
	s_cbranch_execz .LBB223_19
; %bb.18:                               ;   in Loop: Header=BB223_10 Depth=2
	s_ashr_i32 s35, s34, 31
	s_lshl_b64 s[44:45], s[34:35], 2
	s_add_u32 s44, s22, s44
	s_addc_u32 s45, s23, s45
	global_store_dword v38, v41, s[44:45]
.LBB223_19:                             ;   in Loop: Header=BB223_10 Depth=2
	s_or_b64 exec, exec, s[30:31]
	s_and_saveexec_b64 s[30:31], s[4:5]
	s_cbranch_execz .LBB223_8
; %bb.20:                               ;   in Loop: Header=BB223_10 Depth=2
	v_rcp_f32_e32 v42, v41
	s_mul_hi_i32 s35, s34, s16
	s_mul_i32 s34, s34, s16
	s_add_u32 s52, s20, s34
	v_mov_b32_e32 v43, v42
	;;#ASMSTART
	v_pk_mul_f32 v[30:31], v[30:31], v[42:43]
	;;#ASMEND
	;;#ASMSTART
	v_pk_mul_f32 v[28:29], v[28:29], v[42:43]
	;;#ASMEND
	v_cvt_i32_f32_e32 v30, v30
	v_cvt_i32_f32_sdwa v31, v31 dst_sel:BYTE_1 dst_unused:UNUSED_PAD src0_sel:DWORD
	v_cvt_i32_f32_e32 v28, v28
	v_cvt_i32_f32_sdwa v29, v29 dst_sel:BYTE_1 dst_unused:UNUSED_PAD src0_sel:DWORD
	;;#ASMSTART
	v_pk_mul_f32 v[26:27], v[26:27], v[42:43]
	;;#ASMEND
	;;#ASMSTART
	v_pk_mul_f32 v[24:25], v[24:25], v[42:43]
	;;#ASMEND
	v_cvt_i32_f32_e32 v26, v26
	v_cvt_i32_f32_sdwa v27, v27 dst_sel:BYTE_1 dst_unused:UNUSED_PAD src0_sel:DWORD
	v_cvt_i32_f32_e32 v24, v24
	v_cvt_i32_f32_sdwa v25, v25 dst_sel:BYTE_1 dst_unused:UNUSED_PAD src0_sel:DWORD
	;; [unrolled: 10-line block ×3, first 2 shown]
	;;#ASMSTART
	v_pk_mul_f32 v[18:19], v[18:19], v[42:43]
	;;#ASMEND
	v_cvt_i32_f32_e32 v41, v18
	v_cvt_i32_f32_sdwa v19, v19 dst_sel:BYTE_1 dst_unused:UNUSED_PAD src0_sel:DWORD
	;;#ASMSTART
	v_pk_mul_f32 v[16:17], v[16:17], v[42:43]
	;;#ASMEND
	v_cvt_i32_f32_e32 v42, v16
	v_cvt_i32_f32_sdwa v43, v17 dst_sel:BYTE_1 dst_unused:UNUSED_PAD src0_sel:DWORD
	v_or_b32_sdwa v16, v30, v31 dst_sel:DWORD dst_unused:UNUSED_PAD src0_sel:BYTE_0 src1_sel:DWORD
	v_or_b32_sdwa v17, v28, v29 dst_sel:WORD_1 dst_unused:UNUSED_PAD src0_sel:BYTE_0 src1_sel:DWORD
	v_or_b32_sdwa v16, v16, v17 dst_sel:DWORD dst_unused:UNUSED_PAD src0_sel:WORD_0 src1_sel:DWORD
	v_or_b32_sdwa v17, v26, v27 dst_sel:DWORD dst_unused:UNUSED_PAD src0_sel:BYTE_0 src1_sel:DWORD
	v_or_b32_sdwa v18, v24, v25 dst_sel:WORD_1 dst_unused:UNUSED_PAD src0_sel:BYTE_0 src1_sel:DWORD
	v_or_b32_sdwa v17, v17, v18 dst_sel:DWORD dst_unused:UNUSED_PAD src0_sel:WORD_0 src1_sel:DWORD
	v_or_b32_sdwa v18, v22, v23 dst_sel:DWORD dst_unused:UNUSED_PAD src0_sel:BYTE_0 src1_sel:DWORD
	v_or_b32_sdwa v20, v20, v21 dst_sel:WORD_1 dst_unused:UNUSED_PAD src0_sel:BYTE_0 src1_sel:DWORD
	s_addc_u32 s34, s21, s35
	v_or_b32_sdwa v18, v18, v20 dst_sel:DWORD dst_unused:UNUSED_PAD src0_sel:WORD_0 src1_sel:DWORD
	v_or_b32_sdwa v19, v41, v19 dst_sel:DWORD dst_unused:UNUSED_PAD src0_sel:BYTE_0 src1_sel:DWORD
	v_or_b32_sdwa v20, v42, v43 dst_sel:WORD_1 dst_unused:UNUSED_PAD src0_sel:BYTE_0 src1_sel:DWORD
	s_and_b32 s53, s34, 0xffff
	s_mov_b32 s55, s51
	v_or_b32_sdwa v19, v19, v20 dst_sel:DWORD dst_unused:UNUSED_PAD src0_sel:WORD_0 src1_sel:DWORD
	buffer_store_dwordx4 v[16:19], v33, s[52:55], 0 offen
	;;#ASMSTART
	s_nop 0
	;;#ASMEND
	s_branch .LBB223_8
.LBB223_21:
	s_endpgm
	.section	.rodata,"a",@progbits
	.p2align	6, 0x0
	.amdhsa_kernel _ZN5aiter43moe_smooth_per_token_scaled_quant_kernel_v2ItaLi256ELi16EEEvPT0_PfPT_S3_PiS6_S6_iiiiiiiiiibb
		.amdhsa_group_segment_fixed_size 16
		.amdhsa_private_segment_fixed_size 0
		.amdhsa_kernarg_size 100
		.amdhsa_user_sgpr_count 6
		.amdhsa_user_sgpr_private_segment_buffer 1
		.amdhsa_user_sgpr_dispatch_ptr 0
		.amdhsa_user_sgpr_queue_ptr 0
		.amdhsa_user_sgpr_kernarg_segment_ptr 1
		.amdhsa_user_sgpr_dispatch_id 0
		.amdhsa_user_sgpr_flat_scratch_init 0
		.amdhsa_user_sgpr_kernarg_preload_length 0
		.amdhsa_user_sgpr_kernarg_preload_offset 0
		.amdhsa_user_sgpr_private_segment_size 0
		.amdhsa_uses_dynamic_stack 0
		.amdhsa_system_sgpr_private_segment_wavefront_offset 0
		.amdhsa_system_sgpr_workgroup_id_x 1
		.amdhsa_system_sgpr_workgroup_id_y 0
		.amdhsa_system_sgpr_workgroup_id_z 0
		.amdhsa_system_sgpr_workgroup_info 0
		.amdhsa_system_vgpr_workitem_id 0
		.amdhsa_next_free_vgpr 50
		.amdhsa_next_free_sgpr 56
		.amdhsa_accum_offset 52
		.amdhsa_reserve_vcc 1
		.amdhsa_reserve_flat_scratch 0
		.amdhsa_float_round_mode_32 0
		.amdhsa_float_round_mode_16_64 0
		.amdhsa_float_denorm_mode_32 3
		.amdhsa_float_denorm_mode_16_64 3
		.amdhsa_dx10_clamp 1
		.amdhsa_ieee_mode 1
		.amdhsa_fp16_overflow 0
		.amdhsa_tg_split 0
		.amdhsa_exception_fp_ieee_invalid_op 0
		.amdhsa_exception_fp_denorm_src 0
		.amdhsa_exception_fp_ieee_div_zero 0
		.amdhsa_exception_fp_ieee_overflow 0
		.amdhsa_exception_fp_ieee_underflow 0
		.amdhsa_exception_fp_ieee_inexact 0
		.amdhsa_exception_int_div_zero 0
	.end_amdhsa_kernel
	.section	.text._ZN5aiter43moe_smooth_per_token_scaled_quant_kernel_v2ItaLi256ELi16EEEvPT0_PfPT_S3_PiS6_S6_iiiiiiiiiibb,"axG",@progbits,_ZN5aiter43moe_smooth_per_token_scaled_quant_kernel_v2ItaLi256ELi16EEEvPT0_PfPT_S3_PiS6_S6_iiiiiiiiiibb,comdat
.Lfunc_end223:
	.size	_ZN5aiter43moe_smooth_per_token_scaled_quant_kernel_v2ItaLi256ELi16EEEvPT0_PfPT_S3_PiS6_S6_iiiiiiiiiibb, .Lfunc_end223-_ZN5aiter43moe_smooth_per_token_scaled_quant_kernel_v2ItaLi256ELi16EEEvPT0_PfPT_S3_PiS6_S6_iiiiiiiiiibb
                                        ; -- End function
	.section	.AMDGPU.csdata,"",@progbits
; Kernel info:
; codeLenInByte = 1448
; NumSgprs: 60
; NumVgprs: 50
; NumAgprs: 0
; TotalNumVgprs: 50
; ScratchSize: 0
; MemoryBound: 0
; FloatMode: 240
; IeeeMode: 1
; LDSByteSize: 16 bytes/workgroup (compile time only)
; SGPRBlocks: 7
; VGPRBlocks: 6
; NumSGPRsForWavesPerEU: 60
; NumVGPRsForWavesPerEU: 50
; AccumOffset: 52
; Occupancy: 8
; WaveLimiterHint : 0
; COMPUTE_PGM_RSRC2:SCRATCH_EN: 0
; COMPUTE_PGM_RSRC2:USER_SGPR: 6
; COMPUTE_PGM_RSRC2:TRAP_HANDLER: 0
; COMPUTE_PGM_RSRC2:TGID_X_EN: 1
; COMPUTE_PGM_RSRC2:TGID_Y_EN: 0
; COMPUTE_PGM_RSRC2:TGID_Z_EN: 0
; COMPUTE_PGM_RSRC2:TIDIG_COMP_CNT: 0
; COMPUTE_PGM_RSRC3_GFX90A:ACCUM_OFFSET: 12
; COMPUTE_PGM_RSRC3_GFX90A:TG_SPLIT: 0
	.section	.text._ZN5aiter43moe_smooth_per_token_scaled_quant_kernel_v2IDF16_aLi512ELi16EEEvPT0_PfPT_S3_PiS6_S6_iiiiiiiiiibb,"axG",@progbits,_ZN5aiter43moe_smooth_per_token_scaled_quant_kernel_v2IDF16_aLi512ELi16EEEvPT0_PfPT_S3_PiS6_S6_iiiiiiiiiibb,comdat
	.protected	_ZN5aiter43moe_smooth_per_token_scaled_quant_kernel_v2IDF16_aLi512ELi16EEEvPT0_PfPT_S3_PiS6_S6_iiiiiiiiiibb ; -- Begin function _ZN5aiter43moe_smooth_per_token_scaled_quant_kernel_v2IDF16_aLi512ELi16EEEvPT0_PfPT_S3_PiS6_S6_iiiiiiiiiibb
	.globl	_ZN5aiter43moe_smooth_per_token_scaled_quant_kernel_v2IDF16_aLi512ELi16EEEvPT0_PfPT_S3_PiS6_S6_iiiiiiiiiibb
	.p2align	8
	.type	_ZN5aiter43moe_smooth_per_token_scaled_quant_kernel_v2IDF16_aLi512ELi16EEEvPT0_PfPT_S3_PiS6_S6_iiiiiiiiiibb,@function
_ZN5aiter43moe_smooth_per_token_scaled_quant_kernel_v2IDF16_aLi512ELi16EEEvPT0_PfPT_S3_PiS6_S6_iiiiiiiiiibb: ; @_ZN5aiter43moe_smooth_per_token_scaled_quant_kernel_v2IDF16_aLi512ELi16EEEvPT0_PfPT_S3_PiS6_S6_iiiiiiiiiibb
; %bb.0:
	s_load_dwordx8 s[12:19], s[4:5], 0x38
	s_waitcnt lgkmcnt(0)
	s_cmp_ge_i32 s6, s14
	s_cbranch_scc1 .LBB224_21
; %bb.1:
	s_load_dwordx4 s[28:31], s[4:5], 0x58
	s_load_dwordx2 s[0:1], s[4:5], 0x30
	s_load_dwordx4 s[36:39], s[4:5], 0x20
	s_load_dwordx8 s[20:27], s[4:5], 0x0
	v_and_b32_e32 v1, 63, v0
	s_waitcnt lgkmcnt(0)
	s_bitcmp1_b32 s30, 8
	s_load_dword s7, s[0:1], 0x0
	s_cselect_b64 s[0:1], -1, 0
	s_ashr_i32 s18, s18, s19
	s_xor_b64 s[10:11], s[0:1], -1
	s_lshl_b32 s42, s18, 2
	s_lshl_b32 s46, s16, 2
	s_cmp_gt_i32 s18, 0
	s_cselect_b64 s[8:9], -1, 0
	s_add_i32 s4, s16, 15
	s_ashr_i32 s5, s4, 31
	s_lshr_b32 s5, s5, 28
	s_add_i32 s30, s16, 3
	s_add_i32 s4, s4, s5
	s_ashr_i32 s31, s30, 31
	v_lshlrev_b32_e32 v32, 2, v1
	v_cmp_eq_u32_e64 s[0:1], 63, v1
	v_lshrrev_b32_e32 v1, 4, v0
	s_ashr_i32 s4, s4, 4
	s_lshr_b32 s31, s31, 30
	v_lshlrev_b32_e32 v33, 4, v0
	v_lshlrev_b32_e32 v34, 6, v0
	;; [unrolled: 1-line block ×3, first 2 shown]
	v_and_b32_e32 v36, 60, v1
	v_and_b32_e32 v1, 7, v0
	v_cmp_eq_u32_e64 s[2:3], 0, v0
	v_cmp_gt_u32_e64 s[4:5], s4, v0
	s_add_i32 s30, s30, s31
	v_cndmask_b32_e64 v0, 0, 1, s[8:9]
	s_lshl_b32 s50, s16, 1
	v_lshlrev_b32_e32 v37, 2, v1
	s_and_b32 s54, s30, -4
	s_mov_b32 s51, 0x20000
	s_mov_b32 s33, 0x2edbe6ff
	v_mov_b32_e32 v38, 0
	v_cmp_ne_u32_e64 s[8:9], 1, v0
	s_branch .LBB224_4
.LBB224_2:                              ;   in Loop: Header=BB224_4 Depth=1
	s_mov_b64 s[34:35], -1
.LBB224_3:                              ;   in Loop: Header=BB224_4 Depth=1
	s_add_i32 s6, s6, s15
	s_cmp_lt_i32 s6, s14
	s_cselect_b64 s[30:31], -1, 0
	s_and_b64 s[30:31], s[34:35], s[30:31]
	s_and_b64 vcc, exec, s[30:31]
	s_cbranch_vccz .LBB224_21
.LBB224_4:                              ; =>This Loop Header: Depth=1
                                        ;     Child Loop BB224_10 Depth 2
	s_mul_i32 s30, s6, s18
	s_waitcnt lgkmcnt(0)
	s_cmp_ge_i32 s30, s7
	s_mov_b64 s[34:35], 0
	s_cbranch_scc1 .LBB224_3
; %bb.5:                                ;   in Loop: Header=BB224_4 Depth=1
	s_ashr_i32 s34, s6, s19
	s_ashr_i32 s35, s34, 31
	s_lshl_b64 s[34:35], s[34:35], 2
	s_add_u32 s34, s38, s34
	s_addc_u32 s35, s39, s35
	s_load_dword s44, s[34:35], 0x0
	s_mov_b64 s[34:35], 0
	s_waitcnt lgkmcnt(0)
	s_cmp_ge_i32 s44, s12
	s_cbranch_scc1 .LBB224_3
; %bb.6:                                ;   in Loop: Header=BB224_4 Depth=1
	s_and_b64 vcc, exec, s[8:9]
	s_cbranch_vccnz .LBB224_2
; %bb.7:                                ;   in Loop: Header=BB224_4 Depth=1
	s_ashr_i32 s31, s30, 31
	s_lshl_b64 s[30:31], s[30:31], 2
	s_add_u32 s40, s36, s30
	s_addc_u32 s30, s37, s31
	s_and_b32 s41, s30, 0xffff
	s_mul_i32 s30, s44, s16
	s_ashr_i32 s31, s30, 31
	s_lshl_b64 s[30:31], s[30:31], 2
	s_add_u32 s44, s26, s30
	s_addc_u32 s30, s27, s31
	s_mov_b32 s43, s51
	s_and_b32 s45, s30, 0xffff
	s_mov_b32 s47, s51
	buffer_load_dword v16, v32, s[40:43], 0 offen
	buffer_load_dwordx4 v[0:3], v34, s[44:47], 48 offen
	buffer_load_dwordx4 v[4:7], v34, s[44:47], 32 offen
	buffer_load_dwordx4 v[8:11], v34, s[44:47], 16 offen
	buffer_load_dwordx4 v[12:15], v34, s[44:47], 0 offen
	s_mov_b32 s40, 0
	s_waitcnt vmcnt(4)
	v_and_b32_e32 v39, 0xffffff, v16
	v_ashrrev_i32_e32 v40, 24, v16
	s_branch .LBB224_10
.LBB224_8:                              ;   in Loop: Header=BB224_10 Depth=2
	s_or_b64 exec, exec, s[30:31]
	s_add_i32 s40, s40, 1
	s_cmp_eq_u32 s18, s40
	s_cselect_b64 s[30:31], -1, 0
.LBB224_9:                              ;   in Loop: Header=BB224_10 Depth=2
	s_and_b64 vcc, exec, s[30:31]
	s_cbranch_vccnz .LBB224_2
.LBB224_10:                             ;   Parent Loop BB224_4 Depth=1
                                        ; =>  This Inner Loop Header: Depth=2
	v_readlane_b32 s35, v39, s40
	v_readlane_b32 s41, v40, s40
	s_cmp_ge_i32 s35, s13
	s_mov_b64 s[30:31], -1
	s_cbranch_scc1 .LBB224_9
; %bb.11:                               ;   in Loop: Header=BB224_10 Depth=2
	s_mul_hi_i32 s31, s35, s28
	s_mul_i32 s30, s35, s28
	s_mul_i32 s44, s41, s29
	s_ashr_i32 s45, s44, 31
	s_lshl_b64 s[30:31], s[30:31], 1
	s_add_u32 s34, s24, s30
	s_addc_u32 s43, s25, s31
	s_lshl_b64 s[30:31], s[44:45], 1
	s_add_u32 s48, s34, s30
	s_addc_u32 s30, s43, s31
	s_and_b32 s49, s30, 0xffff
	buffer_load_dwordx4 v[16:19], v35, s[48:51], 0 offen
	buffer_load_dwordx4 v[20:23], v35, s[48:51], 16 offen
	s_waitcnt vmcnt(1)
	v_cvt_f32_f16_e32 v24, v16
	v_cvt_f32_f16_sdwa v25, v16 dst_sel:DWORD dst_unused:UNUSED_PAD src0_sel:WORD_1
	v_cvt_f32_f16_e32 v16, v17
	v_cvt_f32_f16_sdwa v17, v17 dst_sel:DWORD dst_unused:UNUSED_PAD src0_sel:WORD_1
	;; [unrolled: 2-line block ×4, first 2 shown]
	s_waitcnt vmcnt(0)
	v_cvt_f32_f16_e32 v42, v20
	v_cvt_f32_f16_sdwa v43, v20 dst_sel:DWORD dst_unused:UNUSED_PAD src0_sel:WORD_1
	v_pk_mul_f32 v[30:31], v[12:13], v[24:25]
	v_cvt_f32_f16_e32 v20, v21
	v_cvt_f32_f16_sdwa v21, v21 dst_sel:DWORD dst_unused:UNUSED_PAD src0_sel:WORD_1
	v_pk_mul_f32 v[28:29], v[14:15], v[16:17]
	v_max3_f32 v41, |v30|, s33, |v31|
	v_cvt_f32_f16_e32 v44, v22
	v_cvt_f32_f16_sdwa v45, v22 dst_sel:DWORD dst_unused:UNUSED_PAD src0_sel:WORD_1
	v_pk_mul_f32 v[26:27], v[8:9], v[26:27]
	v_max3_f32 v41, v41, |v28|, |v29|
	v_cvt_f32_f16_e32 v46, v23
	v_cvt_f32_f16_sdwa v47, v23 dst_sel:DWORD dst_unused:UNUSED_PAD src0_sel:WORD_1
	v_pk_mul_f32 v[24:25], v[10:11], v[18:19]
	v_max3_f32 v41, v41, |v26|, |v27|
	v_pk_mul_f32 v[22:23], v[4:5], v[42:43]
	v_max3_f32 v41, v41, |v24|, |v25|
	;; [unrolled: 2-line block ×5, first 2 shown]
	v_max3_f32 v41, v41, |v16|, |v17|
	s_nop 1
	v_mov_b32_dpp v42, v41 quad_perm:[1,0,3,2] row_mask:0xf bank_mask:0xf
	v_cmp_gt_f32_e32 vcc, v41, v42
	v_cndmask_b32_e32 v41, v42, v41, vcc
	s_nop 1
	v_mov_b32_dpp v42, v41 quad_perm:[2,3,0,1] row_mask:0xf bank_mask:0xf
	v_cmp_gt_f32_e32 vcc, v41, v42
	v_cndmask_b32_e32 v41, v42, v41, vcc
	s_nop 1
	v_mov_b32_dpp v42, v41 row_half_mirror row_mask:0xf bank_mask:0xf
	v_cmp_gt_f32_e32 vcc, v41, v42
	v_cndmask_b32_e32 v41, v42, v41, vcc
	s_nop 1
	v_mov_b32_dpp v42, v41 row_mirror row_mask:0xf bank_mask:0xf
	v_cmp_gt_f32_e32 vcc, v41, v42
	v_cndmask_b32_e32 v41, v42, v41, vcc
	s_nop 1
	v_mov_b32_dpp v42, v41 row_bcast:15 row_mask:0xf bank_mask:0xf
	v_cmp_gt_f32_e32 vcc, v41, v42
	v_cndmask_b32_e32 v41, v42, v41, vcc
	s_nop 1
	v_mov_b32_dpp v42, v41 row_bcast:31 row_mask:0xf bank_mask:0xf
	s_and_saveexec_b64 s[30:31], s[0:1]
	s_cbranch_execz .LBB224_13
; %bb.12:                               ;   in Loop: Header=BB224_10 Depth=2
	v_cmp_gt_f32_e32 vcc, v41, v42
	v_cndmask_b32_e32 v41, v42, v41, vcc
	ds_write_b32 v36, v41
.LBB224_13:                             ;   in Loop: Header=BB224_10 Depth=2
	s_or_b64 exec, exec, s[30:31]
	s_waitcnt lgkmcnt(0)
	s_barrier
	ds_read_b32 v41, v37
	s_mov_b64 s[30:31], -1
                                        ; implicit-def: $sgpr34
	s_waitcnt lgkmcnt(0)
	v_mov_b32_dpp v42, v41 quad_perm:[1,0,3,2] row_mask:0xf bank_mask:0xf
	v_cmp_gt_f32_e32 vcc, v41, v42
	v_cndmask_b32_e32 v41, v42, v41, vcc
	s_nop 1
	v_mov_b32_dpp v42, v41 quad_perm:[2,3,0,1] row_mask:0xf bank_mask:0xf
	v_cmp_gt_f32_e32 vcc, v41, v42
	v_cndmask_b32_e32 v41, v42, v41, vcc
	s_and_b64 vcc, exec, s[10:11]
	s_nop 0
	v_mov_b32_dpp v42, v41 row_half_mirror row_mask:0xf bank_mask:0xf
	s_cbranch_vccz .LBB224_15
; %bb.14:                               ;   in Loop: Header=BB224_10 Depth=2
	s_mul_i32 s30, s35, s17
	s_add_i32 s34, s30, s41
	s_mov_b64 s[30:31], 0
.LBB224_15:                             ;   in Loop: Header=BB224_10 Depth=2
	s_andn2_b64 vcc, exec, s[30:31]
	s_cbranch_vccnz .LBB224_17
; %bb.16:                               ;   in Loop: Header=BB224_10 Depth=2
	s_mul_i32 s30, s41, s13
	s_add_i32 s34, s30, s35
.LBB224_17:                             ;   in Loop: Header=BB224_10 Depth=2
	v_cmp_gt_f32_e32 vcc, v41, v42
	v_cndmask_b32_e32 v41, v42, v41, vcc
	v_mul_f32_e32 v41, 0x3c010204, v41
	s_and_saveexec_b64 s[30:31], s[2:3]
	s_cbranch_execz .LBB224_19
; %bb.18:                               ;   in Loop: Header=BB224_10 Depth=2
	s_ashr_i32 s35, s34, 31
	s_lshl_b64 s[44:45], s[34:35], 2
	s_add_u32 s44, s22, s44
	s_addc_u32 s45, s23, s45
	global_store_dword v38, v41, s[44:45]
.LBB224_19:                             ;   in Loop: Header=BB224_10 Depth=2
	s_or_b64 exec, exec, s[30:31]
	s_and_saveexec_b64 s[30:31], s[4:5]
	s_cbranch_execz .LBB224_8
; %bb.20:                               ;   in Loop: Header=BB224_10 Depth=2
	v_rcp_f32_e32 v42, v41
	s_mul_hi_i32 s35, s34, s16
	s_mul_i32 s34, s34, s16
	s_add_u32 s52, s20, s34
	v_mov_b32_e32 v43, v42
	;;#ASMSTART
	v_pk_mul_f32 v[30:31], v[30:31], v[42:43]
	;;#ASMEND
	;;#ASMSTART
	v_pk_mul_f32 v[28:29], v[28:29], v[42:43]
	;;#ASMEND
	v_cvt_i32_f32_e32 v30, v30
	v_cvt_i32_f32_sdwa v31, v31 dst_sel:BYTE_1 dst_unused:UNUSED_PAD src0_sel:DWORD
	v_cvt_i32_f32_e32 v28, v28
	v_cvt_i32_f32_sdwa v29, v29 dst_sel:BYTE_1 dst_unused:UNUSED_PAD src0_sel:DWORD
	;;#ASMSTART
	v_pk_mul_f32 v[26:27], v[26:27], v[42:43]
	;;#ASMEND
	;;#ASMSTART
	v_pk_mul_f32 v[24:25], v[24:25], v[42:43]
	;;#ASMEND
	v_cvt_i32_f32_e32 v26, v26
	v_cvt_i32_f32_sdwa v27, v27 dst_sel:BYTE_1 dst_unused:UNUSED_PAD src0_sel:DWORD
	v_cvt_i32_f32_e32 v24, v24
	v_cvt_i32_f32_sdwa v25, v25 dst_sel:BYTE_1 dst_unused:UNUSED_PAD src0_sel:DWORD
	;; [unrolled: 10-line block ×3, first 2 shown]
	;;#ASMSTART
	v_pk_mul_f32 v[18:19], v[18:19], v[42:43]
	;;#ASMEND
	v_cvt_i32_f32_e32 v41, v18
	v_cvt_i32_f32_sdwa v19, v19 dst_sel:BYTE_1 dst_unused:UNUSED_PAD src0_sel:DWORD
	;;#ASMSTART
	v_pk_mul_f32 v[16:17], v[16:17], v[42:43]
	;;#ASMEND
	v_cvt_i32_f32_e32 v42, v16
	v_cvt_i32_f32_sdwa v43, v17 dst_sel:BYTE_1 dst_unused:UNUSED_PAD src0_sel:DWORD
	v_or_b32_sdwa v16, v30, v31 dst_sel:DWORD dst_unused:UNUSED_PAD src0_sel:BYTE_0 src1_sel:DWORD
	v_or_b32_sdwa v17, v28, v29 dst_sel:WORD_1 dst_unused:UNUSED_PAD src0_sel:BYTE_0 src1_sel:DWORD
	v_or_b32_sdwa v16, v16, v17 dst_sel:DWORD dst_unused:UNUSED_PAD src0_sel:WORD_0 src1_sel:DWORD
	v_or_b32_sdwa v17, v26, v27 dst_sel:DWORD dst_unused:UNUSED_PAD src0_sel:BYTE_0 src1_sel:DWORD
	v_or_b32_sdwa v18, v24, v25 dst_sel:WORD_1 dst_unused:UNUSED_PAD src0_sel:BYTE_0 src1_sel:DWORD
	v_or_b32_sdwa v17, v17, v18 dst_sel:DWORD dst_unused:UNUSED_PAD src0_sel:WORD_0 src1_sel:DWORD
	v_or_b32_sdwa v18, v22, v23 dst_sel:DWORD dst_unused:UNUSED_PAD src0_sel:BYTE_0 src1_sel:DWORD
	v_or_b32_sdwa v20, v20, v21 dst_sel:WORD_1 dst_unused:UNUSED_PAD src0_sel:BYTE_0 src1_sel:DWORD
	s_addc_u32 s34, s21, s35
	v_or_b32_sdwa v18, v18, v20 dst_sel:DWORD dst_unused:UNUSED_PAD src0_sel:WORD_0 src1_sel:DWORD
	v_or_b32_sdwa v19, v41, v19 dst_sel:DWORD dst_unused:UNUSED_PAD src0_sel:BYTE_0 src1_sel:DWORD
	v_or_b32_sdwa v20, v42, v43 dst_sel:WORD_1 dst_unused:UNUSED_PAD src0_sel:BYTE_0 src1_sel:DWORD
	s_and_b32 s53, s34, 0xffff
	s_mov_b32 s55, s51
	v_or_b32_sdwa v19, v19, v20 dst_sel:DWORD dst_unused:UNUSED_PAD src0_sel:WORD_0 src1_sel:DWORD
	buffer_store_dwordx4 v[16:19], v33, s[52:55], 0 offen
	;;#ASMSTART
	s_nop 0
	;;#ASMEND
	s_branch .LBB224_8
.LBB224_21:
	s_endpgm
	.section	.rodata,"a",@progbits
	.p2align	6, 0x0
	.amdhsa_kernel _ZN5aiter43moe_smooth_per_token_scaled_quant_kernel_v2IDF16_aLi512ELi16EEEvPT0_PfPT_S3_PiS6_S6_iiiiiiiiiibb
		.amdhsa_group_segment_fixed_size 32
		.amdhsa_private_segment_fixed_size 0
		.amdhsa_kernarg_size 100
		.amdhsa_user_sgpr_count 6
		.amdhsa_user_sgpr_private_segment_buffer 1
		.amdhsa_user_sgpr_dispatch_ptr 0
		.amdhsa_user_sgpr_queue_ptr 0
		.amdhsa_user_sgpr_kernarg_segment_ptr 1
		.amdhsa_user_sgpr_dispatch_id 0
		.amdhsa_user_sgpr_flat_scratch_init 0
		.amdhsa_user_sgpr_kernarg_preload_length 0
		.amdhsa_user_sgpr_kernarg_preload_offset 0
		.amdhsa_user_sgpr_private_segment_size 0
		.amdhsa_uses_dynamic_stack 0
		.amdhsa_system_sgpr_private_segment_wavefront_offset 0
		.amdhsa_system_sgpr_workgroup_id_x 1
		.amdhsa_system_sgpr_workgroup_id_y 0
		.amdhsa_system_sgpr_workgroup_id_z 0
		.amdhsa_system_sgpr_workgroup_info 0
		.amdhsa_system_vgpr_workitem_id 0
		.amdhsa_next_free_vgpr 48
		.amdhsa_next_free_sgpr 56
		.amdhsa_accum_offset 48
		.amdhsa_reserve_vcc 1
		.amdhsa_reserve_flat_scratch 0
		.amdhsa_float_round_mode_32 0
		.amdhsa_float_round_mode_16_64 0
		.amdhsa_float_denorm_mode_32 3
		.amdhsa_float_denorm_mode_16_64 3
		.amdhsa_dx10_clamp 1
		.amdhsa_ieee_mode 1
		.amdhsa_fp16_overflow 0
		.amdhsa_tg_split 0
		.amdhsa_exception_fp_ieee_invalid_op 0
		.amdhsa_exception_fp_denorm_src 0
		.amdhsa_exception_fp_ieee_div_zero 0
		.amdhsa_exception_fp_ieee_overflow 0
		.amdhsa_exception_fp_ieee_underflow 0
		.amdhsa_exception_fp_ieee_inexact 0
		.amdhsa_exception_int_div_zero 0
	.end_amdhsa_kernel
	.section	.text._ZN5aiter43moe_smooth_per_token_scaled_quant_kernel_v2IDF16_aLi512ELi16EEEvPT0_PfPT_S3_PiS6_S6_iiiiiiiiiibb,"axG",@progbits,_ZN5aiter43moe_smooth_per_token_scaled_quant_kernel_v2IDF16_aLi512ELi16EEEvPT0_PfPT_S3_PiS6_S6_iiiiiiiiiibb,comdat
.Lfunc_end224:
	.size	_ZN5aiter43moe_smooth_per_token_scaled_quant_kernel_v2IDF16_aLi512ELi16EEEvPT0_PfPT_S3_PiS6_S6_iiiiiiiiiibb, .Lfunc_end224-_ZN5aiter43moe_smooth_per_token_scaled_quant_kernel_v2IDF16_aLi512ELi16EEEvPT0_PfPT_S3_PiS6_S6_iiiiiiiiiibb
                                        ; -- End function
	.section	.AMDGPU.csdata,"",@progbits
; Kernel info:
; codeLenInByte = 1436
; NumSgprs: 60
; NumVgprs: 48
; NumAgprs: 0
; TotalNumVgprs: 48
; ScratchSize: 0
; MemoryBound: 0
; FloatMode: 240
; IeeeMode: 1
; LDSByteSize: 32 bytes/workgroup (compile time only)
; SGPRBlocks: 7
; VGPRBlocks: 5
; NumSGPRsForWavesPerEU: 60
; NumVGPRsForWavesPerEU: 48
; AccumOffset: 48
; Occupancy: 8
; WaveLimiterHint : 0
; COMPUTE_PGM_RSRC2:SCRATCH_EN: 0
; COMPUTE_PGM_RSRC2:USER_SGPR: 6
; COMPUTE_PGM_RSRC2:TRAP_HANDLER: 0
; COMPUTE_PGM_RSRC2:TGID_X_EN: 1
; COMPUTE_PGM_RSRC2:TGID_Y_EN: 0
; COMPUTE_PGM_RSRC2:TGID_Z_EN: 0
; COMPUTE_PGM_RSRC2:TIDIG_COMP_CNT: 0
; COMPUTE_PGM_RSRC3_GFX90A:ACCUM_OFFSET: 11
; COMPUTE_PGM_RSRC3_GFX90A:TG_SPLIT: 0
	.section	.text._ZN5aiter43moe_smooth_per_token_scaled_quant_kernel_v2ItaLi512ELi16EEEvPT0_PfPT_S3_PiS6_S6_iiiiiiiiiibb,"axG",@progbits,_ZN5aiter43moe_smooth_per_token_scaled_quant_kernel_v2ItaLi512ELi16EEEvPT0_PfPT_S3_PiS6_S6_iiiiiiiiiibb,comdat
	.protected	_ZN5aiter43moe_smooth_per_token_scaled_quant_kernel_v2ItaLi512ELi16EEEvPT0_PfPT_S3_PiS6_S6_iiiiiiiiiibb ; -- Begin function _ZN5aiter43moe_smooth_per_token_scaled_quant_kernel_v2ItaLi512ELi16EEEvPT0_PfPT_S3_PiS6_S6_iiiiiiiiiibb
	.globl	_ZN5aiter43moe_smooth_per_token_scaled_quant_kernel_v2ItaLi512ELi16EEEvPT0_PfPT_S3_PiS6_S6_iiiiiiiiiibb
	.p2align	8
	.type	_ZN5aiter43moe_smooth_per_token_scaled_quant_kernel_v2ItaLi512ELi16EEEvPT0_PfPT_S3_PiS6_S6_iiiiiiiiiibb,@function
_ZN5aiter43moe_smooth_per_token_scaled_quant_kernel_v2ItaLi512ELi16EEEvPT0_PfPT_S3_PiS6_S6_iiiiiiiiiibb: ; @_ZN5aiter43moe_smooth_per_token_scaled_quant_kernel_v2ItaLi512ELi16EEEvPT0_PfPT_S3_PiS6_S6_iiiiiiiiiibb
; %bb.0:
	s_load_dwordx8 s[12:19], s[4:5], 0x38
	s_waitcnt lgkmcnt(0)
	s_cmp_ge_i32 s6, s14
	s_cbranch_scc1 .LBB225_21
; %bb.1:
	s_load_dwordx4 s[28:31], s[4:5], 0x58
	s_load_dwordx2 s[0:1], s[4:5], 0x30
	s_load_dwordx4 s[36:39], s[4:5], 0x20
	s_load_dwordx8 s[20:27], s[4:5], 0x0
	v_and_b32_e32 v1, 63, v0
	s_waitcnt lgkmcnt(0)
	s_bitcmp1_b32 s30, 8
	s_load_dword s7, s[0:1], 0x0
	s_cselect_b64 s[0:1], -1, 0
	s_ashr_i32 s18, s18, s19
	s_xor_b64 s[10:11], s[0:1], -1
	s_lshl_b32 s42, s18, 2
	s_lshl_b32 s46, s16, 2
	s_cmp_gt_i32 s18, 0
	s_cselect_b64 s[8:9], -1, 0
	s_add_i32 s4, s16, 15
	s_ashr_i32 s5, s4, 31
	s_lshr_b32 s5, s5, 28
	s_add_i32 s30, s16, 3
	s_add_i32 s4, s4, s5
	s_ashr_i32 s31, s30, 31
	v_lshlrev_b32_e32 v32, 2, v1
	v_cmp_eq_u32_e64 s[0:1], 63, v1
	v_lshrrev_b32_e32 v1, 4, v0
	s_ashr_i32 s4, s4, 4
	s_lshr_b32 s31, s31, 30
	v_lshlrev_b32_e32 v33, 4, v0
	v_lshlrev_b32_e32 v34, 6, v0
	;; [unrolled: 1-line block ×3, first 2 shown]
	v_and_b32_e32 v36, 60, v1
	v_and_b32_e32 v1, 7, v0
	v_cmp_eq_u32_e64 s[2:3], 0, v0
	v_cmp_gt_u32_e64 s[4:5], s4, v0
	s_add_i32 s30, s30, s31
	v_cndmask_b32_e64 v0, 0, 1, s[8:9]
	s_lshl_b32 s50, s16, 1
	v_lshlrev_b32_e32 v37, 2, v1
	s_and_b32 s54, s30, -4
	s_mov_b32 s51, 0x20000
	s_mov_b32 s33, 0x2edbe6ff
	v_mov_b32_e32 v38, 0
	v_cmp_ne_u32_e64 s[8:9], 1, v0
	s_branch .LBB225_4
.LBB225_2:                              ;   in Loop: Header=BB225_4 Depth=1
	s_mov_b64 s[34:35], -1
.LBB225_3:                              ;   in Loop: Header=BB225_4 Depth=1
	s_add_i32 s6, s6, s15
	s_cmp_lt_i32 s6, s14
	s_cselect_b64 s[30:31], -1, 0
	s_and_b64 s[30:31], s[34:35], s[30:31]
	s_and_b64 vcc, exec, s[30:31]
	s_cbranch_vccz .LBB225_21
.LBB225_4:                              ; =>This Loop Header: Depth=1
                                        ;     Child Loop BB225_10 Depth 2
	s_mul_i32 s30, s6, s18
	s_waitcnt lgkmcnt(0)
	s_cmp_ge_i32 s30, s7
	s_mov_b64 s[34:35], 0
	s_cbranch_scc1 .LBB225_3
; %bb.5:                                ;   in Loop: Header=BB225_4 Depth=1
	s_ashr_i32 s34, s6, s19
	s_ashr_i32 s35, s34, 31
	s_lshl_b64 s[34:35], s[34:35], 2
	s_add_u32 s34, s38, s34
	s_addc_u32 s35, s39, s35
	s_load_dword s44, s[34:35], 0x0
	s_mov_b64 s[34:35], 0
	s_waitcnt lgkmcnt(0)
	s_cmp_ge_i32 s44, s12
	s_cbranch_scc1 .LBB225_3
; %bb.6:                                ;   in Loop: Header=BB225_4 Depth=1
	s_and_b64 vcc, exec, s[8:9]
	s_cbranch_vccnz .LBB225_2
; %bb.7:                                ;   in Loop: Header=BB225_4 Depth=1
	s_ashr_i32 s31, s30, 31
	s_lshl_b64 s[30:31], s[30:31], 2
	s_add_u32 s40, s36, s30
	s_addc_u32 s30, s37, s31
	s_and_b32 s41, s30, 0xffff
	s_mul_i32 s30, s44, s16
	s_ashr_i32 s31, s30, 31
	s_lshl_b64 s[30:31], s[30:31], 2
	s_add_u32 s44, s26, s30
	s_addc_u32 s30, s27, s31
	s_mov_b32 s43, s51
	s_and_b32 s45, s30, 0xffff
	s_mov_b32 s47, s51
	buffer_load_dword v16, v32, s[40:43], 0 offen
	buffer_load_dwordx4 v[0:3], v34, s[44:47], 48 offen
	buffer_load_dwordx4 v[4:7], v34, s[44:47], 32 offen
	;; [unrolled: 1-line block ×4, first 2 shown]
	s_mov_b32 s40, 0
	s_waitcnt vmcnt(4)
	v_and_b32_e32 v39, 0xffffff, v16
	v_ashrrev_i32_e32 v40, 24, v16
	s_branch .LBB225_10
.LBB225_8:                              ;   in Loop: Header=BB225_10 Depth=2
	s_or_b64 exec, exec, s[30:31]
	s_add_i32 s40, s40, 1
	s_cmp_eq_u32 s18, s40
	s_cselect_b64 s[30:31], -1, 0
.LBB225_9:                              ;   in Loop: Header=BB225_10 Depth=2
	s_and_b64 vcc, exec, s[30:31]
	s_cbranch_vccnz .LBB225_2
.LBB225_10:                             ;   Parent Loop BB225_4 Depth=1
                                        ; =>  This Inner Loop Header: Depth=2
	v_readlane_b32 s35, v39, s40
	v_readlane_b32 s41, v40, s40
	s_cmp_ge_i32 s35, s13
	s_mov_b64 s[30:31], -1
	s_cbranch_scc1 .LBB225_9
; %bb.11:                               ;   in Loop: Header=BB225_10 Depth=2
	s_mul_hi_i32 s31, s35, s28
	s_mul_i32 s30, s35, s28
	s_mul_i32 s44, s41, s29
	s_ashr_i32 s45, s44, 31
	s_lshl_b64 s[30:31], s[30:31], 1
	s_add_u32 s34, s24, s30
	s_addc_u32 s43, s25, s31
	s_lshl_b64 s[30:31], s[44:45], 1
	s_add_u32 s48, s34, s30
	s_addc_u32 s30, s43, s31
	s_and_b32 s49, s30, 0xffff
	buffer_load_dwordx4 v[16:19], v35, s[48:51], 0 offen
	buffer_load_dwordx4 v[20:23], v35, s[48:51], 16 offen
	s_waitcnt vmcnt(1)
	v_cvt_f32_u32_sdwa v25, v16 dst_sel:DWORD dst_unused:UNUSED_PAD src0_sel:WORD_1
	v_cvt_f32_u32_sdwa v24, v16 dst_sel:DWORD dst_unused:UNUSED_PAD src0_sel:WORD_0
	v_cvt_f32_u32_sdwa v27, v17 dst_sel:DWORD dst_unused:UNUSED_PAD src0_sel:WORD_1
	v_cvt_f32_u32_sdwa v26, v17 dst_sel:DWORD dst_unused:UNUSED_PAD src0_sel:WORD_0
	;; [unrolled: 2-line block ×4, first 2 shown]
	s_waitcnt vmcnt(0)
	v_cvt_f32_u32_sdwa v19, v20 dst_sel:DWORD dst_unused:UNUSED_PAD src0_sel:WORD_1
	v_cvt_f32_u32_sdwa v18, v20 dst_sel:DWORD dst_unused:UNUSED_PAD src0_sel:WORD_0
	v_pk_mul_f32 v[30:31], v[12:13], v[24:25]
	v_cvt_f32_u32_sdwa v45, v21 dst_sel:DWORD dst_unused:UNUSED_PAD src0_sel:WORD_1
	v_cvt_f32_u32_sdwa v44, v21 dst_sel:DWORD dst_unused:UNUSED_PAD src0_sel:WORD_0
	v_pk_mul_f32 v[28:29], v[14:15], v[26:27]
	v_max3_f32 v41, |v30|, s33, |v31|
	v_cvt_f32_u32_sdwa v47, v22 dst_sel:DWORD dst_unused:UNUSED_PAD src0_sel:WORD_1
	v_cvt_f32_u32_sdwa v46, v22 dst_sel:DWORD dst_unused:UNUSED_PAD src0_sel:WORD_0
	v_pk_mul_f32 v[26:27], v[8:9], v[16:17]
	v_max3_f32 v41, v41, |v28|, |v29|
	v_cvt_f32_u32_sdwa v49, v23 dst_sel:DWORD dst_unused:UNUSED_PAD src0_sel:WORD_1
	v_cvt_f32_u32_sdwa v48, v23 dst_sel:DWORD dst_unused:UNUSED_PAD src0_sel:WORD_0
	v_pk_mul_f32 v[24:25], v[10:11], v[42:43]
	v_max3_f32 v41, v41, |v26|, |v27|
	v_pk_mul_f32 v[22:23], v[4:5], v[18:19]
	v_max3_f32 v41, v41, |v24|, |v25|
	;; [unrolled: 2-line block ×5, first 2 shown]
	v_max3_f32 v41, v41, |v16|, |v17|
	s_nop 1
	v_mov_b32_dpp v42, v41 quad_perm:[1,0,3,2] row_mask:0xf bank_mask:0xf
	v_cmp_gt_f32_e32 vcc, v41, v42
	v_cndmask_b32_e32 v41, v42, v41, vcc
	s_nop 1
	v_mov_b32_dpp v42, v41 quad_perm:[2,3,0,1] row_mask:0xf bank_mask:0xf
	v_cmp_gt_f32_e32 vcc, v41, v42
	v_cndmask_b32_e32 v41, v42, v41, vcc
	s_nop 1
	v_mov_b32_dpp v42, v41 row_half_mirror row_mask:0xf bank_mask:0xf
	v_cmp_gt_f32_e32 vcc, v41, v42
	v_cndmask_b32_e32 v41, v42, v41, vcc
	s_nop 1
	v_mov_b32_dpp v42, v41 row_mirror row_mask:0xf bank_mask:0xf
	v_cmp_gt_f32_e32 vcc, v41, v42
	v_cndmask_b32_e32 v41, v42, v41, vcc
	s_nop 1
	v_mov_b32_dpp v42, v41 row_bcast:15 row_mask:0xf bank_mask:0xf
	v_cmp_gt_f32_e32 vcc, v41, v42
	v_cndmask_b32_e32 v41, v42, v41, vcc
	s_nop 1
	v_mov_b32_dpp v42, v41 row_bcast:31 row_mask:0xf bank_mask:0xf
	s_and_saveexec_b64 s[30:31], s[0:1]
	s_cbranch_execz .LBB225_13
; %bb.12:                               ;   in Loop: Header=BB225_10 Depth=2
	v_cmp_gt_f32_e32 vcc, v41, v42
	v_cndmask_b32_e32 v41, v42, v41, vcc
	ds_write_b32 v36, v41
.LBB225_13:                             ;   in Loop: Header=BB225_10 Depth=2
	s_or_b64 exec, exec, s[30:31]
	s_waitcnt lgkmcnt(0)
	s_barrier
	ds_read_b32 v41, v37
	s_mov_b64 s[30:31], -1
                                        ; implicit-def: $sgpr34
	s_waitcnt lgkmcnt(0)
	v_mov_b32_dpp v42, v41 quad_perm:[1,0,3,2] row_mask:0xf bank_mask:0xf
	v_cmp_gt_f32_e32 vcc, v41, v42
	v_cndmask_b32_e32 v41, v42, v41, vcc
	s_nop 1
	v_mov_b32_dpp v42, v41 quad_perm:[2,3,0,1] row_mask:0xf bank_mask:0xf
	v_cmp_gt_f32_e32 vcc, v41, v42
	v_cndmask_b32_e32 v41, v42, v41, vcc
	s_and_b64 vcc, exec, s[10:11]
	s_nop 0
	v_mov_b32_dpp v42, v41 row_half_mirror row_mask:0xf bank_mask:0xf
	s_cbranch_vccz .LBB225_15
; %bb.14:                               ;   in Loop: Header=BB225_10 Depth=2
	s_mul_i32 s30, s35, s17
	s_add_i32 s34, s30, s41
	s_mov_b64 s[30:31], 0
.LBB225_15:                             ;   in Loop: Header=BB225_10 Depth=2
	s_andn2_b64 vcc, exec, s[30:31]
	s_cbranch_vccnz .LBB225_17
; %bb.16:                               ;   in Loop: Header=BB225_10 Depth=2
	s_mul_i32 s30, s41, s13
	s_add_i32 s34, s30, s35
.LBB225_17:                             ;   in Loop: Header=BB225_10 Depth=2
	v_cmp_gt_f32_e32 vcc, v41, v42
	v_cndmask_b32_e32 v41, v42, v41, vcc
	v_mul_f32_e32 v41, 0x3c010204, v41
	s_and_saveexec_b64 s[30:31], s[2:3]
	s_cbranch_execz .LBB225_19
; %bb.18:                               ;   in Loop: Header=BB225_10 Depth=2
	s_ashr_i32 s35, s34, 31
	s_lshl_b64 s[44:45], s[34:35], 2
	s_add_u32 s44, s22, s44
	s_addc_u32 s45, s23, s45
	global_store_dword v38, v41, s[44:45]
.LBB225_19:                             ;   in Loop: Header=BB225_10 Depth=2
	s_or_b64 exec, exec, s[30:31]
	s_and_saveexec_b64 s[30:31], s[4:5]
	s_cbranch_execz .LBB225_8
; %bb.20:                               ;   in Loop: Header=BB225_10 Depth=2
	v_rcp_f32_e32 v42, v41
	s_mul_hi_i32 s35, s34, s16
	s_mul_i32 s34, s34, s16
	s_add_u32 s52, s20, s34
	v_mov_b32_e32 v43, v42
	;;#ASMSTART
	v_pk_mul_f32 v[30:31], v[30:31], v[42:43]
	;;#ASMEND
	;;#ASMSTART
	v_pk_mul_f32 v[28:29], v[28:29], v[42:43]
	;;#ASMEND
	v_cvt_i32_f32_e32 v30, v30
	v_cvt_i32_f32_sdwa v31, v31 dst_sel:BYTE_1 dst_unused:UNUSED_PAD src0_sel:DWORD
	v_cvt_i32_f32_e32 v28, v28
	v_cvt_i32_f32_sdwa v29, v29 dst_sel:BYTE_1 dst_unused:UNUSED_PAD src0_sel:DWORD
	;;#ASMSTART
	v_pk_mul_f32 v[26:27], v[26:27], v[42:43]
	;;#ASMEND
	;;#ASMSTART
	v_pk_mul_f32 v[24:25], v[24:25], v[42:43]
	;;#ASMEND
	v_cvt_i32_f32_e32 v26, v26
	v_cvt_i32_f32_sdwa v27, v27 dst_sel:BYTE_1 dst_unused:UNUSED_PAD src0_sel:DWORD
	v_cvt_i32_f32_e32 v24, v24
	v_cvt_i32_f32_sdwa v25, v25 dst_sel:BYTE_1 dst_unused:UNUSED_PAD src0_sel:DWORD
	;; [unrolled: 10-line block ×3, first 2 shown]
	;;#ASMSTART
	v_pk_mul_f32 v[18:19], v[18:19], v[42:43]
	;;#ASMEND
	v_cvt_i32_f32_e32 v41, v18
	v_cvt_i32_f32_sdwa v19, v19 dst_sel:BYTE_1 dst_unused:UNUSED_PAD src0_sel:DWORD
	;;#ASMSTART
	v_pk_mul_f32 v[16:17], v[16:17], v[42:43]
	;;#ASMEND
	v_cvt_i32_f32_e32 v42, v16
	v_cvt_i32_f32_sdwa v43, v17 dst_sel:BYTE_1 dst_unused:UNUSED_PAD src0_sel:DWORD
	v_or_b32_sdwa v16, v30, v31 dst_sel:DWORD dst_unused:UNUSED_PAD src0_sel:BYTE_0 src1_sel:DWORD
	v_or_b32_sdwa v17, v28, v29 dst_sel:WORD_1 dst_unused:UNUSED_PAD src0_sel:BYTE_0 src1_sel:DWORD
	v_or_b32_sdwa v16, v16, v17 dst_sel:DWORD dst_unused:UNUSED_PAD src0_sel:WORD_0 src1_sel:DWORD
	v_or_b32_sdwa v17, v26, v27 dst_sel:DWORD dst_unused:UNUSED_PAD src0_sel:BYTE_0 src1_sel:DWORD
	v_or_b32_sdwa v18, v24, v25 dst_sel:WORD_1 dst_unused:UNUSED_PAD src0_sel:BYTE_0 src1_sel:DWORD
	v_or_b32_sdwa v17, v17, v18 dst_sel:DWORD dst_unused:UNUSED_PAD src0_sel:WORD_0 src1_sel:DWORD
	v_or_b32_sdwa v18, v22, v23 dst_sel:DWORD dst_unused:UNUSED_PAD src0_sel:BYTE_0 src1_sel:DWORD
	v_or_b32_sdwa v20, v20, v21 dst_sel:WORD_1 dst_unused:UNUSED_PAD src0_sel:BYTE_0 src1_sel:DWORD
	s_addc_u32 s34, s21, s35
	v_or_b32_sdwa v18, v18, v20 dst_sel:DWORD dst_unused:UNUSED_PAD src0_sel:WORD_0 src1_sel:DWORD
	v_or_b32_sdwa v19, v41, v19 dst_sel:DWORD dst_unused:UNUSED_PAD src0_sel:BYTE_0 src1_sel:DWORD
	v_or_b32_sdwa v20, v42, v43 dst_sel:WORD_1 dst_unused:UNUSED_PAD src0_sel:BYTE_0 src1_sel:DWORD
	s_and_b32 s53, s34, 0xffff
	s_mov_b32 s55, s51
	v_or_b32_sdwa v19, v19, v20 dst_sel:DWORD dst_unused:UNUSED_PAD src0_sel:WORD_0 src1_sel:DWORD
	buffer_store_dwordx4 v[16:19], v33, s[52:55], 0 offen
	;;#ASMSTART
	s_nop 0
	;;#ASMEND
	s_branch .LBB225_8
.LBB225_21:
	s_endpgm
	.section	.rodata,"a",@progbits
	.p2align	6, 0x0
	.amdhsa_kernel _ZN5aiter43moe_smooth_per_token_scaled_quant_kernel_v2ItaLi512ELi16EEEvPT0_PfPT_S3_PiS6_S6_iiiiiiiiiibb
		.amdhsa_group_segment_fixed_size 32
		.amdhsa_private_segment_fixed_size 0
		.amdhsa_kernarg_size 100
		.amdhsa_user_sgpr_count 6
		.amdhsa_user_sgpr_private_segment_buffer 1
		.amdhsa_user_sgpr_dispatch_ptr 0
		.amdhsa_user_sgpr_queue_ptr 0
		.amdhsa_user_sgpr_kernarg_segment_ptr 1
		.amdhsa_user_sgpr_dispatch_id 0
		.amdhsa_user_sgpr_flat_scratch_init 0
		.amdhsa_user_sgpr_kernarg_preload_length 0
		.amdhsa_user_sgpr_kernarg_preload_offset 0
		.amdhsa_user_sgpr_private_segment_size 0
		.amdhsa_uses_dynamic_stack 0
		.amdhsa_system_sgpr_private_segment_wavefront_offset 0
		.amdhsa_system_sgpr_workgroup_id_x 1
		.amdhsa_system_sgpr_workgroup_id_y 0
		.amdhsa_system_sgpr_workgroup_id_z 0
		.amdhsa_system_sgpr_workgroup_info 0
		.amdhsa_system_vgpr_workitem_id 0
		.amdhsa_next_free_vgpr 50
		.amdhsa_next_free_sgpr 56
		.amdhsa_accum_offset 52
		.amdhsa_reserve_vcc 1
		.amdhsa_reserve_flat_scratch 0
		.amdhsa_float_round_mode_32 0
		.amdhsa_float_round_mode_16_64 0
		.amdhsa_float_denorm_mode_32 3
		.amdhsa_float_denorm_mode_16_64 3
		.amdhsa_dx10_clamp 1
		.amdhsa_ieee_mode 1
		.amdhsa_fp16_overflow 0
		.amdhsa_tg_split 0
		.amdhsa_exception_fp_ieee_invalid_op 0
		.amdhsa_exception_fp_denorm_src 0
		.amdhsa_exception_fp_ieee_div_zero 0
		.amdhsa_exception_fp_ieee_overflow 0
		.amdhsa_exception_fp_ieee_underflow 0
		.amdhsa_exception_fp_ieee_inexact 0
		.amdhsa_exception_int_div_zero 0
	.end_amdhsa_kernel
	.section	.text._ZN5aiter43moe_smooth_per_token_scaled_quant_kernel_v2ItaLi512ELi16EEEvPT0_PfPT_S3_PiS6_S6_iiiiiiiiiibb,"axG",@progbits,_ZN5aiter43moe_smooth_per_token_scaled_quant_kernel_v2ItaLi512ELi16EEEvPT0_PfPT_S3_PiS6_S6_iiiiiiiiiibb,comdat
.Lfunc_end225:
	.size	_ZN5aiter43moe_smooth_per_token_scaled_quant_kernel_v2ItaLi512ELi16EEEvPT0_PfPT_S3_PiS6_S6_iiiiiiiiiibb, .Lfunc_end225-_ZN5aiter43moe_smooth_per_token_scaled_quant_kernel_v2ItaLi512ELi16EEEvPT0_PfPT_S3_PiS6_S6_iiiiiiiiiibb
                                        ; -- End function
	.section	.AMDGPU.csdata,"",@progbits
; Kernel info:
; codeLenInByte = 1468
; NumSgprs: 60
; NumVgprs: 50
; NumAgprs: 0
; TotalNumVgprs: 50
; ScratchSize: 0
; MemoryBound: 0
; FloatMode: 240
; IeeeMode: 1
; LDSByteSize: 32 bytes/workgroup (compile time only)
; SGPRBlocks: 7
; VGPRBlocks: 6
; NumSGPRsForWavesPerEU: 60
; NumVGPRsForWavesPerEU: 50
; AccumOffset: 52
; Occupancy: 8
; WaveLimiterHint : 0
; COMPUTE_PGM_RSRC2:SCRATCH_EN: 0
; COMPUTE_PGM_RSRC2:USER_SGPR: 6
; COMPUTE_PGM_RSRC2:TRAP_HANDLER: 0
; COMPUTE_PGM_RSRC2:TGID_X_EN: 1
; COMPUTE_PGM_RSRC2:TGID_Y_EN: 0
; COMPUTE_PGM_RSRC2:TGID_Z_EN: 0
; COMPUTE_PGM_RSRC2:TIDIG_COMP_CNT: 0
; COMPUTE_PGM_RSRC3_GFX90A:ACCUM_OFFSET: 12
; COMPUTE_PGM_RSRC3_GFX90A:TG_SPLIT: 0
	.section	.text._ZN5aiter30fused_mx_quant_moe_sort_kernelIDF16_DB8_Li64ELi8EEEvPT0_PhPKT_PKiS9_iiiiiiiii,"axG",@progbits,_ZN5aiter30fused_mx_quant_moe_sort_kernelIDF16_DB8_Li64ELi8EEEvPT0_PhPKT_PKiS9_iiiiiiiii,comdat
	.protected	_ZN5aiter30fused_mx_quant_moe_sort_kernelIDF16_DB8_Li64ELi8EEEvPT0_PhPKT_PKiS9_iiiiiiiii ; -- Begin function _ZN5aiter30fused_mx_quant_moe_sort_kernelIDF16_DB8_Li64ELi8EEEvPT0_PhPKT_PKiS9_iiiiiiiii
	.globl	_ZN5aiter30fused_mx_quant_moe_sort_kernelIDF16_DB8_Li64ELi8EEEvPT0_PhPKT_PKiS9_iiiiiiiii
	.p2align	8
	.type	_ZN5aiter30fused_mx_quant_moe_sort_kernelIDF16_DB8_Li64ELi8EEEvPT0_PhPKT_PKiS9_iiiiiiiii,@function
_ZN5aiter30fused_mx_quant_moe_sort_kernelIDF16_DB8_Li64ELi8EEEvPT0_PhPKT_PKiS9_iiiiiiiii: ; @_ZN5aiter30fused_mx_quant_moe_sort_kernelIDF16_DB8_Li64ELi8EEEvPT0_PhPKT_PKiS9_iiiiiiiii
; %bb.0:
	s_load_dwordx8 s[8:15], s[4:5], 0x28
	s_waitcnt lgkmcnt(0)
	s_abs_i32 s0, s10
	v_cvt_f32_u32_e32 v1, s0
	s_cmp_ge_i32 s6, s13
	v_rcp_iflag_f32_e32 v1, v1
	v_mul_f32_e32 v1, 0x4f7ffffe, v1
	v_cvt_u32_f32_e32 v1, v1
	v_readfirstlane_b32 s1, v1
	s_cbranch_scc1 .LBB226_47
; %bb.1:
	s_sub_i32 s25, 0, s0
	s_mul_i32 s25, s25, s1
	s_ashr_i32 s24, s10, 31
	s_mul_hi_u32 s25, s1, s25
	s_add_i32 s1, s1, s25
	s_lshr_b32 s25, s24, 29
	s_load_dwordx8 s[16:23], s[4:5], 0x0
	s_load_dwordx2 s[2:3], s[4:5], 0x20
	s_load_dword s7, s[4:5], 0x48
	s_add_i32 s4, s9, s10
	s_add_i32 s10, s10, s25
	s_ashr_i32 s10, s10, 3
	v_cvt_f32_u32_e32 v1, s10
	s_add_i32 s4, s4, -1
	s_ashr_i32 s5, s4, 31
	s_abs_i32 s4, s4
	v_rcp_iflag_f32_e32 v1, v1
	s_mul_hi_u32 s1, s4, s1
	s_waitcnt lgkmcnt(0)
	s_load_dword s33, s[2:3], 0x0
	s_mul_i32 s3, s1, s0
	s_sub_i32 s3, s4, s3
	v_mul_f32_e32 v1, 0x4f7ffffe, v1
	s_sub_i32 s25, 0, s10
	s_xor_b32 s2, s5, s24
	s_add_i32 s4, s1, 1
	s_sub_i32 s5, s3, s0
	v_cvt_u32_f32_e32 v1, v1
	s_cmp_ge_u32 s3, s0
	s_cselect_b32 s1, s4, s1
	s_cselect_b32 s3, s5, s3
	s_add_i32 s4, s1, 1
	s_cmp_ge_u32 s3, s0
	v_mul_lo_u32 v2, s25, v1
	s_cselect_b32 s0, s4, s1
	v_mul_hi_u32 v2, v1, v2
	s_xor_b32 s0, s0, s2
	v_add_u32_e32 v1, v1, v2
	s_sub_i32 s2, s0, s2
	v_mul_hi_u32 v1, v0, v1
	s_add_i32 s0, s2, 7
	v_mul_lo_u32 v2, v1, s10
	s_ashr_i32 s1, s0, 31
	v_sub_u32_e32 v2, v0, v2
	s_lshr_b32 s1, s1, 29
	v_add_u32_e32 v3, 1, v1
	v_cmp_le_u32_e32 vcc, s10, v2
	s_add_i32 s0, s0, s1
	v_cndmask_b32_e32 v1, v1, v3, vcc
	v_subrev_u32_e32 v3, s10, v2
	s_lshl_b32 s0, s0, 5
	v_cndmask_b32_e32 v2, v2, v3, vcc
	s_and_b32 s44, s0, 0xffffff00
	v_add_u32_e32 v3, 1, v1
	v_cmp_le_u32_e32 vcc, s10, v2
	v_cndmask_b32_e32 v1, v1, v3, vcc
	v_and_b32_e32 v2, 63, v0
	s_cmp_gt_i32 s12, 0
	v_cmp_gt_i32_e64 s[0:1], s12, v2
	v_mul_lo_u32 v8, v2, s11
	s_cselect_b64 s[34:35], -1, 0
	s_cmp_eq_u32 s15, 1
	v_lshlrev_b32_e32 v2, 5, v1
	v_lshlrev_b32_e32 v3, 6, v1
	v_lshrrev_b32_e32 v4, 1, v1
	s_cselect_b64 s[36:37], -1, 0
	v_and_b32_e32 v2, 0x7f00, v2
	v_and_b32_e32 v3, 0xc0, v3
	;; [unrolled: 1-line block ×3, first 2 shown]
	s_abs_i32 s46, s11
	v_or3_b32 v11, v3, v2, v4
	v_cvt_f32_u32_e32 v2, s46
	s_add_i32 s4, s9, 3
	v_cmp_gt_i32_e32 vcc, s2, v1
	s_add_i32 s2, s9, 7
	v_rcp_iflag_f32_e32 v2, v2
	s_ashr_i32 s5, s4, 31
	s_ashr_i32 s3, s2, 31
	s_lshr_b32 s5, s5, 30
	v_mul_f32_e32 v2, 0x4f7ffffe, v2
	v_cvt_u32_f32_e32 v2, v2
	s_lshr_b32 s3, s3, 29
	s_add_i32 s4, s4, s5
	s_add_i32 s2, s2, s3
	s_and_b32 s30, s4, -4
	s_sub_i32 s4, 0, s46
	v_readfirstlane_b32 s5, v2
	s_ashr_i32 s2, s2, 3
	s_mul_i32 s4, s4, s5
	v_mul_lo_u32 v1, v1, s10
	v_lshlrev_b32_e32 v9, 3, v0
	v_lshlrev_b32_e32 v10, 4, v0
	v_cmp_gt_u32_e64 s[2:3], s2, v0
	s_mul_hi_u32 s4, s5, s4
	v_sub_u32_e32 v0, v0, v1
	s_mov_b32 s45, s9
	s_lshl_b32 s26, s9, 1
	s_add_i32 s9, s5, s4
	v_cmp_eq_u32_e64 s[4:5], 0, v0
	v_mbcnt_lo_u32_b32 v0, -1, 0
	v_mbcnt_hi_u32_b32 v0, -1, v0
	v_bfrev_b32_e32 v1, 0.5
	v_lshl_or_b32 v14, v0, 2, v1
	v_mov_b32_e32 v1, 0x7c
	s_and_b64 s[38:39], s[4:5], vcc
	s_mov_b32 s47, 0xffff
	s_mov_b32 s27, 0x20000
	;; [unrolled: 1-line block ×3, first 2 shown]
	s_movk_i32 s49, 0xff
	s_xor_b64 s[40:41], s[36:37], -1
	v_mov_b32_e32 v12, 0xc3e00000
	v_mov_b32_e32 v13, 0x43e00000
	s_mov_b32 s50, 0x5040100
	v_lshl_or_b32 v15, v0, 2, v1
	v_mov_b32_e32 v16, 4
                                        ; implicit-def: $vgpr17
	s_branch .LBB226_3
.LBB226_2:                              ;   in Loop: Header=BB226_3 Depth=1
	s_add_i32 s6, s6, s14
	s_cmp_lt_i32 s6, s13
	s_cselect_b64 s[4:5], -1, 0
	s_and_b64 s[4:5], s[42:43], s[4:5]
	s_and_b64 vcc, exec, s[4:5]
	s_cbranch_vccz .LBB226_47
.LBB226_3:                              ; =>This Loop Header: Depth=1
                                        ;     Child Loop BB226_13 Depth 2
	s_abs_i32 s4, s6
	s_mul_hi_u32 s5, s4, s9
	s_mul_i32 s5, s5, s46
	s_sub_i32 s4, s4, s5
	s_ashr_i32 s28, s6, 31
	s_sub_i32 s5, s4, s46
	s_cmp_ge_u32 s4, s46
	s_cselect_b32 s4, s5, s4
	s_sub_i32 s5, s4, s46
	s_cmp_ge_u32 s4, s46
	s_cselect_b32 s4, s5, s4
	s_xor_b32 s29, s4, s28
	s_sub_i32 s4, s29, s28
	s_sub_i32 s5, s6, s4
	s_mul_i32 s24, s5, s12
	s_add_i32 s24, s24, s4
	s_waitcnt lgkmcnt(0)
	s_cmp_lt_i32 s24, s33
	s_cselect_b64 s[42:43], -1, 0
	s_cmp_ge_i32 s24, s33
	s_cbranch_scc1 .LBB226_2
; %bb.4:                                ;   in Loop: Header=BB226_3 Depth=1
	s_and_saveexec_b64 s[4:5], s[0:1]
	s_cbranch_execz .LBB226_8
; %bb.5:                                ;   in Loop: Header=BB226_3 Depth=1
	v_add_u32_e32 v0, s24, v8
	v_cmp_gt_i32_e32 vcc, s33, v0
	s_waitcnt vmcnt(0)
	v_mov_b32_e32 v17, s8
	s_and_saveexec_b64 s[24:25], vcc
	s_cbranch_execz .LBB226_7
; %bb.6:                                ;   in Loop: Header=BB226_3 Depth=1
	v_ashrrev_i32_e32 v1, 31, v0
	v_lshlrev_b64 v[0:1], 2, v[0:1]
	v_mov_b32_e32 v2, s23
	v_add_co_u32_e32 v0, vcc, s22, v0
	v_addc_co_u32_e32 v1, vcc, v2, v1, vcc
	global_load_dword v17, v[0:1], off
.LBB226_7:                              ;   in Loop: Header=BB226_3 Depth=1
	s_or_b64 exec, exec, s[24:25]
.LBB226_8:                              ;   in Loop: Header=BB226_3 Depth=1
	s_or_b64 exec, exec, s[4:5]
	s_andn2_b64 vcc, exec, s[34:35]
	s_cbranch_vccnz .LBB226_2
; %bb.9:                                ;   in Loop: Header=BB226_3 Depth=1
	s_add_i32 s4, s6, s28
	s_sub_i32 s4, s4, s29
	s_mul_i32 s4, s12, s4
	s_add_i32 s29, s29, s4
	s_waitcnt vmcnt(0)
	v_and_b32_e32 v18, 0xffffff, v17
	v_ashrrev_i32_e32 v19, 24, v17
	s_sub_i32 s51, s29, s28
	s_mov_b32 s52, 0
	s_branch .LBB226_13
.LBB226_10:                             ;   in Loop: Header=BB226_13 Depth=2
	s_or_b64 exec, exec, s[4:5]
.LBB226_11:                             ;   in Loop: Header=BB226_13 Depth=2
	s_add_i32 s52, s52, 1
	s_add_i32 s51, s51, s11
	s_cmp_eq_u32 s12, s52
	s_cselect_b64 s[4:5], -1, 0
.LBB226_12:                             ;   in Loop: Header=BB226_13 Depth=2
	s_and_b64 vcc, exec, s[4:5]
	s_cbranch_vccnz .LBB226_2
.LBB226_13:                             ;   Parent Loop BB226_3 Depth=1
                                        ; =>  This Inner Loop Header: Depth=2
	v_readlane_b32 s24, v18, s52
	v_readlane_b32 s29, v19, s52
	s_cmp_ge_i32 s24, s8
	s_mov_b64 s[4:5], -1
	s_cbranch_scc1 .LBB226_12
; %bb.14:                               ;   in Loop: Header=BB226_13 Depth=2
	s_mul_i32 s4, s24, s15
	s_add_i32 s25, s4, s29
	s_and_b64 s[4:5], s[36:37], exec
	s_cselect_b32 s28, s24, s25
	s_mul_hi_i32 s5, s28, s7
	s_mul_i32 s4, s28, s7
	s_lshl_b64 s[4:5], s[4:5], 1
	s_add_u32 s24, s20, s4
	s_addc_u32 s4, s21, s5
	s_and_b32 s25, s4, 0xffff
	buffer_load_dwordx4 v[20:23], v10, s[24:27], 0 offen
	s_cmp_lt_i32 s10, 16
	s_waitcnt vmcnt(0)
	v_cvt_f32_f16_e32 v6, v20
	v_cvt_f32_f16_sdwa v7, v20 dst_sel:DWORD dst_unused:UNUSED_PAD src0_sel:WORD_1
	v_cvt_f32_f16_e32 v4, v21
	v_cvt_f32_f16_sdwa v5, v21 dst_sel:DWORD dst_unused:UNUSED_PAD src0_sel:WORD_1
	;; [unrolled: 2-line block ×4, first 2 shown]
	v_max3_f32 v20, |v6|, s48, |v7|
	v_max3_f32 v20, v20, |v4|, |v5|
	v_max3_f32 v20, v20, |v2|, |v3|
	;; [unrolled: 1-line block ×3, first 2 shown]
	s_cbranch_scc1 .LBB226_20
; %bb.15:                               ;   in Loop: Header=BB226_13 Depth=2
	s_cmp_lt_i32 s10, 32
	s_cbranch_scc1 .LBB226_21
; %bb.16:                               ;   in Loop: Header=BB226_13 Depth=2
	s_cmp_lt_i32 s10, 64
	s_cbranch_scc1 .LBB226_22
; %bb.17:                               ;   in Loop: Header=BB226_13 Depth=2
	s_cmp_eq_u32 s10, 64
	v_mov_b32_e32 v21, v20
	s_cbranch_scc0 .LBB226_19
; %bb.18:                               ;   in Loop: Header=BB226_13 Depth=2
	s_nop 0
	v_mov_b32_dpp v21, v20 quad_perm:[1,0,3,2] row_mask:0xf bank_mask:0xf
	v_cmp_gt_f32_e32 vcc, v20, v21
	v_cndmask_b32_e32 v21, v21, v20, vcc
	s_nop 1
	v_mov_b32_dpp v22, v21 quad_perm:[2,3,0,1] row_mask:0xf bank_mask:0xf
	v_cmp_gt_f32_e32 vcc, v21, v22
	v_cndmask_b32_e32 v21, v22, v21, vcc
	s_nop 1
	v_mov_b32_dpp v22, v21 row_ror:4 row_mask:0xf bank_mask:0xf
	v_cmp_gt_f32_e32 vcc, v21, v22
	v_cndmask_b32_e32 v21, v22, v21, vcc
	s_nop 1
	v_mov_b32_dpp v22, v21 row_ror:8 row_mask:0xf bank_mask:0xf
	v_cmp_gt_f32_e32 vcc, v21, v22
	v_cndmask_b32_e32 v21, v22, v21, vcc
	s_nop 1
	v_mov_b32_dpp v22, v21 row_bcast:15 row_mask:0xf bank_mask:0xf
	v_cmp_gt_f32_e32 vcc, v21, v22
	v_cndmask_b32_e32 v21, v22, v21, vcc
	s_nop 1
	v_mov_b32_dpp v22, v21 row_bcast:31 row_mask:0xf bank_mask:0xf
	v_cmp_gt_f32_e32 vcc, v21, v22
	v_cndmask_b32_e32 v21, v22, v21, vcc
	ds_bpermute_b32 v21, v14, v21
.LBB226_19:                             ;   in Loop: Header=BB226_13 Depth=2
	s_cbranch_execz .LBB226_23
	s_branch .LBB226_25
.LBB226_20:                             ;   in Loop: Header=BB226_13 Depth=2
                                        ; implicit-def: $vgpr21
	s_branch .LBB226_29
.LBB226_21:                             ;   in Loop: Header=BB226_13 Depth=2
                                        ; implicit-def: $vgpr21
	s_branch .LBB226_26
.LBB226_22:                             ;   in Loop: Header=BB226_13 Depth=2
                                        ; implicit-def: $vgpr21
.LBB226_23:                             ;   in Loop: Header=BB226_13 Depth=2
	s_cmp_eq_u32 s10, 32
	s_waitcnt lgkmcnt(0)
	v_mov_b32_e32 v21, v20
	s_cbranch_scc0 .LBB226_25
; %bb.24:                               ;   in Loop: Header=BB226_13 Depth=2
	s_nop 0
	v_mov_b32_dpp v21, v20 quad_perm:[1,0,3,2] row_mask:0xf bank_mask:0xf
	v_cmp_gt_f32_e32 vcc, v20, v21
	v_cndmask_b32_e32 v21, v21, v20, vcc
	s_nop 1
	v_mov_b32_dpp v22, v21 quad_perm:[2,3,0,1] row_mask:0xf bank_mask:0xf
	v_cmp_gt_f32_e32 vcc, v21, v22
	v_cndmask_b32_e32 v21, v22, v21, vcc
	s_nop 1
	v_mov_b32_dpp v22, v21 row_half_mirror row_mask:0xf bank_mask:0xf
	v_cmp_gt_f32_e32 vcc, v21, v22
	v_cndmask_b32_e32 v21, v22, v21, vcc
	s_nop 1
	v_mov_b32_dpp v22, v21 row_mirror row_mask:0xf bank_mask:0xf
	v_cmp_gt_f32_e32 vcc, v21, v22
	v_cndmask_b32_e32 v21, v22, v21, vcc
	s_nop 1
	v_mov_b32_dpp v22, v21 row_bcast:15 row_mask:0xa bank_mask:0xf
	v_cmp_gt_f32_e32 vcc, v21, v22
	v_cndmask_b32_e32 v21, v22, v21, vcc
	ds_bpermute_b32 v21, v15, v21
.LBB226_25:                             ;   in Loop: Header=BB226_13 Depth=2
	s_cbranch_execnz .LBB226_28
.LBB226_26:                             ;   in Loop: Header=BB226_13 Depth=2
	s_cmp_eq_u32 s10, 16
	s_waitcnt lgkmcnt(0)
	v_mov_b32_e32 v21, v20
	s_cbranch_scc0 .LBB226_28
; %bb.27:                               ;   in Loop: Header=BB226_13 Depth=2
	s_nop 0
	v_mov_b32_dpp v21, v20 quad_perm:[1,0,3,2] row_mask:0xf bank_mask:0xf
	v_cmp_gt_f32_e32 vcc, v20, v21
	v_cndmask_b32_e32 v21, v21, v20, vcc
	s_nop 1
	v_mov_b32_dpp v22, v21 quad_perm:[2,3,0,1] row_mask:0xf bank_mask:0xf
	v_cmp_gt_f32_e32 vcc, v21, v22
	v_cndmask_b32_e32 v21, v22, v21, vcc
	s_nop 1
	v_mov_b32_dpp v22, v21 row_half_mirror row_mask:0xf bank_mask:0xf
	v_cmp_gt_f32_e32 vcc, v21, v22
	v_cndmask_b32_e32 v21, v22, v21, vcc
	s_nop 1
	v_mov_b32_dpp v22, v21 row_mirror row_mask:0xf bank_mask:0xf
	v_cmp_gt_f32_e32 vcc, v21, v22
	v_cndmask_b32_e32 v21, v22, v21, vcc
.LBB226_28:                             ;   in Loop: Header=BB226_13 Depth=2
	s_cbranch_execnz .LBB226_42
.LBB226_29:                             ;   in Loop: Header=BB226_13 Depth=2
	s_cmp_lt_i32 s10, 4
	s_cbranch_scc1 .LBB226_33
; %bb.30:                               ;   in Loop: Header=BB226_13 Depth=2
	s_cmp_lt_i32 s10, 8
	s_cbranch_scc1 .LBB226_34
; %bb.31:                               ;   in Loop: Header=BB226_13 Depth=2
	s_cmp_eq_u32 s10, 8
	s_waitcnt lgkmcnt(0)
	v_mov_b32_e32 v21, v20
	s_cbranch_scc0 .LBB226_35
; %bb.32:                               ;   in Loop: Header=BB226_13 Depth=2
	s_nop 0
	v_mov_b32_dpp v21, v20 quad_perm:[1,0,3,2] row_mask:0xf bank_mask:0xf
	v_cmp_gt_f32_e32 vcc, v20, v21
	v_cndmask_b32_e32 v21, v21, v20, vcc
	s_nop 1
	v_mov_b32_dpp v22, v21 quad_perm:[2,3,0,1] row_mask:0xf bank_mask:0xf
	v_cmp_gt_f32_e32 vcc, v21, v22
	v_cndmask_b32_e32 v21, v22, v21, vcc
	s_nop 1
	v_mov_b32_dpp v22, v21 row_half_mirror row_mask:0xf bank_mask:0xf
	v_cmp_gt_f32_e32 vcc, v21, v22
	v_cndmask_b32_e32 v21, v22, v21, vcc
	s_cbranch_execz .LBB226_36
	s_branch .LBB226_38
.LBB226_33:                             ;   in Loop: Header=BB226_13 Depth=2
                                        ; implicit-def: $vgpr21
	s_branch .LBB226_39
.LBB226_34:                             ;   in Loop: Header=BB226_13 Depth=2
                                        ; implicit-def: $vgpr21
	s_branch .LBB226_36
.LBB226_35:                             ;   in Loop: Header=BB226_13 Depth=2
	s_cbranch_execnz .LBB226_38
.LBB226_36:                             ;   in Loop: Header=BB226_13 Depth=2
	s_cmp_eq_u32 s10, 4
	s_waitcnt lgkmcnt(0)
	v_mov_b32_e32 v21, v20
	s_cbranch_scc0 .LBB226_38
; %bb.37:                               ;   in Loop: Header=BB226_13 Depth=2
	s_nop 0
	v_mov_b32_dpp v21, v20 quad_perm:[1,0,3,2] row_mask:0xf bank_mask:0xf
	v_cmp_gt_f32_e32 vcc, v20, v21
	v_cndmask_b32_e32 v21, v21, v20, vcc
	s_nop 1
	v_mov_b32_dpp v22, v21 quad_perm:[2,3,0,1] row_mask:0xf bank_mask:0xf
	v_cmp_gt_f32_e32 vcc, v21, v22
	v_cndmask_b32_e32 v21, v22, v21, vcc
.LBB226_38:                             ;   in Loop: Header=BB226_13 Depth=2
	s_cbranch_execnz .LBB226_42
.LBB226_39:                             ;   in Loop: Header=BB226_13 Depth=2
	s_cmp_lg_u32 s10, 2
	s_cbranch_scc1 .LBB226_41
; %bb.40:                               ;   in Loop: Header=BB226_13 Depth=2
	s_waitcnt lgkmcnt(0)
	v_mov_b32_dpp v21, v20 quad_perm:[1,0,3,2] row_mask:0xf bank_mask:0xf
	v_cmp_gt_f32_e32 vcc, v20, v21
	v_cndmask_b32_e32 v20, v21, v20, vcc
.LBB226_41:                             ;   in Loop: Header=BB226_13 Depth=2
	s_waitcnt lgkmcnt(0)
	v_mov_b32_e32 v21, v20
.LBB226_42:                             ;   in Loop: Header=BB226_13 Depth=2
	s_waitcnt lgkmcnt(0)
	v_mul_f32_e32 v20, 0x3b124925, v21
	v_bfe_u32 v21, v20, 23, 8
	v_and_b32_e32 v20, 0x7fffff, v20
	v_cmp_ne_u32_e32 vcc, s49, v21
	v_cmp_ne_u32_e64 s[4:5], 0, v20
	s_and_b64 vcc, s[4:5], vcc
	v_addc_co_u32_e32 v20, vcc, 0, v21, vcc
	s_and_saveexec_b64 s[4:5], s[38:39]
	s_cbranch_execz .LBB226_44
; %bb.43:                               ;   in Loop: Header=BB226_13 Depth=2
	s_ashr_i32 s24, s51, 31
	s_lshr_b32 s25, s24, 27
	s_add_i32 s25, s51, s25
	s_ashr_i32 s31, s25, 5
	s_and_b32 s25, s25, 0xffe0
	s_sub_i32 s25, s51, s25
	s_lshr_b32 s24, s24, 28
	s_bfe_i32 s53, s25, 0x80000
	s_add_i32 s24, s51, s24
	v_lshrrev_b16_e64 v21, 11, s53
	s_and_b32 s24, s24, 0x3ffffff0
	v_and_b32_e32 v21, 15, v21
	s_sub_i32 s24, s51, s24
	v_add_u16_e32 v21, s25, v21
	s_lshl_b32 s24, s24, 2
	v_ashrrev_i16_sdwa v21, v16, sext(v21) dst_sel:DWORD dst_unused:UNUSED_PAD src0_sel:DWORD src1_sel:BYTE_0
	s_mul_i32 s31, s44, s31
	v_add_u32_sdwa v21, sext(v21), s24 dst_sel:DWORD dst_unused:UNUSED_PAD src0_sel:WORD_0 src1_sel:DWORD
	v_add_u32_e32 v21, s31, v21
	v_add_u32_e32 v21, v21, v11
	v_ashrrev_i32_e32 v23, 31, v21
	v_mov_b32_e32 v24, s19
	v_add_co_u32_e32 v22, vcc, s18, v21
	v_addc_co_u32_e32 v23, vcc, v24, v23, vcc
	global_store_byte v[22:23], v20, off
.LBB226_44:                             ;   in Loop: Header=BB226_13 Depth=2
	s_or_b64 exec, exec, s[4:5]
	s_cmp_ge_i32 s29, s15
	s_cselect_b64 s[4:5], -1, 0
	s_and_b64 s[4:5], s[40:41], s[4:5]
	s_and_b64 vcc, exec, s[4:5]
	s_cbranch_vccnz .LBB226_11
; %bb.45:                               ;   in Loop: Header=BB226_13 Depth=2
	s_and_saveexec_b64 s[4:5], s[2:3]
	s_cbranch_execz .LBB226_10
; %bb.46:                               ;   in Loop: Header=BB226_13 Depth=2
	v_lshlrev_b32_e32 v20, 23, v20
	v_rcp_f32_e32 v20, v20
	s_mul_hi_i32 s24, s28, s45
	s_mul_i32 s28, s28, s45
	s_add_u32 s28, s16, s28
	v_mov_b32_e32 v21, v20
	;;#ASMSTART
	v_pk_mul_f32 v[6:7], v[6:7], v[20:21]
	;;#ASMEND
	;;#ASMSTART
	v_med3_f32 v6, v6, v12, v13
v_med3_f32 v7, v7, v12, v13
v_cvt_pk_fp8_f32 v22, v6, v7
	;;#ASMEND
	;;#ASMSTART
	v_pk_mul_f32 v[4:5], v[4:5], v[20:21]
	;;#ASMEND
	;;#ASMSTART
	v_med3_f32 v4, v4, v12, v13
v_med3_f32 v5, v5, v12, v13
v_cvt_pk_fp8_f32 v6, v4, v5
	;;#ASMEND
	v_perm_b32 v5, v6, v22, s50
	v_and_b32_e32 v4, 0xffffff00, v6
	v_and_b32_sdwa v6, v5, s49 dst_sel:DWORD dst_unused:UNUSED_PAD src0_sel:WORD_1 src1_sel:DWORD
	v_or_b32_sdwa v4, v6, v4 dst_sel:WORD_1 dst_unused:UNUSED_PAD src0_sel:DWORD src1_sel:DWORD
	;;#ASMSTART
	v_pk_mul_f32 v[2:3], v[2:3], v[20:21]
	;;#ASMEND
	v_and_or_b32 v4, v5, s47, v4
	;;#ASMSTART
	v_med3_f32 v2, v2, v12, v13
v_med3_f32 v3, v3, v12, v13
v_cvt_pk_fp8_f32 v5, v2, v3
	;;#ASMEND
	;;#ASMSTART
	v_pk_mul_f32 v[0:1], v[0:1], v[20:21]
	;;#ASMEND
	;;#ASMSTART
	v_med3_f32 v0, v0, v12, v13
v_med3_f32 v1, v1, v12, v13
v_cvt_pk_fp8_f32 v2, v0, v1
	;;#ASMEND
	s_addc_u32 s24, s17, s24
	v_lshlrev_b32_e32 v0, 16, v2
	s_and_b32 s29, s24, 0xffff
	s_mov_b32 s31, s27
	v_and_or_b32 v5, v5, s47, v0
	buffer_store_dwordx2 v[4:5], v9, s[28:31], 0 offen
	;;#ASMSTART
	s_nop 0
	;;#ASMEND
	s_branch .LBB226_10
.LBB226_47:
	s_endpgm
	.section	.rodata,"a",@progbits
	.p2align	6, 0x0
	.amdhsa_kernel _ZN5aiter30fused_mx_quant_moe_sort_kernelIDF16_DB8_Li64ELi8EEEvPT0_PhPKT_PKiS9_iiiiiiiii
		.amdhsa_group_segment_fixed_size 0
		.amdhsa_private_segment_fixed_size 0
		.amdhsa_kernarg_size 76
		.amdhsa_user_sgpr_count 6
		.amdhsa_user_sgpr_private_segment_buffer 1
		.amdhsa_user_sgpr_dispatch_ptr 0
		.amdhsa_user_sgpr_queue_ptr 0
		.amdhsa_user_sgpr_kernarg_segment_ptr 1
		.amdhsa_user_sgpr_dispatch_id 0
		.amdhsa_user_sgpr_flat_scratch_init 0
		.amdhsa_user_sgpr_kernarg_preload_length 0
		.amdhsa_user_sgpr_kernarg_preload_offset 0
		.amdhsa_user_sgpr_private_segment_size 0
		.amdhsa_uses_dynamic_stack 0
		.amdhsa_system_sgpr_private_segment_wavefront_offset 0
		.amdhsa_system_sgpr_workgroup_id_x 1
		.amdhsa_system_sgpr_workgroup_id_y 0
		.amdhsa_system_sgpr_workgroup_id_z 0
		.amdhsa_system_sgpr_workgroup_info 0
		.amdhsa_system_vgpr_workitem_id 0
		.amdhsa_next_free_vgpr 25
		.amdhsa_next_free_sgpr 54
		.amdhsa_accum_offset 28
		.amdhsa_reserve_vcc 1
		.amdhsa_reserve_flat_scratch 0
		.amdhsa_float_round_mode_32 0
		.amdhsa_float_round_mode_16_64 0
		.amdhsa_float_denorm_mode_32 3
		.amdhsa_float_denorm_mode_16_64 3
		.amdhsa_dx10_clamp 1
		.amdhsa_ieee_mode 1
		.amdhsa_fp16_overflow 0
		.amdhsa_tg_split 0
		.amdhsa_exception_fp_ieee_invalid_op 0
		.amdhsa_exception_fp_denorm_src 0
		.amdhsa_exception_fp_ieee_div_zero 0
		.amdhsa_exception_fp_ieee_overflow 0
		.amdhsa_exception_fp_ieee_underflow 0
		.amdhsa_exception_fp_ieee_inexact 0
		.amdhsa_exception_int_div_zero 0
	.end_amdhsa_kernel
	.section	.text._ZN5aiter30fused_mx_quant_moe_sort_kernelIDF16_DB8_Li64ELi8EEEvPT0_PhPKT_PKiS9_iiiiiiiii,"axG",@progbits,_ZN5aiter30fused_mx_quant_moe_sort_kernelIDF16_DB8_Li64ELi8EEEvPT0_PhPKT_PKiS9_iiiiiiiii,comdat
.Lfunc_end226:
	.size	_ZN5aiter30fused_mx_quant_moe_sort_kernelIDF16_DB8_Li64ELi8EEEvPT0_PhPKT_PKiS9_iiiiiiiii, .Lfunc_end226-_ZN5aiter30fused_mx_quant_moe_sort_kernelIDF16_DB8_Li64ELi8EEEvPT0_PhPKT_PKiS9_iiiiiiiii
                                        ; -- End function
	.section	.AMDGPU.csdata,"",@progbits
; Kernel info:
; codeLenInByte = 2132
; NumSgprs: 58
; NumVgprs: 25
; NumAgprs: 0
; TotalNumVgprs: 25
; ScratchSize: 0
; MemoryBound: 0
; FloatMode: 240
; IeeeMode: 1
; LDSByteSize: 0 bytes/workgroup (compile time only)
; SGPRBlocks: 7
; VGPRBlocks: 3
; NumSGPRsForWavesPerEU: 58
; NumVGPRsForWavesPerEU: 25
; AccumOffset: 28
; Occupancy: 8
; WaveLimiterHint : 0
; COMPUTE_PGM_RSRC2:SCRATCH_EN: 0
; COMPUTE_PGM_RSRC2:USER_SGPR: 6
; COMPUTE_PGM_RSRC2:TRAP_HANDLER: 0
; COMPUTE_PGM_RSRC2:TGID_X_EN: 1
; COMPUTE_PGM_RSRC2:TGID_Y_EN: 0
; COMPUTE_PGM_RSRC2:TGID_Z_EN: 0
; COMPUTE_PGM_RSRC2:TIDIG_COMP_CNT: 0
; COMPUTE_PGM_RSRC3_GFX90A:ACCUM_OFFSET: 6
; COMPUTE_PGM_RSRC3_GFX90A:TG_SPLIT: 0
	.section	.text._ZN5aiter30fused_mx_quant_moe_sort_kernelItDB8_Li64ELi8EEEvPT0_PhPKT_PKiS9_iiiiiiiii,"axG",@progbits,_ZN5aiter30fused_mx_quant_moe_sort_kernelItDB8_Li64ELi8EEEvPT0_PhPKT_PKiS9_iiiiiiiii,comdat
	.protected	_ZN5aiter30fused_mx_quant_moe_sort_kernelItDB8_Li64ELi8EEEvPT0_PhPKT_PKiS9_iiiiiiiii ; -- Begin function _ZN5aiter30fused_mx_quant_moe_sort_kernelItDB8_Li64ELi8EEEvPT0_PhPKT_PKiS9_iiiiiiiii
	.globl	_ZN5aiter30fused_mx_quant_moe_sort_kernelItDB8_Li64ELi8EEEvPT0_PhPKT_PKiS9_iiiiiiiii
	.p2align	8
	.type	_ZN5aiter30fused_mx_quant_moe_sort_kernelItDB8_Li64ELi8EEEvPT0_PhPKT_PKiS9_iiiiiiiii,@function
_ZN5aiter30fused_mx_quant_moe_sort_kernelItDB8_Li64ELi8EEEvPT0_PhPKT_PKiS9_iiiiiiiii: ; @_ZN5aiter30fused_mx_quant_moe_sort_kernelItDB8_Li64ELi8EEEvPT0_PhPKT_PKiS9_iiiiiiiii
; %bb.0:
	s_load_dwordx8 s[8:15], s[4:5], 0x28
	s_waitcnt lgkmcnt(0)
	s_abs_i32 s0, s10
	v_cvt_f32_u32_e32 v1, s0
	s_cmp_ge_i32 s6, s13
	v_rcp_iflag_f32_e32 v1, v1
	v_mul_f32_e32 v1, 0x4f7ffffe, v1
	v_cvt_u32_f32_e32 v1, v1
	v_readfirstlane_b32 s1, v1
	s_cbranch_scc1 .LBB227_47
; %bb.1:
	s_sub_i32 s25, 0, s0
	s_mul_i32 s25, s25, s1
	s_ashr_i32 s24, s10, 31
	s_mul_hi_u32 s25, s1, s25
	s_add_i32 s1, s1, s25
	s_lshr_b32 s25, s24, 29
	s_load_dwordx8 s[16:23], s[4:5], 0x0
	s_load_dwordx2 s[2:3], s[4:5], 0x20
	s_load_dword s7, s[4:5], 0x48
	s_add_i32 s4, s9, s10
	s_add_i32 s10, s10, s25
	s_ashr_i32 s10, s10, 3
	v_cvt_f32_u32_e32 v1, s10
	s_add_i32 s4, s4, -1
	s_ashr_i32 s5, s4, 31
	s_abs_i32 s4, s4
	v_rcp_iflag_f32_e32 v1, v1
	s_mul_hi_u32 s1, s4, s1
	s_waitcnt lgkmcnt(0)
	s_load_dword s33, s[2:3], 0x0
	s_mul_i32 s3, s1, s0
	s_sub_i32 s3, s4, s3
	v_mul_f32_e32 v1, 0x4f7ffffe, v1
	s_sub_i32 s25, 0, s10
	s_xor_b32 s2, s5, s24
	s_add_i32 s4, s1, 1
	s_sub_i32 s5, s3, s0
	v_cvt_u32_f32_e32 v1, v1
	s_cmp_ge_u32 s3, s0
	s_cselect_b32 s1, s4, s1
	s_cselect_b32 s3, s5, s3
	s_add_i32 s4, s1, 1
	s_cmp_ge_u32 s3, s0
	v_mul_lo_u32 v2, s25, v1
	s_cselect_b32 s0, s4, s1
	v_mul_hi_u32 v2, v1, v2
	s_xor_b32 s0, s0, s2
	v_add_u32_e32 v1, v1, v2
	s_sub_i32 s2, s0, s2
	v_mul_hi_u32 v1, v0, v1
	s_add_i32 s0, s2, 7
	v_mul_lo_u32 v2, v1, s10
	s_ashr_i32 s1, s0, 31
	v_sub_u32_e32 v2, v0, v2
	s_lshr_b32 s1, s1, 29
	v_add_u32_e32 v3, 1, v1
	v_cmp_le_u32_e32 vcc, s10, v2
	s_add_i32 s0, s0, s1
	v_cndmask_b32_e32 v1, v1, v3, vcc
	v_subrev_u32_e32 v3, s10, v2
	s_lshl_b32 s0, s0, 5
	v_cndmask_b32_e32 v2, v2, v3, vcc
	s_and_b32 s44, s0, 0xffffff00
	v_add_u32_e32 v3, 1, v1
	v_cmp_le_u32_e32 vcc, s10, v2
	v_cndmask_b32_e32 v1, v1, v3, vcc
	v_and_b32_e32 v2, 63, v0
	s_cmp_gt_i32 s12, 0
	v_cmp_gt_i32_e64 s[0:1], s12, v2
	v_mul_lo_u32 v8, v2, s11
	s_cselect_b64 s[34:35], -1, 0
	s_cmp_eq_u32 s15, 1
	v_lshlrev_b32_e32 v2, 5, v1
	v_lshlrev_b32_e32 v3, 6, v1
	v_lshrrev_b32_e32 v4, 1, v1
	s_cselect_b64 s[36:37], -1, 0
	v_and_b32_e32 v2, 0x7f00, v2
	v_and_b32_e32 v3, 0xc0, v3
	;; [unrolled: 1-line block ×3, first 2 shown]
	s_abs_i32 s46, s11
	v_or3_b32 v11, v3, v2, v4
	v_cvt_f32_u32_e32 v2, s46
	s_add_i32 s4, s9, 3
	v_cmp_gt_i32_e32 vcc, s2, v1
	s_add_i32 s2, s9, 7
	v_rcp_iflag_f32_e32 v2, v2
	s_ashr_i32 s5, s4, 31
	s_ashr_i32 s3, s2, 31
	s_lshr_b32 s5, s5, 30
	v_mul_f32_e32 v2, 0x4f7ffffe, v2
	v_cvt_u32_f32_e32 v2, v2
	s_lshr_b32 s3, s3, 29
	s_add_i32 s4, s4, s5
	s_add_i32 s2, s2, s3
	s_and_b32 s30, s4, -4
	s_sub_i32 s4, 0, s46
	v_readfirstlane_b32 s5, v2
	s_ashr_i32 s2, s2, 3
	s_mul_i32 s4, s4, s5
	v_mul_lo_u32 v1, v1, s10
	v_lshlrev_b32_e32 v9, 3, v0
	v_lshlrev_b32_e32 v10, 4, v0
	v_cmp_gt_u32_e64 s[2:3], s2, v0
	s_mul_hi_u32 s4, s5, s4
	v_sub_u32_e32 v0, v0, v1
	s_mov_b32 s45, s9
	s_lshl_b32 s26, s9, 1
	s_add_i32 s9, s5, s4
	v_cmp_eq_u32_e64 s[4:5], 0, v0
	v_mbcnt_lo_u32_b32 v0, -1, 0
	v_mbcnt_hi_u32_b32 v0, -1, v0
	v_bfrev_b32_e32 v1, 0.5
	v_lshl_or_b32 v14, v0, 2, v1
	v_mov_b32_e32 v1, 0x7c
	s_and_b64 s[38:39], s[4:5], vcc
	s_mov_b32 s47, 0xffff
	s_mov_b32 s27, 0x20000
	;; [unrolled: 1-line block ×3, first 2 shown]
	s_movk_i32 s49, 0xff
	s_xor_b64 s[40:41], s[36:37], -1
	v_mov_b32_e32 v12, 0xc3e00000
	v_mov_b32_e32 v13, 0x43e00000
	s_mov_b32 s50, 0x5040100
	v_lshl_or_b32 v15, v0, 2, v1
	v_mov_b32_e32 v16, 4
                                        ; implicit-def: $vgpr17
	s_branch .LBB227_3
.LBB227_2:                              ;   in Loop: Header=BB227_3 Depth=1
	s_add_i32 s6, s6, s14
	s_cmp_lt_i32 s6, s13
	s_cselect_b64 s[4:5], -1, 0
	s_and_b64 s[4:5], s[42:43], s[4:5]
	s_and_b64 vcc, exec, s[4:5]
	s_cbranch_vccz .LBB227_47
.LBB227_3:                              ; =>This Loop Header: Depth=1
                                        ;     Child Loop BB227_13 Depth 2
	s_abs_i32 s4, s6
	s_mul_hi_u32 s5, s4, s9
	s_mul_i32 s5, s5, s46
	s_sub_i32 s4, s4, s5
	s_ashr_i32 s28, s6, 31
	s_sub_i32 s5, s4, s46
	s_cmp_ge_u32 s4, s46
	s_cselect_b32 s4, s5, s4
	s_sub_i32 s5, s4, s46
	s_cmp_ge_u32 s4, s46
	s_cselect_b32 s4, s5, s4
	s_xor_b32 s29, s4, s28
	s_sub_i32 s4, s29, s28
	s_sub_i32 s5, s6, s4
	s_mul_i32 s24, s5, s12
	s_add_i32 s24, s24, s4
	s_waitcnt lgkmcnt(0)
	s_cmp_lt_i32 s24, s33
	s_cselect_b64 s[42:43], -1, 0
	s_cmp_ge_i32 s24, s33
	s_cbranch_scc1 .LBB227_2
; %bb.4:                                ;   in Loop: Header=BB227_3 Depth=1
	s_and_saveexec_b64 s[4:5], s[0:1]
	s_cbranch_execz .LBB227_8
; %bb.5:                                ;   in Loop: Header=BB227_3 Depth=1
	v_add_u32_e32 v0, s24, v8
	v_cmp_gt_i32_e32 vcc, s33, v0
	s_waitcnt vmcnt(0)
	v_mov_b32_e32 v17, s8
	s_and_saveexec_b64 s[24:25], vcc
	s_cbranch_execz .LBB227_7
; %bb.6:                                ;   in Loop: Header=BB227_3 Depth=1
	v_ashrrev_i32_e32 v1, 31, v0
	v_lshlrev_b64 v[0:1], 2, v[0:1]
	v_mov_b32_e32 v2, s23
	v_add_co_u32_e32 v0, vcc, s22, v0
	v_addc_co_u32_e32 v1, vcc, v2, v1, vcc
	global_load_dword v17, v[0:1], off
.LBB227_7:                              ;   in Loop: Header=BB227_3 Depth=1
	s_or_b64 exec, exec, s[24:25]
.LBB227_8:                              ;   in Loop: Header=BB227_3 Depth=1
	s_or_b64 exec, exec, s[4:5]
	s_andn2_b64 vcc, exec, s[34:35]
	s_cbranch_vccnz .LBB227_2
; %bb.9:                                ;   in Loop: Header=BB227_3 Depth=1
	s_add_i32 s4, s6, s28
	s_sub_i32 s4, s4, s29
	s_mul_i32 s4, s12, s4
	s_add_i32 s29, s29, s4
	s_waitcnt vmcnt(0)
	v_and_b32_e32 v18, 0xffffff, v17
	v_ashrrev_i32_e32 v19, 24, v17
	s_sub_i32 s51, s29, s28
	s_mov_b32 s52, 0
	s_branch .LBB227_13
.LBB227_10:                             ;   in Loop: Header=BB227_13 Depth=2
	s_or_b64 exec, exec, s[4:5]
.LBB227_11:                             ;   in Loop: Header=BB227_13 Depth=2
	s_add_i32 s52, s52, 1
	s_add_i32 s51, s51, s11
	s_cmp_eq_u32 s12, s52
	s_cselect_b64 s[4:5], -1, 0
.LBB227_12:                             ;   in Loop: Header=BB227_13 Depth=2
	s_and_b64 vcc, exec, s[4:5]
	s_cbranch_vccnz .LBB227_2
.LBB227_13:                             ;   Parent Loop BB227_3 Depth=1
                                        ; =>  This Inner Loop Header: Depth=2
	v_readlane_b32 s24, v18, s52
	v_readlane_b32 s29, v19, s52
	s_cmp_ge_i32 s24, s8
	s_mov_b64 s[4:5], -1
	s_cbranch_scc1 .LBB227_12
; %bb.14:                               ;   in Loop: Header=BB227_13 Depth=2
	s_mul_i32 s4, s24, s15
	s_add_i32 s25, s4, s29
	s_and_b64 s[4:5], s[36:37], exec
	s_cselect_b32 s28, s24, s25
	s_mul_hi_i32 s5, s28, s7
	s_mul_i32 s4, s28, s7
	s_lshl_b64 s[4:5], s[4:5], 1
	s_add_u32 s24, s20, s4
	s_addc_u32 s4, s21, s5
	s_and_b32 s25, s4, 0xffff
	buffer_load_dwordx4 v[20:23], v10, s[24:27], 0 offen
	s_cmp_lt_i32 s10, 16
	s_waitcnt vmcnt(0)
	v_cvt_f32_u32_sdwa v7, v20 dst_sel:DWORD dst_unused:UNUSED_PAD src0_sel:WORD_1
	v_cvt_f32_u32_sdwa v6, v20 dst_sel:DWORD dst_unused:UNUSED_PAD src0_sel:WORD_0
	v_cvt_f32_u32_sdwa v5, v21 dst_sel:DWORD dst_unused:UNUSED_PAD src0_sel:WORD_1
	v_cvt_f32_u32_sdwa v4, v21 dst_sel:DWORD dst_unused:UNUSED_PAD src0_sel:WORD_0
	;; [unrolled: 2-line block ×4, first 2 shown]
	v_max3_f32 v20, v6, s48, v7
	v_max3_f32 v20, v20, v4, v5
	;; [unrolled: 1-line block ×4, first 2 shown]
	s_cbranch_scc1 .LBB227_20
; %bb.15:                               ;   in Loop: Header=BB227_13 Depth=2
	s_cmp_lt_i32 s10, 32
	s_cbranch_scc1 .LBB227_21
; %bb.16:                               ;   in Loop: Header=BB227_13 Depth=2
	s_cmp_lt_i32 s10, 64
	s_cbranch_scc1 .LBB227_22
; %bb.17:                               ;   in Loop: Header=BB227_13 Depth=2
	s_cmp_eq_u32 s10, 64
	v_mov_b32_e32 v21, v20
	s_cbranch_scc0 .LBB227_19
; %bb.18:                               ;   in Loop: Header=BB227_13 Depth=2
	s_nop 0
	v_mov_b32_dpp v21, v20 quad_perm:[1,0,3,2] row_mask:0xf bank_mask:0xf
	v_cmp_gt_f32_e32 vcc, v20, v21
	v_cndmask_b32_e32 v21, v21, v20, vcc
	s_nop 1
	v_mov_b32_dpp v22, v21 quad_perm:[2,3,0,1] row_mask:0xf bank_mask:0xf
	v_cmp_gt_f32_e32 vcc, v21, v22
	v_cndmask_b32_e32 v21, v22, v21, vcc
	s_nop 1
	v_mov_b32_dpp v22, v21 row_ror:4 row_mask:0xf bank_mask:0xf
	v_cmp_gt_f32_e32 vcc, v21, v22
	v_cndmask_b32_e32 v21, v22, v21, vcc
	s_nop 1
	v_mov_b32_dpp v22, v21 row_ror:8 row_mask:0xf bank_mask:0xf
	v_cmp_gt_f32_e32 vcc, v21, v22
	v_cndmask_b32_e32 v21, v22, v21, vcc
	s_nop 1
	v_mov_b32_dpp v22, v21 row_bcast:15 row_mask:0xf bank_mask:0xf
	v_cmp_gt_f32_e32 vcc, v21, v22
	v_cndmask_b32_e32 v21, v22, v21, vcc
	s_nop 1
	v_mov_b32_dpp v22, v21 row_bcast:31 row_mask:0xf bank_mask:0xf
	v_cmp_gt_f32_e32 vcc, v21, v22
	v_cndmask_b32_e32 v21, v22, v21, vcc
	ds_bpermute_b32 v21, v14, v21
.LBB227_19:                             ;   in Loop: Header=BB227_13 Depth=2
	s_cbranch_execz .LBB227_23
	s_branch .LBB227_25
.LBB227_20:                             ;   in Loop: Header=BB227_13 Depth=2
                                        ; implicit-def: $vgpr21
	s_branch .LBB227_29
.LBB227_21:                             ;   in Loop: Header=BB227_13 Depth=2
                                        ; implicit-def: $vgpr21
	s_branch .LBB227_26
.LBB227_22:                             ;   in Loop: Header=BB227_13 Depth=2
                                        ; implicit-def: $vgpr21
.LBB227_23:                             ;   in Loop: Header=BB227_13 Depth=2
	s_cmp_eq_u32 s10, 32
	s_waitcnt lgkmcnt(0)
	v_mov_b32_e32 v21, v20
	s_cbranch_scc0 .LBB227_25
; %bb.24:                               ;   in Loop: Header=BB227_13 Depth=2
	s_nop 0
	v_mov_b32_dpp v21, v20 quad_perm:[1,0,3,2] row_mask:0xf bank_mask:0xf
	v_cmp_gt_f32_e32 vcc, v20, v21
	v_cndmask_b32_e32 v21, v21, v20, vcc
	s_nop 1
	v_mov_b32_dpp v22, v21 quad_perm:[2,3,0,1] row_mask:0xf bank_mask:0xf
	v_cmp_gt_f32_e32 vcc, v21, v22
	v_cndmask_b32_e32 v21, v22, v21, vcc
	s_nop 1
	v_mov_b32_dpp v22, v21 row_half_mirror row_mask:0xf bank_mask:0xf
	v_cmp_gt_f32_e32 vcc, v21, v22
	v_cndmask_b32_e32 v21, v22, v21, vcc
	s_nop 1
	v_mov_b32_dpp v22, v21 row_mirror row_mask:0xf bank_mask:0xf
	v_cmp_gt_f32_e32 vcc, v21, v22
	v_cndmask_b32_e32 v21, v22, v21, vcc
	s_nop 1
	v_mov_b32_dpp v22, v21 row_bcast:15 row_mask:0xa bank_mask:0xf
	v_cmp_gt_f32_e32 vcc, v21, v22
	v_cndmask_b32_e32 v21, v22, v21, vcc
	ds_bpermute_b32 v21, v15, v21
.LBB227_25:                             ;   in Loop: Header=BB227_13 Depth=2
	s_cbranch_execnz .LBB227_28
.LBB227_26:                             ;   in Loop: Header=BB227_13 Depth=2
	s_cmp_eq_u32 s10, 16
	s_waitcnt lgkmcnt(0)
	v_mov_b32_e32 v21, v20
	s_cbranch_scc0 .LBB227_28
; %bb.27:                               ;   in Loop: Header=BB227_13 Depth=2
	s_nop 0
	v_mov_b32_dpp v21, v20 quad_perm:[1,0,3,2] row_mask:0xf bank_mask:0xf
	v_cmp_gt_f32_e32 vcc, v20, v21
	v_cndmask_b32_e32 v21, v21, v20, vcc
	s_nop 1
	v_mov_b32_dpp v22, v21 quad_perm:[2,3,0,1] row_mask:0xf bank_mask:0xf
	v_cmp_gt_f32_e32 vcc, v21, v22
	v_cndmask_b32_e32 v21, v22, v21, vcc
	s_nop 1
	v_mov_b32_dpp v22, v21 row_half_mirror row_mask:0xf bank_mask:0xf
	v_cmp_gt_f32_e32 vcc, v21, v22
	v_cndmask_b32_e32 v21, v22, v21, vcc
	s_nop 1
	v_mov_b32_dpp v22, v21 row_mirror row_mask:0xf bank_mask:0xf
	v_cmp_gt_f32_e32 vcc, v21, v22
	v_cndmask_b32_e32 v21, v22, v21, vcc
.LBB227_28:                             ;   in Loop: Header=BB227_13 Depth=2
	s_cbranch_execnz .LBB227_42
.LBB227_29:                             ;   in Loop: Header=BB227_13 Depth=2
	s_cmp_lt_i32 s10, 4
	s_cbranch_scc1 .LBB227_33
; %bb.30:                               ;   in Loop: Header=BB227_13 Depth=2
	s_cmp_lt_i32 s10, 8
	s_cbranch_scc1 .LBB227_34
; %bb.31:                               ;   in Loop: Header=BB227_13 Depth=2
	s_cmp_eq_u32 s10, 8
	s_waitcnt lgkmcnt(0)
	v_mov_b32_e32 v21, v20
	s_cbranch_scc0 .LBB227_35
; %bb.32:                               ;   in Loop: Header=BB227_13 Depth=2
	s_nop 0
	v_mov_b32_dpp v21, v20 quad_perm:[1,0,3,2] row_mask:0xf bank_mask:0xf
	v_cmp_gt_f32_e32 vcc, v20, v21
	v_cndmask_b32_e32 v21, v21, v20, vcc
	s_nop 1
	v_mov_b32_dpp v22, v21 quad_perm:[2,3,0,1] row_mask:0xf bank_mask:0xf
	v_cmp_gt_f32_e32 vcc, v21, v22
	v_cndmask_b32_e32 v21, v22, v21, vcc
	s_nop 1
	v_mov_b32_dpp v22, v21 row_half_mirror row_mask:0xf bank_mask:0xf
	v_cmp_gt_f32_e32 vcc, v21, v22
	v_cndmask_b32_e32 v21, v22, v21, vcc
	s_cbranch_execz .LBB227_36
	s_branch .LBB227_38
.LBB227_33:                             ;   in Loop: Header=BB227_13 Depth=2
                                        ; implicit-def: $vgpr21
	s_branch .LBB227_39
.LBB227_34:                             ;   in Loop: Header=BB227_13 Depth=2
                                        ; implicit-def: $vgpr21
	s_branch .LBB227_36
.LBB227_35:                             ;   in Loop: Header=BB227_13 Depth=2
	s_cbranch_execnz .LBB227_38
.LBB227_36:                             ;   in Loop: Header=BB227_13 Depth=2
	s_cmp_eq_u32 s10, 4
	s_waitcnt lgkmcnt(0)
	v_mov_b32_e32 v21, v20
	s_cbranch_scc0 .LBB227_38
; %bb.37:                               ;   in Loop: Header=BB227_13 Depth=2
	s_nop 0
	v_mov_b32_dpp v21, v20 quad_perm:[1,0,3,2] row_mask:0xf bank_mask:0xf
	v_cmp_gt_f32_e32 vcc, v20, v21
	v_cndmask_b32_e32 v21, v21, v20, vcc
	s_nop 1
	v_mov_b32_dpp v22, v21 quad_perm:[2,3,0,1] row_mask:0xf bank_mask:0xf
	v_cmp_gt_f32_e32 vcc, v21, v22
	v_cndmask_b32_e32 v21, v22, v21, vcc
.LBB227_38:                             ;   in Loop: Header=BB227_13 Depth=2
	s_cbranch_execnz .LBB227_42
.LBB227_39:                             ;   in Loop: Header=BB227_13 Depth=2
	s_cmp_lg_u32 s10, 2
	s_cbranch_scc1 .LBB227_41
; %bb.40:                               ;   in Loop: Header=BB227_13 Depth=2
	s_waitcnt lgkmcnt(0)
	v_mov_b32_dpp v21, v20 quad_perm:[1,0,3,2] row_mask:0xf bank_mask:0xf
	v_cmp_gt_f32_e32 vcc, v20, v21
	v_cndmask_b32_e32 v20, v21, v20, vcc
.LBB227_41:                             ;   in Loop: Header=BB227_13 Depth=2
	s_waitcnt lgkmcnt(0)
	v_mov_b32_e32 v21, v20
.LBB227_42:                             ;   in Loop: Header=BB227_13 Depth=2
	s_waitcnt lgkmcnt(0)
	v_mul_f32_e32 v20, 0x3b124925, v21
	v_bfe_u32 v21, v20, 23, 8
	v_and_b32_e32 v20, 0x7fffff, v20
	v_cmp_ne_u32_e32 vcc, s49, v21
	v_cmp_ne_u32_e64 s[4:5], 0, v20
	s_and_b64 vcc, s[4:5], vcc
	v_addc_co_u32_e32 v20, vcc, 0, v21, vcc
	s_and_saveexec_b64 s[4:5], s[38:39]
	s_cbranch_execz .LBB227_44
; %bb.43:                               ;   in Loop: Header=BB227_13 Depth=2
	s_ashr_i32 s24, s51, 31
	s_lshr_b32 s25, s24, 27
	s_add_i32 s25, s51, s25
	s_ashr_i32 s31, s25, 5
	s_and_b32 s25, s25, 0xffe0
	s_sub_i32 s25, s51, s25
	s_lshr_b32 s24, s24, 28
	s_bfe_i32 s53, s25, 0x80000
	s_add_i32 s24, s51, s24
	v_lshrrev_b16_e64 v21, 11, s53
	s_and_b32 s24, s24, 0x3ffffff0
	v_and_b32_e32 v21, 15, v21
	s_sub_i32 s24, s51, s24
	v_add_u16_e32 v21, s25, v21
	s_lshl_b32 s24, s24, 2
	v_ashrrev_i16_sdwa v21, v16, sext(v21) dst_sel:DWORD dst_unused:UNUSED_PAD src0_sel:DWORD src1_sel:BYTE_0
	s_mul_i32 s31, s44, s31
	v_add_u32_sdwa v21, sext(v21), s24 dst_sel:DWORD dst_unused:UNUSED_PAD src0_sel:WORD_0 src1_sel:DWORD
	v_add_u32_e32 v21, s31, v21
	v_add_u32_e32 v21, v21, v11
	v_ashrrev_i32_e32 v23, 31, v21
	v_mov_b32_e32 v24, s19
	v_add_co_u32_e32 v22, vcc, s18, v21
	v_addc_co_u32_e32 v23, vcc, v24, v23, vcc
	global_store_byte v[22:23], v20, off
.LBB227_44:                             ;   in Loop: Header=BB227_13 Depth=2
	s_or_b64 exec, exec, s[4:5]
	s_cmp_ge_i32 s29, s15
	s_cselect_b64 s[4:5], -1, 0
	s_and_b64 s[4:5], s[40:41], s[4:5]
	s_and_b64 vcc, exec, s[4:5]
	s_cbranch_vccnz .LBB227_11
; %bb.45:                               ;   in Loop: Header=BB227_13 Depth=2
	s_and_saveexec_b64 s[4:5], s[2:3]
	s_cbranch_execz .LBB227_10
; %bb.46:                               ;   in Loop: Header=BB227_13 Depth=2
	v_lshlrev_b32_e32 v20, 23, v20
	v_rcp_f32_e32 v20, v20
	s_mul_hi_i32 s24, s28, s45
	s_mul_i32 s28, s28, s45
	s_add_u32 s28, s16, s28
	v_mov_b32_e32 v21, v20
	;;#ASMSTART
	v_pk_mul_f32 v[6:7], v[6:7], v[20:21]
	;;#ASMEND
	;;#ASMSTART
	v_med3_f32 v6, v6, v12, v13
v_med3_f32 v7, v7, v12, v13
v_cvt_pk_fp8_f32 v22, v6, v7
	;;#ASMEND
	;;#ASMSTART
	v_pk_mul_f32 v[4:5], v[4:5], v[20:21]
	;;#ASMEND
	;;#ASMSTART
	v_med3_f32 v4, v4, v12, v13
v_med3_f32 v5, v5, v12, v13
v_cvt_pk_fp8_f32 v6, v4, v5
	;;#ASMEND
	v_perm_b32 v5, v6, v22, s50
	v_and_b32_e32 v4, 0xffffff00, v6
	v_and_b32_sdwa v6, v5, s49 dst_sel:DWORD dst_unused:UNUSED_PAD src0_sel:WORD_1 src1_sel:DWORD
	v_or_b32_sdwa v4, v6, v4 dst_sel:WORD_1 dst_unused:UNUSED_PAD src0_sel:DWORD src1_sel:DWORD
	;;#ASMSTART
	v_pk_mul_f32 v[2:3], v[2:3], v[20:21]
	;;#ASMEND
	v_and_or_b32 v4, v5, s47, v4
	;;#ASMSTART
	v_med3_f32 v2, v2, v12, v13
v_med3_f32 v3, v3, v12, v13
v_cvt_pk_fp8_f32 v5, v2, v3
	;;#ASMEND
	;;#ASMSTART
	v_pk_mul_f32 v[0:1], v[0:1], v[20:21]
	;;#ASMEND
	;;#ASMSTART
	v_med3_f32 v0, v0, v12, v13
v_med3_f32 v1, v1, v12, v13
v_cvt_pk_fp8_f32 v2, v0, v1
	;;#ASMEND
	s_addc_u32 s24, s17, s24
	v_lshlrev_b32_e32 v0, 16, v2
	s_and_b32 s29, s24, 0xffff
	s_mov_b32 s31, s27
	v_and_or_b32 v5, v5, s47, v0
	buffer_store_dwordx2 v[4:5], v9, s[28:31], 0 offen
	;;#ASMSTART
	s_nop 0
	;;#ASMEND
	s_branch .LBB227_10
.LBB227_47:
	s_endpgm
	.section	.rodata,"a",@progbits
	.p2align	6, 0x0
	.amdhsa_kernel _ZN5aiter30fused_mx_quant_moe_sort_kernelItDB8_Li64ELi8EEEvPT0_PhPKT_PKiS9_iiiiiiiii
		.amdhsa_group_segment_fixed_size 0
		.amdhsa_private_segment_fixed_size 0
		.amdhsa_kernarg_size 76
		.amdhsa_user_sgpr_count 6
		.amdhsa_user_sgpr_private_segment_buffer 1
		.amdhsa_user_sgpr_dispatch_ptr 0
		.amdhsa_user_sgpr_queue_ptr 0
		.amdhsa_user_sgpr_kernarg_segment_ptr 1
		.amdhsa_user_sgpr_dispatch_id 0
		.amdhsa_user_sgpr_flat_scratch_init 0
		.amdhsa_user_sgpr_kernarg_preload_length 0
		.amdhsa_user_sgpr_kernarg_preload_offset 0
		.amdhsa_user_sgpr_private_segment_size 0
		.amdhsa_uses_dynamic_stack 0
		.amdhsa_system_sgpr_private_segment_wavefront_offset 0
		.amdhsa_system_sgpr_workgroup_id_x 1
		.amdhsa_system_sgpr_workgroup_id_y 0
		.amdhsa_system_sgpr_workgroup_id_z 0
		.amdhsa_system_sgpr_workgroup_info 0
		.amdhsa_system_vgpr_workitem_id 0
		.amdhsa_next_free_vgpr 25
		.amdhsa_next_free_sgpr 54
		.amdhsa_accum_offset 28
		.amdhsa_reserve_vcc 1
		.amdhsa_reserve_flat_scratch 0
		.amdhsa_float_round_mode_32 0
		.amdhsa_float_round_mode_16_64 0
		.amdhsa_float_denorm_mode_32 3
		.amdhsa_float_denorm_mode_16_64 3
		.amdhsa_dx10_clamp 1
		.amdhsa_ieee_mode 1
		.amdhsa_fp16_overflow 0
		.amdhsa_tg_split 0
		.amdhsa_exception_fp_ieee_invalid_op 0
		.amdhsa_exception_fp_denorm_src 0
		.amdhsa_exception_fp_ieee_div_zero 0
		.amdhsa_exception_fp_ieee_overflow 0
		.amdhsa_exception_fp_ieee_underflow 0
		.amdhsa_exception_fp_ieee_inexact 0
		.amdhsa_exception_int_div_zero 0
	.end_amdhsa_kernel
	.section	.text._ZN5aiter30fused_mx_quant_moe_sort_kernelItDB8_Li64ELi8EEEvPT0_PhPKT_PKiS9_iiiiiiiii,"axG",@progbits,_ZN5aiter30fused_mx_quant_moe_sort_kernelItDB8_Li64ELi8EEEvPT0_PhPKT_PKiS9_iiiiiiiii,comdat
.Lfunc_end227:
	.size	_ZN5aiter30fused_mx_quant_moe_sort_kernelItDB8_Li64ELi8EEEvPT0_PhPKT_PKiS9_iiiiiiiii, .Lfunc_end227-_ZN5aiter30fused_mx_quant_moe_sort_kernelItDB8_Li64ELi8EEEvPT0_PhPKT_PKiS9_iiiiiiiii
                                        ; -- End function
	.section	.AMDGPU.csdata,"",@progbits
; Kernel info:
; codeLenInByte = 2148
; NumSgprs: 58
; NumVgprs: 25
; NumAgprs: 0
; TotalNumVgprs: 25
; ScratchSize: 0
; MemoryBound: 0
; FloatMode: 240
; IeeeMode: 1
; LDSByteSize: 0 bytes/workgroup (compile time only)
; SGPRBlocks: 7
; VGPRBlocks: 3
; NumSGPRsForWavesPerEU: 58
; NumVGPRsForWavesPerEU: 25
; AccumOffset: 28
; Occupancy: 8
; WaveLimiterHint : 0
; COMPUTE_PGM_RSRC2:SCRATCH_EN: 0
; COMPUTE_PGM_RSRC2:USER_SGPR: 6
; COMPUTE_PGM_RSRC2:TRAP_HANDLER: 0
; COMPUTE_PGM_RSRC2:TGID_X_EN: 1
; COMPUTE_PGM_RSRC2:TGID_Y_EN: 0
; COMPUTE_PGM_RSRC2:TGID_Z_EN: 0
; COMPUTE_PGM_RSRC2:TIDIG_COMP_CNT: 0
; COMPUTE_PGM_RSRC3_GFX90A:ACCUM_OFFSET: 6
; COMPUTE_PGM_RSRC3_GFX90A:TG_SPLIT: 0
	.section	.text._ZN5aiter30fused_mx_quant_moe_sort_kernelIDF16_DB8_Li128ELi8EEEvPT0_PhPKT_PKiS9_iiiiiiiii,"axG",@progbits,_ZN5aiter30fused_mx_quant_moe_sort_kernelIDF16_DB8_Li128ELi8EEEvPT0_PhPKT_PKiS9_iiiiiiiii,comdat
	.protected	_ZN5aiter30fused_mx_quant_moe_sort_kernelIDF16_DB8_Li128ELi8EEEvPT0_PhPKT_PKiS9_iiiiiiiii ; -- Begin function _ZN5aiter30fused_mx_quant_moe_sort_kernelIDF16_DB8_Li128ELi8EEEvPT0_PhPKT_PKiS9_iiiiiiiii
	.globl	_ZN5aiter30fused_mx_quant_moe_sort_kernelIDF16_DB8_Li128ELi8EEEvPT0_PhPKT_PKiS9_iiiiiiiii
	.p2align	8
	.type	_ZN5aiter30fused_mx_quant_moe_sort_kernelIDF16_DB8_Li128ELi8EEEvPT0_PhPKT_PKiS9_iiiiiiiii,@function
_ZN5aiter30fused_mx_quant_moe_sort_kernelIDF16_DB8_Li128ELi8EEEvPT0_PhPKT_PKiS9_iiiiiiiii: ; @_ZN5aiter30fused_mx_quant_moe_sort_kernelIDF16_DB8_Li128ELi8EEEvPT0_PhPKT_PKiS9_iiiiiiiii
; %bb.0:
	s_load_dwordx8 s[8:15], s[4:5], 0x28
	s_waitcnt lgkmcnt(0)
	s_abs_i32 s0, s10
	v_cvt_f32_u32_e32 v1, s0
	s_cmp_ge_i32 s6, s13
	v_rcp_iflag_f32_e32 v1, v1
	v_mul_f32_e32 v1, 0x4f7ffffe, v1
	v_cvt_u32_f32_e32 v1, v1
	v_readfirstlane_b32 s1, v1
	s_cbranch_scc1 .LBB228_47
; %bb.1:
	s_sub_i32 s25, 0, s0
	s_mul_i32 s25, s25, s1
	s_ashr_i32 s24, s10, 31
	s_mul_hi_u32 s25, s1, s25
	s_add_i32 s1, s1, s25
	s_lshr_b32 s25, s24, 29
	s_load_dwordx8 s[16:23], s[4:5], 0x0
	s_load_dwordx2 s[2:3], s[4:5], 0x20
	s_load_dword s7, s[4:5], 0x48
	s_add_i32 s4, s9, s10
	s_add_i32 s10, s10, s25
	s_ashr_i32 s10, s10, 3
	v_cvt_f32_u32_e32 v1, s10
	s_add_i32 s4, s4, -1
	s_ashr_i32 s5, s4, 31
	s_abs_i32 s4, s4
	v_rcp_iflag_f32_e32 v1, v1
	s_mul_hi_u32 s1, s4, s1
	s_waitcnt lgkmcnt(0)
	s_load_dword s33, s[2:3], 0x0
	s_mul_i32 s3, s1, s0
	s_sub_i32 s3, s4, s3
	v_mul_f32_e32 v1, 0x4f7ffffe, v1
	s_sub_i32 s25, 0, s10
	s_xor_b32 s2, s5, s24
	s_add_i32 s4, s1, 1
	s_sub_i32 s5, s3, s0
	v_cvt_u32_f32_e32 v1, v1
	s_cmp_ge_u32 s3, s0
	s_cselect_b32 s1, s4, s1
	s_cselect_b32 s3, s5, s3
	s_add_i32 s4, s1, 1
	s_cmp_ge_u32 s3, s0
	v_mul_lo_u32 v2, s25, v1
	s_cselect_b32 s0, s4, s1
	v_mul_hi_u32 v2, v1, v2
	s_xor_b32 s0, s0, s2
	v_add_u32_e32 v1, v1, v2
	s_sub_i32 s2, s0, s2
	v_mul_hi_u32 v1, v0, v1
	s_add_i32 s0, s2, 7
	v_mul_lo_u32 v2, v1, s10
	s_ashr_i32 s1, s0, 31
	v_sub_u32_e32 v2, v0, v2
	s_lshr_b32 s1, s1, 29
	v_add_u32_e32 v3, 1, v1
	v_cmp_le_u32_e32 vcc, s10, v2
	s_add_i32 s0, s0, s1
	v_cndmask_b32_e32 v1, v1, v3, vcc
	v_subrev_u32_e32 v3, s10, v2
	s_lshl_b32 s0, s0, 5
	v_cndmask_b32_e32 v2, v2, v3, vcc
	s_and_b32 s44, s0, 0xffffff00
	v_add_u32_e32 v3, 1, v1
	v_cmp_le_u32_e32 vcc, s10, v2
	v_cndmask_b32_e32 v1, v1, v3, vcc
	v_and_b32_e32 v2, 63, v0
	s_cmp_gt_i32 s12, 0
	v_cmp_gt_i32_e64 s[0:1], s12, v2
	v_mul_lo_u32 v8, v2, s11
	s_cselect_b64 s[34:35], -1, 0
	s_cmp_eq_u32 s15, 1
	v_lshlrev_b32_e32 v2, 5, v1
	v_lshlrev_b32_e32 v3, 6, v1
	v_lshrrev_b32_e32 v4, 1, v1
	s_cselect_b64 s[36:37], -1, 0
	v_and_b32_e32 v2, 0x7f00, v2
	v_and_b32_e32 v3, 0xc0, v3
	;; [unrolled: 1-line block ×3, first 2 shown]
	s_abs_i32 s46, s11
	v_or3_b32 v11, v3, v2, v4
	v_cvt_f32_u32_e32 v2, s46
	s_add_i32 s4, s9, 3
	v_cmp_gt_i32_e32 vcc, s2, v1
	s_add_i32 s2, s9, 7
	v_rcp_iflag_f32_e32 v2, v2
	s_ashr_i32 s5, s4, 31
	s_ashr_i32 s3, s2, 31
	s_lshr_b32 s5, s5, 30
	v_mul_f32_e32 v2, 0x4f7ffffe, v2
	v_cvt_u32_f32_e32 v2, v2
	s_lshr_b32 s3, s3, 29
	s_add_i32 s4, s4, s5
	s_add_i32 s2, s2, s3
	s_and_b32 s30, s4, -4
	s_sub_i32 s4, 0, s46
	v_readfirstlane_b32 s5, v2
	s_ashr_i32 s2, s2, 3
	s_mul_i32 s4, s4, s5
	v_mul_lo_u32 v1, v1, s10
	v_lshlrev_b32_e32 v9, 3, v0
	v_lshlrev_b32_e32 v10, 4, v0
	v_cmp_gt_u32_e64 s[2:3], s2, v0
	s_mul_hi_u32 s4, s5, s4
	v_sub_u32_e32 v0, v0, v1
	s_mov_b32 s45, s9
	s_lshl_b32 s26, s9, 1
	s_add_i32 s9, s5, s4
	v_cmp_eq_u32_e64 s[4:5], 0, v0
	v_mbcnt_lo_u32_b32 v0, -1, 0
	v_mbcnt_hi_u32_b32 v0, -1, v0
	v_bfrev_b32_e32 v1, 0.5
	v_lshl_or_b32 v14, v0, 2, v1
	v_mov_b32_e32 v1, 0x7c
	s_and_b64 s[38:39], s[4:5], vcc
	s_mov_b32 s47, 0xffff
	s_mov_b32 s27, 0x20000
	;; [unrolled: 1-line block ×3, first 2 shown]
	s_movk_i32 s49, 0xff
	s_xor_b64 s[40:41], s[36:37], -1
	v_mov_b32_e32 v12, 0xc3e00000
	v_mov_b32_e32 v13, 0x43e00000
	s_mov_b32 s50, 0x5040100
	v_lshl_or_b32 v15, v0, 2, v1
	v_mov_b32_e32 v16, 4
                                        ; implicit-def: $vgpr17
	s_branch .LBB228_3
.LBB228_2:                              ;   in Loop: Header=BB228_3 Depth=1
	s_add_i32 s6, s6, s14
	s_cmp_lt_i32 s6, s13
	s_cselect_b64 s[4:5], -1, 0
	s_and_b64 s[4:5], s[42:43], s[4:5]
	s_and_b64 vcc, exec, s[4:5]
	s_cbranch_vccz .LBB228_47
.LBB228_3:                              ; =>This Loop Header: Depth=1
                                        ;     Child Loop BB228_13 Depth 2
	s_abs_i32 s4, s6
	s_mul_hi_u32 s5, s4, s9
	s_mul_i32 s5, s5, s46
	s_sub_i32 s4, s4, s5
	s_ashr_i32 s28, s6, 31
	s_sub_i32 s5, s4, s46
	s_cmp_ge_u32 s4, s46
	s_cselect_b32 s4, s5, s4
	s_sub_i32 s5, s4, s46
	s_cmp_ge_u32 s4, s46
	s_cselect_b32 s4, s5, s4
	s_xor_b32 s29, s4, s28
	s_sub_i32 s4, s29, s28
	s_sub_i32 s5, s6, s4
	s_mul_i32 s24, s5, s12
	s_add_i32 s24, s24, s4
	s_waitcnt lgkmcnt(0)
	s_cmp_lt_i32 s24, s33
	s_cselect_b64 s[42:43], -1, 0
	s_cmp_ge_i32 s24, s33
	s_cbranch_scc1 .LBB228_2
; %bb.4:                                ;   in Loop: Header=BB228_3 Depth=1
	s_and_saveexec_b64 s[4:5], s[0:1]
	s_cbranch_execz .LBB228_8
; %bb.5:                                ;   in Loop: Header=BB228_3 Depth=1
	v_add_u32_e32 v0, s24, v8
	v_cmp_gt_i32_e32 vcc, s33, v0
	s_waitcnt vmcnt(0)
	v_mov_b32_e32 v17, s8
	s_and_saveexec_b64 s[24:25], vcc
	s_cbranch_execz .LBB228_7
; %bb.6:                                ;   in Loop: Header=BB228_3 Depth=1
	v_ashrrev_i32_e32 v1, 31, v0
	v_lshlrev_b64 v[0:1], 2, v[0:1]
	v_mov_b32_e32 v2, s23
	v_add_co_u32_e32 v0, vcc, s22, v0
	v_addc_co_u32_e32 v1, vcc, v2, v1, vcc
	global_load_dword v17, v[0:1], off
.LBB228_7:                              ;   in Loop: Header=BB228_3 Depth=1
	s_or_b64 exec, exec, s[24:25]
.LBB228_8:                              ;   in Loop: Header=BB228_3 Depth=1
	s_or_b64 exec, exec, s[4:5]
	s_andn2_b64 vcc, exec, s[34:35]
	s_cbranch_vccnz .LBB228_2
; %bb.9:                                ;   in Loop: Header=BB228_3 Depth=1
	s_add_i32 s4, s6, s28
	s_sub_i32 s4, s4, s29
	s_mul_i32 s4, s12, s4
	s_add_i32 s29, s29, s4
	s_waitcnt vmcnt(0)
	v_and_b32_e32 v18, 0xffffff, v17
	v_ashrrev_i32_e32 v19, 24, v17
	s_sub_i32 s51, s29, s28
	s_mov_b32 s52, 0
	s_branch .LBB228_13
.LBB228_10:                             ;   in Loop: Header=BB228_13 Depth=2
	s_or_b64 exec, exec, s[4:5]
.LBB228_11:                             ;   in Loop: Header=BB228_13 Depth=2
	s_add_i32 s52, s52, 1
	s_add_i32 s51, s51, s11
	s_cmp_eq_u32 s12, s52
	s_cselect_b64 s[4:5], -1, 0
.LBB228_12:                             ;   in Loop: Header=BB228_13 Depth=2
	s_and_b64 vcc, exec, s[4:5]
	s_cbranch_vccnz .LBB228_2
.LBB228_13:                             ;   Parent Loop BB228_3 Depth=1
                                        ; =>  This Inner Loop Header: Depth=2
	v_readlane_b32 s24, v18, s52
	v_readlane_b32 s29, v19, s52
	s_cmp_ge_i32 s24, s8
	s_mov_b64 s[4:5], -1
	s_cbranch_scc1 .LBB228_12
; %bb.14:                               ;   in Loop: Header=BB228_13 Depth=2
	s_mul_i32 s4, s24, s15
	s_add_i32 s25, s4, s29
	s_and_b64 s[4:5], s[36:37], exec
	s_cselect_b32 s28, s24, s25
	s_mul_hi_i32 s5, s28, s7
	s_mul_i32 s4, s28, s7
	s_lshl_b64 s[4:5], s[4:5], 1
	s_add_u32 s24, s20, s4
	s_addc_u32 s4, s21, s5
	s_and_b32 s25, s4, 0xffff
	buffer_load_dwordx4 v[20:23], v10, s[24:27], 0 offen
	s_cmp_lt_i32 s10, 16
	s_waitcnt vmcnt(0)
	v_cvt_f32_f16_e32 v6, v20
	v_cvt_f32_f16_sdwa v7, v20 dst_sel:DWORD dst_unused:UNUSED_PAD src0_sel:WORD_1
	v_cvt_f32_f16_e32 v4, v21
	v_cvt_f32_f16_sdwa v5, v21 dst_sel:DWORD dst_unused:UNUSED_PAD src0_sel:WORD_1
	v_cvt_f32_f16_e32 v2, v22
	v_cvt_f32_f16_sdwa v3, v22 dst_sel:DWORD dst_unused:UNUSED_PAD src0_sel:WORD_1
	v_cvt_f32_f16_e32 v0, v23
	v_cvt_f32_f16_sdwa v1, v23 dst_sel:DWORD dst_unused:UNUSED_PAD src0_sel:WORD_1
	v_max3_f32 v20, |v6|, s48, |v7|
	v_max3_f32 v20, v20, |v4|, |v5|
	v_max3_f32 v20, v20, |v2|, |v3|
	;; [unrolled: 1-line block ×3, first 2 shown]
	s_cbranch_scc1 .LBB228_20
; %bb.15:                               ;   in Loop: Header=BB228_13 Depth=2
	s_cmp_lt_i32 s10, 32
	s_cbranch_scc1 .LBB228_21
; %bb.16:                               ;   in Loop: Header=BB228_13 Depth=2
	s_cmp_lt_i32 s10, 64
	s_cbranch_scc1 .LBB228_22
; %bb.17:                               ;   in Loop: Header=BB228_13 Depth=2
	s_cmp_eq_u32 s10, 64
	v_mov_b32_e32 v21, v20
	s_cbranch_scc0 .LBB228_19
; %bb.18:                               ;   in Loop: Header=BB228_13 Depth=2
	s_nop 0
	v_mov_b32_dpp v21, v20 quad_perm:[1,0,3,2] row_mask:0xf bank_mask:0xf
	v_cmp_gt_f32_e32 vcc, v20, v21
	v_cndmask_b32_e32 v21, v21, v20, vcc
	s_nop 1
	v_mov_b32_dpp v22, v21 quad_perm:[2,3,0,1] row_mask:0xf bank_mask:0xf
	v_cmp_gt_f32_e32 vcc, v21, v22
	v_cndmask_b32_e32 v21, v22, v21, vcc
	s_nop 1
	v_mov_b32_dpp v22, v21 row_ror:4 row_mask:0xf bank_mask:0xf
	v_cmp_gt_f32_e32 vcc, v21, v22
	v_cndmask_b32_e32 v21, v22, v21, vcc
	s_nop 1
	v_mov_b32_dpp v22, v21 row_ror:8 row_mask:0xf bank_mask:0xf
	v_cmp_gt_f32_e32 vcc, v21, v22
	v_cndmask_b32_e32 v21, v22, v21, vcc
	s_nop 1
	v_mov_b32_dpp v22, v21 row_bcast:15 row_mask:0xf bank_mask:0xf
	v_cmp_gt_f32_e32 vcc, v21, v22
	v_cndmask_b32_e32 v21, v22, v21, vcc
	s_nop 1
	v_mov_b32_dpp v22, v21 row_bcast:31 row_mask:0xf bank_mask:0xf
	v_cmp_gt_f32_e32 vcc, v21, v22
	v_cndmask_b32_e32 v21, v22, v21, vcc
	ds_bpermute_b32 v21, v14, v21
.LBB228_19:                             ;   in Loop: Header=BB228_13 Depth=2
	s_cbranch_execz .LBB228_23
	s_branch .LBB228_25
.LBB228_20:                             ;   in Loop: Header=BB228_13 Depth=2
                                        ; implicit-def: $vgpr21
	s_branch .LBB228_29
.LBB228_21:                             ;   in Loop: Header=BB228_13 Depth=2
                                        ; implicit-def: $vgpr21
	s_branch .LBB228_26
.LBB228_22:                             ;   in Loop: Header=BB228_13 Depth=2
                                        ; implicit-def: $vgpr21
.LBB228_23:                             ;   in Loop: Header=BB228_13 Depth=2
	s_cmp_eq_u32 s10, 32
	s_waitcnt lgkmcnt(0)
	v_mov_b32_e32 v21, v20
	s_cbranch_scc0 .LBB228_25
; %bb.24:                               ;   in Loop: Header=BB228_13 Depth=2
	s_nop 0
	v_mov_b32_dpp v21, v20 quad_perm:[1,0,3,2] row_mask:0xf bank_mask:0xf
	v_cmp_gt_f32_e32 vcc, v20, v21
	v_cndmask_b32_e32 v21, v21, v20, vcc
	s_nop 1
	v_mov_b32_dpp v22, v21 quad_perm:[2,3,0,1] row_mask:0xf bank_mask:0xf
	v_cmp_gt_f32_e32 vcc, v21, v22
	v_cndmask_b32_e32 v21, v22, v21, vcc
	s_nop 1
	v_mov_b32_dpp v22, v21 row_half_mirror row_mask:0xf bank_mask:0xf
	v_cmp_gt_f32_e32 vcc, v21, v22
	v_cndmask_b32_e32 v21, v22, v21, vcc
	s_nop 1
	v_mov_b32_dpp v22, v21 row_mirror row_mask:0xf bank_mask:0xf
	v_cmp_gt_f32_e32 vcc, v21, v22
	v_cndmask_b32_e32 v21, v22, v21, vcc
	s_nop 1
	v_mov_b32_dpp v22, v21 row_bcast:15 row_mask:0xa bank_mask:0xf
	v_cmp_gt_f32_e32 vcc, v21, v22
	v_cndmask_b32_e32 v21, v22, v21, vcc
	ds_bpermute_b32 v21, v15, v21
.LBB228_25:                             ;   in Loop: Header=BB228_13 Depth=2
	s_cbranch_execnz .LBB228_28
.LBB228_26:                             ;   in Loop: Header=BB228_13 Depth=2
	s_cmp_eq_u32 s10, 16
	s_waitcnt lgkmcnt(0)
	v_mov_b32_e32 v21, v20
	s_cbranch_scc0 .LBB228_28
; %bb.27:                               ;   in Loop: Header=BB228_13 Depth=2
	s_nop 0
	v_mov_b32_dpp v21, v20 quad_perm:[1,0,3,2] row_mask:0xf bank_mask:0xf
	v_cmp_gt_f32_e32 vcc, v20, v21
	v_cndmask_b32_e32 v21, v21, v20, vcc
	s_nop 1
	v_mov_b32_dpp v22, v21 quad_perm:[2,3,0,1] row_mask:0xf bank_mask:0xf
	v_cmp_gt_f32_e32 vcc, v21, v22
	v_cndmask_b32_e32 v21, v22, v21, vcc
	s_nop 1
	v_mov_b32_dpp v22, v21 row_half_mirror row_mask:0xf bank_mask:0xf
	v_cmp_gt_f32_e32 vcc, v21, v22
	v_cndmask_b32_e32 v21, v22, v21, vcc
	s_nop 1
	v_mov_b32_dpp v22, v21 row_mirror row_mask:0xf bank_mask:0xf
	v_cmp_gt_f32_e32 vcc, v21, v22
	v_cndmask_b32_e32 v21, v22, v21, vcc
.LBB228_28:                             ;   in Loop: Header=BB228_13 Depth=2
	s_cbranch_execnz .LBB228_42
.LBB228_29:                             ;   in Loop: Header=BB228_13 Depth=2
	s_cmp_lt_i32 s10, 4
	s_cbranch_scc1 .LBB228_33
; %bb.30:                               ;   in Loop: Header=BB228_13 Depth=2
	s_cmp_lt_i32 s10, 8
	s_cbranch_scc1 .LBB228_34
; %bb.31:                               ;   in Loop: Header=BB228_13 Depth=2
	s_cmp_eq_u32 s10, 8
	s_waitcnt lgkmcnt(0)
	v_mov_b32_e32 v21, v20
	s_cbranch_scc0 .LBB228_35
; %bb.32:                               ;   in Loop: Header=BB228_13 Depth=2
	s_nop 0
	v_mov_b32_dpp v21, v20 quad_perm:[1,0,3,2] row_mask:0xf bank_mask:0xf
	v_cmp_gt_f32_e32 vcc, v20, v21
	v_cndmask_b32_e32 v21, v21, v20, vcc
	s_nop 1
	v_mov_b32_dpp v22, v21 quad_perm:[2,3,0,1] row_mask:0xf bank_mask:0xf
	v_cmp_gt_f32_e32 vcc, v21, v22
	v_cndmask_b32_e32 v21, v22, v21, vcc
	s_nop 1
	v_mov_b32_dpp v22, v21 row_half_mirror row_mask:0xf bank_mask:0xf
	v_cmp_gt_f32_e32 vcc, v21, v22
	v_cndmask_b32_e32 v21, v22, v21, vcc
	s_cbranch_execz .LBB228_36
	s_branch .LBB228_38
.LBB228_33:                             ;   in Loop: Header=BB228_13 Depth=2
                                        ; implicit-def: $vgpr21
	s_branch .LBB228_39
.LBB228_34:                             ;   in Loop: Header=BB228_13 Depth=2
                                        ; implicit-def: $vgpr21
	s_branch .LBB228_36
.LBB228_35:                             ;   in Loop: Header=BB228_13 Depth=2
	s_cbranch_execnz .LBB228_38
.LBB228_36:                             ;   in Loop: Header=BB228_13 Depth=2
	s_cmp_eq_u32 s10, 4
	s_waitcnt lgkmcnt(0)
	v_mov_b32_e32 v21, v20
	s_cbranch_scc0 .LBB228_38
; %bb.37:                               ;   in Loop: Header=BB228_13 Depth=2
	s_nop 0
	v_mov_b32_dpp v21, v20 quad_perm:[1,0,3,2] row_mask:0xf bank_mask:0xf
	v_cmp_gt_f32_e32 vcc, v20, v21
	v_cndmask_b32_e32 v21, v21, v20, vcc
	s_nop 1
	v_mov_b32_dpp v22, v21 quad_perm:[2,3,0,1] row_mask:0xf bank_mask:0xf
	v_cmp_gt_f32_e32 vcc, v21, v22
	v_cndmask_b32_e32 v21, v22, v21, vcc
.LBB228_38:                             ;   in Loop: Header=BB228_13 Depth=2
	s_cbranch_execnz .LBB228_42
.LBB228_39:                             ;   in Loop: Header=BB228_13 Depth=2
	s_cmp_lg_u32 s10, 2
	s_cbranch_scc1 .LBB228_41
; %bb.40:                               ;   in Loop: Header=BB228_13 Depth=2
	s_waitcnt lgkmcnt(0)
	v_mov_b32_dpp v21, v20 quad_perm:[1,0,3,2] row_mask:0xf bank_mask:0xf
	v_cmp_gt_f32_e32 vcc, v20, v21
	v_cndmask_b32_e32 v20, v21, v20, vcc
.LBB228_41:                             ;   in Loop: Header=BB228_13 Depth=2
	s_waitcnt lgkmcnt(0)
	v_mov_b32_e32 v21, v20
.LBB228_42:                             ;   in Loop: Header=BB228_13 Depth=2
	s_waitcnt lgkmcnt(0)
	v_mul_f32_e32 v20, 0x3b124925, v21
	v_bfe_u32 v21, v20, 23, 8
	v_and_b32_e32 v20, 0x7fffff, v20
	v_cmp_ne_u32_e32 vcc, s49, v21
	v_cmp_ne_u32_e64 s[4:5], 0, v20
	s_and_b64 vcc, s[4:5], vcc
	v_addc_co_u32_e32 v20, vcc, 0, v21, vcc
	s_and_saveexec_b64 s[4:5], s[38:39]
	s_cbranch_execz .LBB228_44
; %bb.43:                               ;   in Loop: Header=BB228_13 Depth=2
	s_ashr_i32 s24, s51, 31
	s_lshr_b32 s25, s24, 27
	s_add_i32 s25, s51, s25
	s_ashr_i32 s31, s25, 5
	s_and_b32 s25, s25, 0xffe0
	s_sub_i32 s25, s51, s25
	s_lshr_b32 s24, s24, 28
	s_bfe_i32 s53, s25, 0x80000
	s_add_i32 s24, s51, s24
	v_lshrrev_b16_e64 v21, 11, s53
	s_and_b32 s24, s24, 0x3ffffff0
	v_and_b32_e32 v21, 15, v21
	s_sub_i32 s24, s51, s24
	v_add_u16_e32 v21, s25, v21
	s_lshl_b32 s24, s24, 2
	v_ashrrev_i16_sdwa v21, v16, sext(v21) dst_sel:DWORD dst_unused:UNUSED_PAD src0_sel:DWORD src1_sel:BYTE_0
	s_mul_i32 s31, s44, s31
	v_add_u32_sdwa v21, sext(v21), s24 dst_sel:DWORD dst_unused:UNUSED_PAD src0_sel:WORD_0 src1_sel:DWORD
	v_add_u32_e32 v21, s31, v21
	v_add_u32_e32 v21, v21, v11
	v_ashrrev_i32_e32 v23, 31, v21
	v_mov_b32_e32 v24, s19
	v_add_co_u32_e32 v22, vcc, s18, v21
	v_addc_co_u32_e32 v23, vcc, v24, v23, vcc
	global_store_byte v[22:23], v20, off
.LBB228_44:                             ;   in Loop: Header=BB228_13 Depth=2
	s_or_b64 exec, exec, s[4:5]
	s_cmp_ge_i32 s29, s15
	s_cselect_b64 s[4:5], -1, 0
	s_and_b64 s[4:5], s[40:41], s[4:5]
	s_and_b64 vcc, exec, s[4:5]
	s_cbranch_vccnz .LBB228_11
; %bb.45:                               ;   in Loop: Header=BB228_13 Depth=2
	s_and_saveexec_b64 s[4:5], s[2:3]
	s_cbranch_execz .LBB228_10
; %bb.46:                               ;   in Loop: Header=BB228_13 Depth=2
	v_lshlrev_b32_e32 v20, 23, v20
	v_rcp_f32_e32 v20, v20
	s_mul_hi_i32 s24, s28, s45
	s_mul_i32 s28, s28, s45
	s_add_u32 s28, s16, s28
	v_mov_b32_e32 v21, v20
	;;#ASMSTART
	v_pk_mul_f32 v[6:7], v[6:7], v[20:21]
	;;#ASMEND
	;;#ASMSTART
	v_med3_f32 v6, v6, v12, v13
v_med3_f32 v7, v7, v12, v13
v_cvt_pk_fp8_f32 v22, v6, v7
	;;#ASMEND
	;;#ASMSTART
	v_pk_mul_f32 v[4:5], v[4:5], v[20:21]
	;;#ASMEND
	;;#ASMSTART
	v_med3_f32 v4, v4, v12, v13
v_med3_f32 v5, v5, v12, v13
v_cvt_pk_fp8_f32 v6, v4, v5
	;;#ASMEND
	v_perm_b32 v5, v6, v22, s50
	v_and_b32_e32 v4, 0xffffff00, v6
	v_and_b32_sdwa v6, v5, s49 dst_sel:DWORD dst_unused:UNUSED_PAD src0_sel:WORD_1 src1_sel:DWORD
	v_or_b32_sdwa v4, v6, v4 dst_sel:WORD_1 dst_unused:UNUSED_PAD src0_sel:DWORD src1_sel:DWORD
	;;#ASMSTART
	v_pk_mul_f32 v[2:3], v[2:3], v[20:21]
	;;#ASMEND
	v_and_or_b32 v4, v5, s47, v4
	;;#ASMSTART
	v_med3_f32 v2, v2, v12, v13
v_med3_f32 v3, v3, v12, v13
v_cvt_pk_fp8_f32 v5, v2, v3
	;;#ASMEND
	;;#ASMSTART
	v_pk_mul_f32 v[0:1], v[0:1], v[20:21]
	;;#ASMEND
	;;#ASMSTART
	v_med3_f32 v0, v0, v12, v13
v_med3_f32 v1, v1, v12, v13
v_cvt_pk_fp8_f32 v2, v0, v1
	;;#ASMEND
	s_addc_u32 s24, s17, s24
	v_lshlrev_b32_e32 v0, 16, v2
	s_and_b32 s29, s24, 0xffff
	s_mov_b32 s31, s27
	v_and_or_b32 v5, v5, s47, v0
	buffer_store_dwordx2 v[4:5], v9, s[28:31], 0 offen
	;;#ASMSTART
	s_nop 0
	;;#ASMEND
	s_branch .LBB228_10
.LBB228_47:
	s_endpgm
	.section	.rodata,"a",@progbits
	.p2align	6, 0x0
	.amdhsa_kernel _ZN5aiter30fused_mx_quant_moe_sort_kernelIDF16_DB8_Li128ELi8EEEvPT0_PhPKT_PKiS9_iiiiiiiii
		.amdhsa_group_segment_fixed_size 0
		.amdhsa_private_segment_fixed_size 0
		.amdhsa_kernarg_size 76
		.amdhsa_user_sgpr_count 6
		.amdhsa_user_sgpr_private_segment_buffer 1
		.amdhsa_user_sgpr_dispatch_ptr 0
		.amdhsa_user_sgpr_queue_ptr 0
		.amdhsa_user_sgpr_kernarg_segment_ptr 1
		.amdhsa_user_sgpr_dispatch_id 0
		.amdhsa_user_sgpr_flat_scratch_init 0
		.amdhsa_user_sgpr_kernarg_preload_length 0
		.amdhsa_user_sgpr_kernarg_preload_offset 0
		.amdhsa_user_sgpr_private_segment_size 0
		.amdhsa_uses_dynamic_stack 0
		.amdhsa_system_sgpr_private_segment_wavefront_offset 0
		.amdhsa_system_sgpr_workgroup_id_x 1
		.amdhsa_system_sgpr_workgroup_id_y 0
		.amdhsa_system_sgpr_workgroup_id_z 0
		.amdhsa_system_sgpr_workgroup_info 0
		.amdhsa_system_vgpr_workitem_id 0
		.amdhsa_next_free_vgpr 25
		.amdhsa_next_free_sgpr 54
		.amdhsa_accum_offset 28
		.amdhsa_reserve_vcc 1
		.amdhsa_reserve_flat_scratch 0
		.amdhsa_float_round_mode_32 0
		.amdhsa_float_round_mode_16_64 0
		.amdhsa_float_denorm_mode_32 3
		.amdhsa_float_denorm_mode_16_64 3
		.amdhsa_dx10_clamp 1
		.amdhsa_ieee_mode 1
		.amdhsa_fp16_overflow 0
		.amdhsa_tg_split 0
		.amdhsa_exception_fp_ieee_invalid_op 0
		.amdhsa_exception_fp_denorm_src 0
		.amdhsa_exception_fp_ieee_div_zero 0
		.amdhsa_exception_fp_ieee_overflow 0
		.amdhsa_exception_fp_ieee_underflow 0
		.amdhsa_exception_fp_ieee_inexact 0
		.amdhsa_exception_int_div_zero 0
	.end_amdhsa_kernel
	.section	.text._ZN5aiter30fused_mx_quant_moe_sort_kernelIDF16_DB8_Li128ELi8EEEvPT0_PhPKT_PKiS9_iiiiiiiii,"axG",@progbits,_ZN5aiter30fused_mx_quant_moe_sort_kernelIDF16_DB8_Li128ELi8EEEvPT0_PhPKT_PKiS9_iiiiiiiii,comdat
.Lfunc_end228:
	.size	_ZN5aiter30fused_mx_quant_moe_sort_kernelIDF16_DB8_Li128ELi8EEEvPT0_PhPKT_PKiS9_iiiiiiiii, .Lfunc_end228-_ZN5aiter30fused_mx_quant_moe_sort_kernelIDF16_DB8_Li128ELi8EEEvPT0_PhPKT_PKiS9_iiiiiiiii
                                        ; -- End function
	.section	.AMDGPU.csdata,"",@progbits
; Kernel info:
; codeLenInByte = 2132
; NumSgprs: 58
; NumVgprs: 25
; NumAgprs: 0
; TotalNumVgprs: 25
; ScratchSize: 0
; MemoryBound: 0
; FloatMode: 240
; IeeeMode: 1
; LDSByteSize: 0 bytes/workgroup (compile time only)
; SGPRBlocks: 7
; VGPRBlocks: 3
; NumSGPRsForWavesPerEU: 58
; NumVGPRsForWavesPerEU: 25
; AccumOffset: 28
; Occupancy: 8
; WaveLimiterHint : 0
; COMPUTE_PGM_RSRC2:SCRATCH_EN: 0
; COMPUTE_PGM_RSRC2:USER_SGPR: 6
; COMPUTE_PGM_RSRC2:TRAP_HANDLER: 0
; COMPUTE_PGM_RSRC2:TGID_X_EN: 1
; COMPUTE_PGM_RSRC2:TGID_Y_EN: 0
; COMPUTE_PGM_RSRC2:TGID_Z_EN: 0
; COMPUTE_PGM_RSRC2:TIDIG_COMP_CNT: 0
; COMPUTE_PGM_RSRC3_GFX90A:ACCUM_OFFSET: 6
; COMPUTE_PGM_RSRC3_GFX90A:TG_SPLIT: 0
	.section	.text._ZN5aiter30fused_mx_quant_moe_sort_kernelItDB8_Li128ELi8EEEvPT0_PhPKT_PKiS9_iiiiiiiii,"axG",@progbits,_ZN5aiter30fused_mx_quant_moe_sort_kernelItDB8_Li128ELi8EEEvPT0_PhPKT_PKiS9_iiiiiiiii,comdat
	.protected	_ZN5aiter30fused_mx_quant_moe_sort_kernelItDB8_Li128ELi8EEEvPT0_PhPKT_PKiS9_iiiiiiiii ; -- Begin function _ZN5aiter30fused_mx_quant_moe_sort_kernelItDB8_Li128ELi8EEEvPT0_PhPKT_PKiS9_iiiiiiiii
	.globl	_ZN5aiter30fused_mx_quant_moe_sort_kernelItDB8_Li128ELi8EEEvPT0_PhPKT_PKiS9_iiiiiiiii
	.p2align	8
	.type	_ZN5aiter30fused_mx_quant_moe_sort_kernelItDB8_Li128ELi8EEEvPT0_PhPKT_PKiS9_iiiiiiiii,@function
_ZN5aiter30fused_mx_quant_moe_sort_kernelItDB8_Li128ELi8EEEvPT0_PhPKT_PKiS9_iiiiiiiii: ; @_ZN5aiter30fused_mx_quant_moe_sort_kernelItDB8_Li128ELi8EEEvPT0_PhPKT_PKiS9_iiiiiiiii
; %bb.0:
	s_load_dwordx8 s[8:15], s[4:5], 0x28
	s_waitcnt lgkmcnt(0)
	s_abs_i32 s0, s10
	v_cvt_f32_u32_e32 v1, s0
	s_cmp_ge_i32 s6, s13
	v_rcp_iflag_f32_e32 v1, v1
	v_mul_f32_e32 v1, 0x4f7ffffe, v1
	v_cvt_u32_f32_e32 v1, v1
	v_readfirstlane_b32 s1, v1
	s_cbranch_scc1 .LBB229_47
; %bb.1:
	s_sub_i32 s25, 0, s0
	s_mul_i32 s25, s25, s1
	s_ashr_i32 s24, s10, 31
	s_mul_hi_u32 s25, s1, s25
	s_add_i32 s1, s1, s25
	s_lshr_b32 s25, s24, 29
	s_load_dwordx8 s[16:23], s[4:5], 0x0
	s_load_dwordx2 s[2:3], s[4:5], 0x20
	s_load_dword s7, s[4:5], 0x48
	s_add_i32 s4, s9, s10
	s_add_i32 s10, s10, s25
	s_ashr_i32 s10, s10, 3
	v_cvt_f32_u32_e32 v1, s10
	s_add_i32 s4, s4, -1
	s_ashr_i32 s5, s4, 31
	s_abs_i32 s4, s4
	v_rcp_iflag_f32_e32 v1, v1
	s_mul_hi_u32 s1, s4, s1
	s_waitcnt lgkmcnt(0)
	s_load_dword s33, s[2:3], 0x0
	s_mul_i32 s3, s1, s0
	s_sub_i32 s3, s4, s3
	v_mul_f32_e32 v1, 0x4f7ffffe, v1
	s_sub_i32 s25, 0, s10
	s_xor_b32 s2, s5, s24
	s_add_i32 s4, s1, 1
	s_sub_i32 s5, s3, s0
	v_cvt_u32_f32_e32 v1, v1
	s_cmp_ge_u32 s3, s0
	s_cselect_b32 s1, s4, s1
	s_cselect_b32 s3, s5, s3
	s_add_i32 s4, s1, 1
	s_cmp_ge_u32 s3, s0
	v_mul_lo_u32 v2, s25, v1
	s_cselect_b32 s0, s4, s1
	v_mul_hi_u32 v2, v1, v2
	s_xor_b32 s0, s0, s2
	v_add_u32_e32 v1, v1, v2
	s_sub_i32 s2, s0, s2
	v_mul_hi_u32 v1, v0, v1
	s_add_i32 s0, s2, 7
	v_mul_lo_u32 v2, v1, s10
	s_ashr_i32 s1, s0, 31
	v_sub_u32_e32 v2, v0, v2
	s_lshr_b32 s1, s1, 29
	v_add_u32_e32 v3, 1, v1
	v_cmp_le_u32_e32 vcc, s10, v2
	s_add_i32 s0, s0, s1
	v_cndmask_b32_e32 v1, v1, v3, vcc
	v_subrev_u32_e32 v3, s10, v2
	s_lshl_b32 s0, s0, 5
	v_cndmask_b32_e32 v2, v2, v3, vcc
	s_and_b32 s44, s0, 0xffffff00
	v_add_u32_e32 v3, 1, v1
	v_cmp_le_u32_e32 vcc, s10, v2
	v_cndmask_b32_e32 v1, v1, v3, vcc
	v_and_b32_e32 v2, 63, v0
	s_cmp_gt_i32 s12, 0
	v_cmp_gt_i32_e64 s[0:1], s12, v2
	v_mul_lo_u32 v8, v2, s11
	s_cselect_b64 s[34:35], -1, 0
	s_cmp_eq_u32 s15, 1
	v_lshlrev_b32_e32 v2, 5, v1
	v_lshlrev_b32_e32 v3, 6, v1
	v_lshrrev_b32_e32 v4, 1, v1
	s_cselect_b64 s[36:37], -1, 0
	v_and_b32_e32 v2, 0x7f00, v2
	v_and_b32_e32 v3, 0xc0, v3
	;; [unrolled: 1-line block ×3, first 2 shown]
	s_abs_i32 s46, s11
	v_or3_b32 v11, v3, v2, v4
	v_cvt_f32_u32_e32 v2, s46
	s_add_i32 s4, s9, 3
	v_cmp_gt_i32_e32 vcc, s2, v1
	s_add_i32 s2, s9, 7
	v_rcp_iflag_f32_e32 v2, v2
	s_ashr_i32 s5, s4, 31
	s_ashr_i32 s3, s2, 31
	s_lshr_b32 s5, s5, 30
	v_mul_f32_e32 v2, 0x4f7ffffe, v2
	v_cvt_u32_f32_e32 v2, v2
	s_lshr_b32 s3, s3, 29
	s_add_i32 s4, s4, s5
	s_add_i32 s2, s2, s3
	s_and_b32 s30, s4, -4
	s_sub_i32 s4, 0, s46
	v_readfirstlane_b32 s5, v2
	s_ashr_i32 s2, s2, 3
	s_mul_i32 s4, s4, s5
	v_mul_lo_u32 v1, v1, s10
	v_lshlrev_b32_e32 v9, 3, v0
	v_lshlrev_b32_e32 v10, 4, v0
	v_cmp_gt_u32_e64 s[2:3], s2, v0
	s_mul_hi_u32 s4, s5, s4
	v_sub_u32_e32 v0, v0, v1
	s_mov_b32 s45, s9
	s_lshl_b32 s26, s9, 1
	s_add_i32 s9, s5, s4
	v_cmp_eq_u32_e64 s[4:5], 0, v0
	v_mbcnt_lo_u32_b32 v0, -1, 0
	v_mbcnt_hi_u32_b32 v0, -1, v0
	v_bfrev_b32_e32 v1, 0.5
	v_lshl_or_b32 v14, v0, 2, v1
	v_mov_b32_e32 v1, 0x7c
	s_and_b64 s[38:39], s[4:5], vcc
	s_mov_b32 s47, 0xffff
	s_mov_b32 s27, 0x20000
	;; [unrolled: 1-line block ×3, first 2 shown]
	s_movk_i32 s49, 0xff
	s_xor_b64 s[40:41], s[36:37], -1
	v_mov_b32_e32 v12, 0xc3e00000
	v_mov_b32_e32 v13, 0x43e00000
	s_mov_b32 s50, 0x5040100
	v_lshl_or_b32 v15, v0, 2, v1
	v_mov_b32_e32 v16, 4
                                        ; implicit-def: $vgpr17
	s_branch .LBB229_3
.LBB229_2:                              ;   in Loop: Header=BB229_3 Depth=1
	s_add_i32 s6, s6, s14
	s_cmp_lt_i32 s6, s13
	s_cselect_b64 s[4:5], -1, 0
	s_and_b64 s[4:5], s[42:43], s[4:5]
	s_and_b64 vcc, exec, s[4:5]
	s_cbranch_vccz .LBB229_47
.LBB229_3:                              ; =>This Loop Header: Depth=1
                                        ;     Child Loop BB229_13 Depth 2
	s_abs_i32 s4, s6
	s_mul_hi_u32 s5, s4, s9
	s_mul_i32 s5, s5, s46
	s_sub_i32 s4, s4, s5
	s_ashr_i32 s28, s6, 31
	s_sub_i32 s5, s4, s46
	s_cmp_ge_u32 s4, s46
	s_cselect_b32 s4, s5, s4
	s_sub_i32 s5, s4, s46
	s_cmp_ge_u32 s4, s46
	s_cselect_b32 s4, s5, s4
	s_xor_b32 s29, s4, s28
	s_sub_i32 s4, s29, s28
	s_sub_i32 s5, s6, s4
	s_mul_i32 s24, s5, s12
	s_add_i32 s24, s24, s4
	s_waitcnt lgkmcnt(0)
	s_cmp_lt_i32 s24, s33
	s_cselect_b64 s[42:43], -1, 0
	s_cmp_ge_i32 s24, s33
	s_cbranch_scc1 .LBB229_2
; %bb.4:                                ;   in Loop: Header=BB229_3 Depth=1
	s_and_saveexec_b64 s[4:5], s[0:1]
	s_cbranch_execz .LBB229_8
; %bb.5:                                ;   in Loop: Header=BB229_3 Depth=1
	v_add_u32_e32 v0, s24, v8
	v_cmp_gt_i32_e32 vcc, s33, v0
	s_waitcnt vmcnt(0)
	v_mov_b32_e32 v17, s8
	s_and_saveexec_b64 s[24:25], vcc
	s_cbranch_execz .LBB229_7
; %bb.6:                                ;   in Loop: Header=BB229_3 Depth=1
	v_ashrrev_i32_e32 v1, 31, v0
	v_lshlrev_b64 v[0:1], 2, v[0:1]
	v_mov_b32_e32 v2, s23
	v_add_co_u32_e32 v0, vcc, s22, v0
	v_addc_co_u32_e32 v1, vcc, v2, v1, vcc
	global_load_dword v17, v[0:1], off
.LBB229_7:                              ;   in Loop: Header=BB229_3 Depth=1
	s_or_b64 exec, exec, s[24:25]
.LBB229_8:                              ;   in Loop: Header=BB229_3 Depth=1
	s_or_b64 exec, exec, s[4:5]
	s_andn2_b64 vcc, exec, s[34:35]
	s_cbranch_vccnz .LBB229_2
; %bb.9:                                ;   in Loop: Header=BB229_3 Depth=1
	s_add_i32 s4, s6, s28
	s_sub_i32 s4, s4, s29
	s_mul_i32 s4, s12, s4
	s_add_i32 s29, s29, s4
	s_waitcnt vmcnt(0)
	v_and_b32_e32 v18, 0xffffff, v17
	v_ashrrev_i32_e32 v19, 24, v17
	s_sub_i32 s51, s29, s28
	s_mov_b32 s52, 0
	s_branch .LBB229_13
.LBB229_10:                             ;   in Loop: Header=BB229_13 Depth=2
	s_or_b64 exec, exec, s[4:5]
.LBB229_11:                             ;   in Loop: Header=BB229_13 Depth=2
	s_add_i32 s52, s52, 1
	s_add_i32 s51, s51, s11
	s_cmp_eq_u32 s12, s52
	s_cselect_b64 s[4:5], -1, 0
.LBB229_12:                             ;   in Loop: Header=BB229_13 Depth=2
	s_and_b64 vcc, exec, s[4:5]
	s_cbranch_vccnz .LBB229_2
.LBB229_13:                             ;   Parent Loop BB229_3 Depth=1
                                        ; =>  This Inner Loop Header: Depth=2
	v_readlane_b32 s24, v18, s52
	v_readlane_b32 s29, v19, s52
	s_cmp_ge_i32 s24, s8
	s_mov_b64 s[4:5], -1
	s_cbranch_scc1 .LBB229_12
; %bb.14:                               ;   in Loop: Header=BB229_13 Depth=2
	s_mul_i32 s4, s24, s15
	s_add_i32 s25, s4, s29
	s_and_b64 s[4:5], s[36:37], exec
	s_cselect_b32 s28, s24, s25
	s_mul_hi_i32 s5, s28, s7
	s_mul_i32 s4, s28, s7
	s_lshl_b64 s[4:5], s[4:5], 1
	s_add_u32 s24, s20, s4
	s_addc_u32 s4, s21, s5
	s_and_b32 s25, s4, 0xffff
	buffer_load_dwordx4 v[20:23], v10, s[24:27], 0 offen
	s_cmp_lt_i32 s10, 16
	s_waitcnt vmcnt(0)
	v_cvt_f32_u32_sdwa v7, v20 dst_sel:DWORD dst_unused:UNUSED_PAD src0_sel:WORD_1
	v_cvt_f32_u32_sdwa v6, v20 dst_sel:DWORD dst_unused:UNUSED_PAD src0_sel:WORD_0
	v_cvt_f32_u32_sdwa v5, v21 dst_sel:DWORD dst_unused:UNUSED_PAD src0_sel:WORD_1
	v_cvt_f32_u32_sdwa v4, v21 dst_sel:DWORD dst_unused:UNUSED_PAD src0_sel:WORD_0
	;; [unrolled: 2-line block ×4, first 2 shown]
	v_max3_f32 v20, v6, s48, v7
	v_max3_f32 v20, v20, v4, v5
	;; [unrolled: 1-line block ×4, first 2 shown]
	s_cbranch_scc1 .LBB229_20
; %bb.15:                               ;   in Loop: Header=BB229_13 Depth=2
	s_cmp_lt_i32 s10, 32
	s_cbranch_scc1 .LBB229_21
; %bb.16:                               ;   in Loop: Header=BB229_13 Depth=2
	s_cmp_lt_i32 s10, 64
	s_cbranch_scc1 .LBB229_22
; %bb.17:                               ;   in Loop: Header=BB229_13 Depth=2
	s_cmp_eq_u32 s10, 64
	v_mov_b32_e32 v21, v20
	s_cbranch_scc0 .LBB229_19
; %bb.18:                               ;   in Loop: Header=BB229_13 Depth=2
	s_nop 0
	v_mov_b32_dpp v21, v20 quad_perm:[1,0,3,2] row_mask:0xf bank_mask:0xf
	v_cmp_gt_f32_e32 vcc, v20, v21
	v_cndmask_b32_e32 v21, v21, v20, vcc
	s_nop 1
	v_mov_b32_dpp v22, v21 quad_perm:[2,3,0,1] row_mask:0xf bank_mask:0xf
	v_cmp_gt_f32_e32 vcc, v21, v22
	v_cndmask_b32_e32 v21, v22, v21, vcc
	s_nop 1
	v_mov_b32_dpp v22, v21 row_ror:4 row_mask:0xf bank_mask:0xf
	v_cmp_gt_f32_e32 vcc, v21, v22
	v_cndmask_b32_e32 v21, v22, v21, vcc
	s_nop 1
	v_mov_b32_dpp v22, v21 row_ror:8 row_mask:0xf bank_mask:0xf
	v_cmp_gt_f32_e32 vcc, v21, v22
	v_cndmask_b32_e32 v21, v22, v21, vcc
	s_nop 1
	v_mov_b32_dpp v22, v21 row_bcast:15 row_mask:0xf bank_mask:0xf
	v_cmp_gt_f32_e32 vcc, v21, v22
	v_cndmask_b32_e32 v21, v22, v21, vcc
	s_nop 1
	v_mov_b32_dpp v22, v21 row_bcast:31 row_mask:0xf bank_mask:0xf
	v_cmp_gt_f32_e32 vcc, v21, v22
	v_cndmask_b32_e32 v21, v22, v21, vcc
	ds_bpermute_b32 v21, v14, v21
.LBB229_19:                             ;   in Loop: Header=BB229_13 Depth=2
	s_cbranch_execz .LBB229_23
	s_branch .LBB229_25
.LBB229_20:                             ;   in Loop: Header=BB229_13 Depth=2
                                        ; implicit-def: $vgpr21
	s_branch .LBB229_29
.LBB229_21:                             ;   in Loop: Header=BB229_13 Depth=2
                                        ; implicit-def: $vgpr21
	s_branch .LBB229_26
.LBB229_22:                             ;   in Loop: Header=BB229_13 Depth=2
                                        ; implicit-def: $vgpr21
.LBB229_23:                             ;   in Loop: Header=BB229_13 Depth=2
	s_cmp_eq_u32 s10, 32
	s_waitcnt lgkmcnt(0)
	v_mov_b32_e32 v21, v20
	s_cbranch_scc0 .LBB229_25
; %bb.24:                               ;   in Loop: Header=BB229_13 Depth=2
	s_nop 0
	v_mov_b32_dpp v21, v20 quad_perm:[1,0,3,2] row_mask:0xf bank_mask:0xf
	v_cmp_gt_f32_e32 vcc, v20, v21
	v_cndmask_b32_e32 v21, v21, v20, vcc
	s_nop 1
	v_mov_b32_dpp v22, v21 quad_perm:[2,3,0,1] row_mask:0xf bank_mask:0xf
	v_cmp_gt_f32_e32 vcc, v21, v22
	v_cndmask_b32_e32 v21, v22, v21, vcc
	s_nop 1
	v_mov_b32_dpp v22, v21 row_half_mirror row_mask:0xf bank_mask:0xf
	v_cmp_gt_f32_e32 vcc, v21, v22
	v_cndmask_b32_e32 v21, v22, v21, vcc
	s_nop 1
	v_mov_b32_dpp v22, v21 row_mirror row_mask:0xf bank_mask:0xf
	v_cmp_gt_f32_e32 vcc, v21, v22
	v_cndmask_b32_e32 v21, v22, v21, vcc
	s_nop 1
	v_mov_b32_dpp v22, v21 row_bcast:15 row_mask:0xa bank_mask:0xf
	v_cmp_gt_f32_e32 vcc, v21, v22
	v_cndmask_b32_e32 v21, v22, v21, vcc
	ds_bpermute_b32 v21, v15, v21
.LBB229_25:                             ;   in Loop: Header=BB229_13 Depth=2
	s_cbranch_execnz .LBB229_28
.LBB229_26:                             ;   in Loop: Header=BB229_13 Depth=2
	s_cmp_eq_u32 s10, 16
	s_waitcnt lgkmcnt(0)
	v_mov_b32_e32 v21, v20
	s_cbranch_scc0 .LBB229_28
; %bb.27:                               ;   in Loop: Header=BB229_13 Depth=2
	s_nop 0
	v_mov_b32_dpp v21, v20 quad_perm:[1,0,3,2] row_mask:0xf bank_mask:0xf
	v_cmp_gt_f32_e32 vcc, v20, v21
	v_cndmask_b32_e32 v21, v21, v20, vcc
	s_nop 1
	v_mov_b32_dpp v22, v21 quad_perm:[2,3,0,1] row_mask:0xf bank_mask:0xf
	v_cmp_gt_f32_e32 vcc, v21, v22
	v_cndmask_b32_e32 v21, v22, v21, vcc
	s_nop 1
	v_mov_b32_dpp v22, v21 row_half_mirror row_mask:0xf bank_mask:0xf
	v_cmp_gt_f32_e32 vcc, v21, v22
	v_cndmask_b32_e32 v21, v22, v21, vcc
	s_nop 1
	v_mov_b32_dpp v22, v21 row_mirror row_mask:0xf bank_mask:0xf
	v_cmp_gt_f32_e32 vcc, v21, v22
	v_cndmask_b32_e32 v21, v22, v21, vcc
.LBB229_28:                             ;   in Loop: Header=BB229_13 Depth=2
	s_cbranch_execnz .LBB229_42
.LBB229_29:                             ;   in Loop: Header=BB229_13 Depth=2
	s_cmp_lt_i32 s10, 4
	s_cbranch_scc1 .LBB229_33
; %bb.30:                               ;   in Loop: Header=BB229_13 Depth=2
	s_cmp_lt_i32 s10, 8
	s_cbranch_scc1 .LBB229_34
; %bb.31:                               ;   in Loop: Header=BB229_13 Depth=2
	s_cmp_eq_u32 s10, 8
	s_waitcnt lgkmcnt(0)
	v_mov_b32_e32 v21, v20
	s_cbranch_scc0 .LBB229_35
; %bb.32:                               ;   in Loop: Header=BB229_13 Depth=2
	s_nop 0
	v_mov_b32_dpp v21, v20 quad_perm:[1,0,3,2] row_mask:0xf bank_mask:0xf
	v_cmp_gt_f32_e32 vcc, v20, v21
	v_cndmask_b32_e32 v21, v21, v20, vcc
	s_nop 1
	v_mov_b32_dpp v22, v21 quad_perm:[2,3,0,1] row_mask:0xf bank_mask:0xf
	v_cmp_gt_f32_e32 vcc, v21, v22
	v_cndmask_b32_e32 v21, v22, v21, vcc
	s_nop 1
	v_mov_b32_dpp v22, v21 row_half_mirror row_mask:0xf bank_mask:0xf
	v_cmp_gt_f32_e32 vcc, v21, v22
	v_cndmask_b32_e32 v21, v22, v21, vcc
	s_cbranch_execz .LBB229_36
	s_branch .LBB229_38
.LBB229_33:                             ;   in Loop: Header=BB229_13 Depth=2
                                        ; implicit-def: $vgpr21
	s_branch .LBB229_39
.LBB229_34:                             ;   in Loop: Header=BB229_13 Depth=2
                                        ; implicit-def: $vgpr21
	s_branch .LBB229_36
.LBB229_35:                             ;   in Loop: Header=BB229_13 Depth=2
	s_cbranch_execnz .LBB229_38
.LBB229_36:                             ;   in Loop: Header=BB229_13 Depth=2
	s_cmp_eq_u32 s10, 4
	s_waitcnt lgkmcnt(0)
	v_mov_b32_e32 v21, v20
	s_cbranch_scc0 .LBB229_38
; %bb.37:                               ;   in Loop: Header=BB229_13 Depth=2
	s_nop 0
	v_mov_b32_dpp v21, v20 quad_perm:[1,0,3,2] row_mask:0xf bank_mask:0xf
	v_cmp_gt_f32_e32 vcc, v20, v21
	v_cndmask_b32_e32 v21, v21, v20, vcc
	s_nop 1
	v_mov_b32_dpp v22, v21 quad_perm:[2,3,0,1] row_mask:0xf bank_mask:0xf
	v_cmp_gt_f32_e32 vcc, v21, v22
	v_cndmask_b32_e32 v21, v22, v21, vcc
.LBB229_38:                             ;   in Loop: Header=BB229_13 Depth=2
	s_cbranch_execnz .LBB229_42
.LBB229_39:                             ;   in Loop: Header=BB229_13 Depth=2
	s_cmp_lg_u32 s10, 2
	s_cbranch_scc1 .LBB229_41
; %bb.40:                               ;   in Loop: Header=BB229_13 Depth=2
	s_waitcnt lgkmcnt(0)
	v_mov_b32_dpp v21, v20 quad_perm:[1,0,3,2] row_mask:0xf bank_mask:0xf
	v_cmp_gt_f32_e32 vcc, v20, v21
	v_cndmask_b32_e32 v20, v21, v20, vcc
.LBB229_41:                             ;   in Loop: Header=BB229_13 Depth=2
	s_waitcnt lgkmcnt(0)
	v_mov_b32_e32 v21, v20
.LBB229_42:                             ;   in Loop: Header=BB229_13 Depth=2
	s_waitcnt lgkmcnt(0)
	v_mul_f32_e32 v20, 0x3b124925, v21
	v_bfe_u32 v21, v20, 23, 8
	v_and_b32_e32 v20, 0x7fffff, v20
	v_cmp_ne_u32_e32 vcc, s49, v21
	v_cmp_ne_u32_e64 s[4:5], 0, v20
	s_and_b64 vcc, s[4:5], vcc
	v_addc_co_u32_e32 v20, vcc, 0, v21, vcc
	s_and_saveexec_b64 s[4:5], s[38:39]
	s_cbranch_execz .LBB229_44
; %bb.43:                               ;   in Loop: Header=BB229_13 Depth=2
	s_ashr_i32 s24, s51, 31
	s_lshr_b32 s25, s24, 27
	s_add_i32 s25, s51, s25
	s_ashr_i32 s31, s25, 5
	s_and_b32 s25, s25, 0xffe0
	s_sub_i32 s25, s51, s25
	s_lshr_b32 s24, s24, 28
	s_bfe_i32 s53, s25, 0x80000
	s_add_i32 s24, s51, s24
	v_lshrrev_b16_e64 v21, 11, s53
	s_and_b32 s24, s24, 0x3ffffff0
	v_and_b32_e32 v21, 15, v21
	s_sub_i32 s24, s51, s24
	v_add_u16_e32 v21, s25, v21
	s_lshl_b32 s24, s24, 2
	v_ashrrev_i16_sdwa v21, v16, sext(v21) dst_sel:DWORD dst_unused:UNUSED_PAD src0_sel:DWORD src1_sel:BYTE_0
	s_mul_i32 s31, s44, s31
	v_add_u32_sdwa v21, sext(v21), s24 dst_sel:DWORD dst_unused:UNUSED_PAD src0_sel:WORD_0 src1_sel:DWORD
	v_add_u32_e32 v21, s31, v21
	v_add_u32_e32 v21, v21, v11
	v_ashrrev_i32_e32 v23, 31, v21
	v_mov_b32_e32 v24, s19
	v_add_co_u32_e32 v22, vcc, s18, v21
	v_addc_co_u32_e32 v23, vcc, v24, v23, vcc
	global_store_byte v[22:23], v20, off
.LBB229_44:                             ;   in Loop: Header=BB229_13 Depth=2
	s_or_b64 exec, exec, s[4:5]
	s_cmp_ge_i32 s29, s15
	s_cselect_b64 s[4:5], -1, 0
	s_and_b64 s[4:5], s[40:41], s[4:5]
	s_and_b64 vcc, exec, s[4:5]
	s_cbranch_vccnz .LBB229_11
; %bb.45:                               ;   in Loop: Header=BB229_13 Depth=2
	s_and_saveexec_b64 s[4:5], s[2:3]
	s_cbranch_execz .LBB229_10
; %bb.46:                               ;   in Loop: Header=BB229_13 Depth=2
	v_lshlrev_b32_e32 v20, 23, v20
	v_rcp_f32_e32 v20, v20
	s_mul_hi_i32 s24, s28, s45
	s_mul_i32 s28, s28, s45
	s_add_u32 s28, s16, s28
	v_mov_b32_e32 v21, v20
	;;#ASMSTART
	v_pk_mul_f32 v[6:7], v[6:7], v[20:21]
	;;#ASMEND
	;;#ASMSTART
	v_med3_f32 v6, v6, v12, v13
v_med3_f32 v7, v7, v12, v13
v_cvt_pk_fp8_f32 v22, v6, v7
	;;#ASMEND
	;;#ASMSTART
	v_pk_mul_f32 v[4:5], v[4:5], v[20:21]
	;;#ASMEND
	;;#ASMSTART
	v_med3_f32 v4, v4, v12, v13
v_med3_f32 v5, v5, v12, v13
v_cvt_pk_fp8_f32 v6, v4, v5
	;;#ASMEND
	v_perm_b32 v5, v6, v22, s50
	v_and_b32_e32 v4, 0xffffff00, v6
	v_and_b32_sdwa v6, v5, s49 dst_sel:DWORD dst_unused:UNUSED_PAD src0_sel:WORD_1 src1_sel:DWORD
	v_or_b32_sdwa v4, v6, v4 dst_sel:WORD_1 dst_unused:UNUSED_PAD src0_sel:DWORD src1_sel:DWORD
	;;#ASMSTART
	v_pk_mul_f32 v[2:3], v[2:3], v[20:21]
	;;#ASMEND
	v_and_or_b32 v4, v5, s47, v4
	;;#ASMSTART
	v_med3_f32 v2, v2, v12, v13
v_med3_f32 v3, v3, v12, v13
v_cvt_pk_fp8_f32 v5, v2, v3
	;;#ASMEND
	;;#ASMSTART
	v_pk_mul_f32 v[0:1], v[0:1], v[20:21]
	;;#ASMEND
	;;#ASMSTART
	v_med3_f32 v0, v0, v12, v13
v_med3_f32 v1, v1, v12, v13
v_cvt_pk_fp8_f32 v2, v0, v1
	;;#ASMEND
	s_addc_u32 s24, s17, s24
	v_lshlrev_b32_e32 v0, 16, v2
	s_and_b32 s29, s24, 0xffff
	s_mov_b32 s31, s27
	v_and_or_b32 v5, v5, s47, v0
	buffer_store_dwordx2 v[4:5], v9, s[28:31], 0 offen
	;;#ASMSTART
	s_nop 0
	;;#ASMEND
	s_branch .LBB229_10
.LBB229_47:
	s_endpgm
	.section	.rodata,"a",@progbits
	.p2align	6, 0x0
	.amdhsa_kernel _ZN5aiter30fused_mx_quant_moe_sort_kernelItDB8_Li128ELi8EEEvPT0_PhPKT_PKiS9_iiiiiiiii
		.amdhsa_group_segment_fixed_size 0
		.amdhsa_private_segment_fixed_size 0
		.amdhsa_kernarg_size 76
		.amdhsa_user_sgpr_count 6
		.amdhsa_user_sgpr_private_segment_buffer 1
		.amdhsa_user_sgpr_dispatch_ptr 0
		.amdhsa_user_sgpr_queue_ptr 0
		.amdhsa_user_sgpr_kernarg_segment_ptr 1
		.amdhsa_user_sgpr_dispatch_id 0
		.amdhsa_user_sgpr_flat_scratch_init 0
		.amdhsa_user_sgpr_kernarg_preload_length 0
		.amdhsa_user_sgpr_kernarg_preload_offset 0
		.amdhsa_user_sgpr_private_segment_size 0
		.amdhsa_uses_dynamic_stack 0
		.amdhsa_system_sgpr_private_segment_wavefront_offset 0
		.amdhsa_system_sgpr_workgroup_id_x 1
		.amdhsa_system_sgpr_workgroup_id_y 0
		.amdhsa_system_sgpr_workgroup_id_z 0
		.amdhsa_system_sgpr_workgroup_info 0
		.amdhsa_system_vgpr_workitem_id 0
		.amdhsa_next_free_vgpr 25
		.amdhsa_next_free_sgpr 54
		.amdhsa_accum_offset 28
		.amdhsa_reserve_vcc 1
		.amdhsa_reserve_flat_scratch 0
		.amdhsa_float_round_mode_32 0
		.amdhsa_float_round_mode_16_64 0
		.amdhsa_float_denorm_mode_32 3
		.amdhsa_float_denorm_mode_16_64 3
		.amdhsa_dx10_clamp 1
		.amdhsa_ieee_mode 1
		.amdhsa_fp16_overflow 0
		.amdhsa_tg_split 0
		.amdhsa_exception_fp_ieee_invalid_op 0
		.amdhsa_exception_fp_denorm_src 0
		.amdhsa_exception_fp_ieee_div_zero 0
		.amdhsa_exception_fp_ieee_overflow 0
		.amdhsa_exception_fp_ieee_underflow 0
		.amdhsa_exception_fp_ieee_inexact 0
		.amdhsa_exception_int_div_zero 0
	.end_amdhsa_kernel
	.section	.text._ZN5aiter30fused_mx_quant_moe_sort_kernelItDB8_Li128ELi8EEEvPT0_PhPKT_PKiS9_iiiiiiiii,"axG",@progbits,_ZN5aiter30fused_mx_quant_moe_sort_kernelItDB8_Li128ELi8EEEvPT0_PhPKT_PKiS9_iiiiiiiii,comdat
.Lfunc_end229:
	.size	_ZN5aiter30fused_mx_quant_moe_sort_kernelItDB8_Li128ELi8EEEvPT0_PhPKT_PKiS9_iiiiiiiii, .Lfunc_end229-_ZN5aiter30fused_mx_quant_moe_sort_kernelItDB8_Li128ELi8EEEvPT0_PhPKT_PKiS9_iiiiiiiii
                                        ; -- End function
	.section	.AMDGPU.csdata,"",@progbits
; Kernel info:
; codeLenInByte = 2148
; NumSgprs: 58
; NumVgprs: 25
; NumAgprs: 0
; TotalNumVgprs: 25
; ScratchSize: 0
; MemoryBound: 0
; FloatMode: 240
; IeeeMode: 1
; LDSByteSize: 0 bytes/workgroup (compile time only)
; SGPRBlocks: 7
; VGPRBlocks: 3
; NumSGPRsForWavesPerEU: 58
; NumVGPRsForWavesPerEU: 25
; AccumOffset: 28
; Occupancy: 8
; WaveLimiterHint : 0
; COMPUTE_PGM_RSRC2:SCRATCH_EN: 0
; COMPUTE_PGM_RSRC2:USER_SGPR: 6
; COMPUTE_PGM_RSRC2:TRAP_HANDLER: 0
; COMPUTE_PGM_RSRC2:TGID_X_EN: 1
; COMPUTE_PGM_RSRC2:TGID_Y_EN: 0
; COMPUTE_PGM_RSRC2:TGID_Z_EN: 0
; COMPUTE_PGM_RSRC2:TIDIG_COMP_CNT: 0
; COMPUTE_PGM_RSRC3_GFX90A:ACCUM_OFFSET: 6
; COMPUTE_PGM_RSRC3_GFX90A:TG_SPLIT: 0
	.section	.text._ZN5aiter30fused_mx_quant_moe_sort_kernelIDF16_DB8_Li256ELi8EEEvPT0_PhPKT_PKiS9_iiiiiiiii,"axG",@progbits,_ZN5aiter30fused_mx_quant_moe_sort_kernelIDF16_DB8_Li256ELi8EEEvPT0_PhPKT_PKiS9_iiiiiiiii,comdat
	.protected	_ZN5aiter30fused_mx_quant_moe_sort_kernelIDF16_DB8_Li256ELi8EEEvPT0_PhPKT_PKiS9_iiiiiiiii ; -- Begin function _ZN5aiter30fused_mx_quant_moe_sort_kernelIDF16_DB8_Li256ELi8EEEvPT0_PhPKT_PKiS9_iiiiiiiii
	.globl	_ZN5aiter30fused_mx_quant_moe_sort_kernelIDF16_DB8_Li256ELi8EEEvPT0_PhPKT_PKiS9_iiiiiiiii
	.p2align	8
	.type	_ZN5aiter30fused_mx_quant_moe_sort_kernelIDF16_DB8_Li256ELi8EEEvPT0_PhPKT_PKiS9_iiiiiiiii,@function
_ZN5aiter30fused_mx_quant_moe_sort_kernelIDF16_DB8_Li256ELi8EEEvPT0_PhPKT_PKiS9_iiiiiiiii: ; @_ZN5aiter30fused_mx_quant_moe_sort_kernelIDF16_DB8_Li256ELi8EEEvPT0_PhPKT_PKiS9_iiiiiiiii
; %bb.0:
	s_load_dwordx8 s[8:15], s[4:5], 0x28
	s_waitcnt lgkmcnt(0)
	s_abs_i32 s0, s10
	v_cvt_f32_u32_e32 v1, s0
	s_cmp_ge_i32 s6, s13
	v_rcp_iflag_f32_e32 v1, v1
	v_mul_f32_e32 v1, 0x4f7ffffe, v1
	v_cvt_u32_f32_e32 v1, v1
	v_readfirstlane_b32 s1, v1
	s_cbranch_scc1 .LBB230_47
; %bb.1:
	s_sub_i32 s25, 0, s0
	s_mul_i32 s25, s25, s1
	s_ashr_i32 s24, s10, 31
	s_mul_hi_u32 s25, s1, s25
	s_add_i32 s1, s1, s25
	s_lshr_b32 s25, s24, 29
	s_load_dwordx8 s[16:23], s[4:5], 0x0
	s_load_dwordx2 s[2:3], s[4:5], 0x20
	s_load_dword s7, s[4:5], 0x48
	s_add_i32 s4, s9, s10
	s_add_i32 s10, s10, s25
	s_ashr_i32 s10, s10, 3
	v_cvt_f32_u32_e32 v1, s10
	s_add_i32 s4, s4, -1
	s_ashr_i32 s5, s4, 31
	s_abs_i32 s4, s4
	v_rcp_iflag_f32_e32 v1, v1
	s_mul_hi_u32 s1, s4, s1
	s_waitcnt lgkmcnt(0)
	s_load_dword s33, s[2:3], 0x0
	s_mul_i32 s3, s1, s0
	s_sub_i32 s3, s4, s3
	v_mul_f32_e32 v1, 0x4f7ffffe, v1
	s_sub_i32 s25, 0, s10
	s_xor_b32 s2, s5, s24
	s_add_i32 s4, s1, 1
	s_sub_i32 s5, s3, s0
	v_cvt_u32_f32_e32 v1, v1
	s_cmp_ge_u32 s3, s0
	s_cselect_b32 s1, s4, s1
	s_cselect_b32 s3, s5, s3
	s_add_i32 s4, s1, 1
	s_cmp_ge_u32 s3, s0
	v_mul_lo_u32 v2, s25, v1
	s_cselect_b32 s0, s4, s1
	v_mul_hi_u32 v2, v1, v2
	s_xor_b32 s0, s0, s2
	v_add_u32_e32 v1, v1, v2
	s_sub_i32 s2, s0, s2
	v_mul_hi_u32 v1, v0, v1
	s_add_i32 s0, s2, 7
	v_mul_lo_u32 v2, v1, s10
	s_ashr_i32 s1, s0, 31
	v_sub_u32_e32 v2, v0, v2
	s_lshr_b32 s1, s1, 29
	v_add_u32_e32 v3, 1, v1
	v_cmp_le_u32_e32 vcc, s10, v2
	s_add_i32 s0, s0, s1
	v_cndmask_b32_e32 v1, v1, v3, vcc
	v_subrev_u32_e32 v3, s10, v2
	s_lshl_b32 s0, s0, 5
	v_cndmask_b32_e32 v2, v2, v3, vcc
	s_and_b32 s44, s0, 0xffffff00
	v_add_u32_e32 v3, 1, v1
	v_cmp_le_u32_e32 vcc, s10, v2
	v_cndmask_b32_e32 v1, v1, v3, vcc
	v_and_b32_e32 v2, 63, v0
	s_cmp_gt_i32 s12, 0
	v_cmp_gt_i32_e64 s[0:1], s12, v2
	v_mul_lo_u32 v8, v2, s11
	s_cselect_b64 s[34:35], -1, 0
	s_cmp_eq_u32 s15, 1
	v_lshlrev_b32_e32 v2, 5, v1
	v_lshlrev_b32_e32 v3, 6, v1
	v_lshrrev_b32_e32 v4, 1, v1
	s_cselect_b64 s[36:37], -1, 0
	v_and_b32_e32 v2, 0x7f00, v2
	v_and_b32_e32 v3, 0xc0, v3
	v_and_b32_e32 v4, 2, v4
	s_abs_i32 s46, s11
	v_or3_b32 v11, v3, v2, v4
	v_cvt_f32_u32_e32 v2, s46
	s_add_i32 s4, s9, 3
	v_cmp_gt_i32_e32 vcc, s2, v1
	s_add_i32 s2, s9, 7
	v_rcp_iflag_f32_e32 v2, v2
	s_ashr_i32 s5, s4, 31
	s_ashr_i32 s3, s2, 31
	s_lshr_b32 s5, s5, 30
	v_mul_f32_e32 v2, 0x4f7ffffe, v2
	v_cvt_u32_f32_e32 v2, v2
	s_lshr_b32 s3, s3, 29
	s_add_i32 s4, s4, s5
	s_add_i32 s2, s2, s3
	s_and_b32 s30, s4, -4
	s_sub_i32 s4, 0, s46
	v_readfirstlane_b32 s5, v2
	s_ashr_i32 s2, s2, 3
	s_mul_i32 s4, s4, s5
	v_mul_lo_u32 v1, v1, s10
	v_lshlrev_b32_e32 v9, 3, v0
	v_lshlrev_b32_e32 v10, 4, v0
	v_cmp_gt_u32_e64 s[2:3], s2, v0
	s_mul_hi_u32 s4, s5, s4
	v_sub_u32_e32 v0, v0, v1
	s_mov_b32 s45, s9
	s_lshl_b32 s26, s9, 1
	s_add_i32 s9, s5, s4
	v_cmp_eq_u32_e64 s[4:5], 0, v0
	v_mbcnt_lo_u32_b32 v0, -1, 0
	v_mbcnt_hi_u32_b32 v0, -1, v0
	v_bfrev_b32_e32 v1, 0.5
	v_lshl_or_b32 v14, v0, 2, v1
	v_mov_b32_e32 v1, 0x7c
	s_and_b64 s[38:39], s[4:5], vcc
	s_mov_b32 s47, 0xffff
	s_mov_b32 s27, 0x20000
	;; [unrolled: 1-line block ×3, first 2 shown]
	s_movk_i32 s49, 0xff
	s_xor_b64 s[40:41], s[36:37], -1
	v_mov_b32_e32 v12, 0xc3e00000
	v_mov_b32_e32 v13, 0x43e00000
	s_mov_b32 s50, 0x5040100
	v_lshl_or_b32 v15, v0, 2, v1
	v_mov_b32_e32 v16, 4
                                        ; implicit-def: $vgpr17
	s_branch .LBB230_3
.LBB230_2:                              ;   in Loop: Header=BB230_3 Depth=1
	s_add_i32 s6, s6, s14
	s_cmp_lt_i32 s6, s13
	s_cselect_b64 s[4:5], -1, 0
	s_and_b64 s[4:5], s[42:43], s[4:5]
	s_and_b64 vcc, exec, s[4:5]
	s_cbranch_vccz .LBB230_47
.LBB230_3:                              ; =>This Loop Header: Depth=1
                                        ;     Child Loop BB230_13 Depth 2
	s_abs_i32 s4, s6
	s_mul_hi_u32 s5, s4, s9
	s_mul_i32 s5, s5, s46
	s_sub_i32 s4, s4, s5
	s_ashr_i32 s28, s6, 31
	s_sub_i32 s5, s4, s46
	s_cmp_ge_u32 s4, s46
	s_cselect_b32 s4, s5, s4
	s_sub_i32 s5, s4, s46
	s_cmp_ge_u32 s4, s46
	s_cselect_b32 s4, s5, s4
	s_xor_b32 s29, s4, s28
	s_sub_i32 s4, s29, s28
	s_sub_i32 s5, s6, s4
	s_mul_i32 s24, s5, s12
	s_add_i32 s24, s24, s4
	s_waitcnt lgkmcnt(0)
	s_cmp_lt_i32 s24, s33
	s_cselect_b64 s[42:43], -1, 0
	s_cmp_ge_i32 s24, s33
	s_cbranch_scc1 .LBB230_2
; %bb.4:                                ;   in Loop: Header=BB230_3 Depth=1
	s_and_saveexec_b64 s[4:5], s[0:1]
	s_cbranch_execz .LBB230_8
; %bb.5:                                ;   in Loop: Header=BB230_3 Depth=1
	v_add_u32_e32 v0, s24, v8
	v_cmp_gt_i32_e32 vcc, s33, v0
	s_waitcnt vmcnt(0)
	v_mov_b32_e32 v17, s8
	s_and_saveexec_b64 s[24:25], vcc
	s_cbranch_execz .LBB230_7
; %bb.6:                                ;   in Loop: Header=BB230_3 Depth=1
	v_ashrrev_i32_e32 v1, 31, v0
	v_lshlrev_b64 v[0:1], 2, v[0:1]
	v_mov_b32_e32 v2, s23
	v_add_co_u32_e32 v0, vcc, s22, v0
	v_addc_co_u32_e32 v1, vcc, v2, v1, vcc
	global_load_dword v17, v[0:1], off
.LBB230_7:                              ;   in Loop: Header=BB230_3 Depth=1
	s_or_b64 exec, exec, s[24:25]
.LBB230_8:                              ;   in Loop: Header=BB230_3 Depth=1
	s_or_b64 exec, exec, s[4:5]
	s_andn2_b64 vcc, exec, s[34:35]
	s_cbranch_vccnz .LBB230_2
; %bb.9:                                ;   in Loop: Header=BB230_3 Depth=1
	s_add_i32 s4, s6, s28
	s_sub_i32 s4, s4, s29
	s_mul_i32 s4, s12, s4
	s_add_i32 s29, s29, s4
	s_waitcnt vmcnt(0)
	v_and_b32_e32 v18, 0xffffff, v17
	v_ashrrev_i32_e32 v19, 24, v17
	s_sub_i32 s51, s29, s28
	s_mov_b32 s52, 0
	s_branch .LBB230_13
.LBB230_10:                             ;   in Loop: Header=BB230_13 Depth=2
	s_or_b64 exec, exec, s[4:5]
.LBB230_11:                             ;   in Loop: Header=BB230_13 Depth=2
	s_add_i32 s52, s52, 1
	s_add_i32 s51, s51, s11
	s_cmp_eq_u32 s12, s52
	s_cselect_b64 s[4:5], -1, 0
.LBB230_12:                             ;   in Loop: Header=BB230_13 Depth=2
	s_and_b64 vcc, exec, s[4:5]
	s_cbranch_vccnz .LBB230_2
.LBB230_13:                             ;   Parent Loop BB230_3 Depth=1
                                        ; =>  This Inner Loop Header: Depth=2
	v_readlane_b32 s24, v18, s52
	v_readlane_b32 s29, v19, s52
	s_cmp_ge_i32 s24, s8
	s_mov_b64 s[4:5], -1
	s_cbranch_scc1 .LBB230_12
; %bb.14:                               ;   in Loop: Header=BB230_13 Depth=2
	s_mul_i32 s4, s24, s15
	s_add_i32 s25, s4, s29
	s_and_b64 s[4:5], s[36:37], exec
	s_cselect_b32 s28, s24, s25
	s_mul_hi_i32 s5, s28, s7
	s_mul_i32 s4, s28, s7
	s_lshl_b64 s[4:5], s[4:5], 1
	s_add_u32 s24, s20, s4
	s_addc_u32 s4, s21, s5
	s_and_b32 s25, s4, 0xffff
	buffer_load_dwordx4 v[20:23], v10, s[24:27], 0 offen
	s_cmp_lt_i32 s10, 16
	s_waitcnt vmcnt(0)
	v_cvt_f32_f16_e32 v6, v20
	v_cvt_f32_f16_sdwa v7, v20 dst_sel:DWORD dst_unused:UNUSED_PAD src0_sel:WORD_1
	v_cvt_f32_f16_e32 v4, v21
	v_cvt_f32_f16_sdwa v5, v21 dst_sel:DWORD dst_unused:UNUSED_PAD src0_sel:WORD_1
	;; [unrolled: 2-line block ×4, first 2 shown]
	v_max3_f32 v20, |v6|, s48, |v7|
	v_max3_f32 v20, v20, |v4|, |v5|
	v_max3_f32 v20, v20, |v2|, |v3|
	v_max3_f32 v20, v20, |v0|, |v1|
	s_cbranch_scc1 .LBB230_20
; %bb.15:                               ;   in Loop: Header=BB230_13 Depth=2
	s_cmp_lt_i32 s10, 32
	s_cbranch_scc1 .LBB230_21
; %bb.16:                               ;   in Loop: Header=BB230_13 Depth=2
	s_cmp_lt_i32 s10, 64
	s_cbranch_scc1 .LBB230_22
; %bb.17:                               ;   in Loop: Header=BB230_13 Depth=2
	s_cmp_eq_u32 s10, 64
	v_mov_b32_e32 v21, v20
	s_cbranch_scc0 .LBB230_19
; %bb.18:                               ;   in Loop: Header=BB230_13 Depth=2
	s_nop 0
	v_mov_b32_dpp v21, v20 quad_perm:[1,0,3,2] row_mask:0xf bank_mask:0xf
	v_cmp_gt_f32_e32 vcc, v20, v21
	v_cndmask_b32_e32 v21, v21, v20, vcc
	s_nop 1
	v_mov_b32_dpp v22, v21 quad_perm:[2,3,0,1] row_mask:0xf bank_mask:0xf
	v_cmp_gt_f32_e32 vcc, v21, v22
	v_cndmask_b32_e32 v21, v22, v21, vcc
	s_nop 1
	v_mov_b32_dpp v22, v21 row_ror:4 row_mask:0xf bank_mask:0xf
	v_cmp_gt_f32_e32 vcc, v21, v22
	v_cndmask_b32_e32 v21, v22, v21, vcc
	s_nop 1
	v_mov_b32_dpp v22, v21 row_ror:8 row_mask:0xf bank_mask:0xf
	v_cmp_gt_f32_e32 vcc, v21, v22
	v_cndmask_b32_e32 v21, v22, v21, vcc
	s_nop 1
	v_mov_b32_dpp v22, v21 row_bcast:15 row_mask:0xf bank_mask:0xf
	v_cmp_gt_f32_e32 vcc, v21, v22
	v_cndmask_b32_e32 v21, v22, v21, vcc
	s_nop 1
	v_mov_b32_dpp v22, v21 row_bcast:31 row_mask:0xf bank_mask:0xf
	v_cmp_gt_f32_e32 vcc, v21, v22
	v_cndmask_b32_e32 v21, v22, v21, vcc
	ds_bpermute_b32 v21, v14, v21
.LBB230_19:                             ;   in Loop: Header=BB230_13 Depth=2
	s_cbranch_execz .LBB230_23
	s_branch .LBB230_25
.LBB230_20:                             ;   in Loop: Header=BB230_13 Depth=2
                                        ; implicit-def: $vgpr21
	s_branch .LBB230_29
.LBB230_21:                             ;   in Loop: Header=BB230_13 Depth=2
                                        ; implicit-def: $vgpr21
	s_branch .LBB230_26
.LBB230_22:                             ;   in Loop: Header=BB230_13 Depth=2
                                        ; implicit-def: $vgpr21
.LBB230_23:                             ;   in Loop: Header=BB230_13 Depth=2
	s_cmp_eq_u32 s10, 32
	s_waitcnt lgkmcnt(0)
	v_mov_b32_e32 v21, v20
	s_cbranch_scc0 .LBB230_25
; %bb.24:                               ;   in Loop: Header=BB230_13 Depth=2
	s_nop 0
	v_mov_b32_dpp v21, v20 quad_perm:[1,0,3,2] row_mask:0xf bank_mask:0xf
	v_cmp_gt_f32_e32 vcc, v20, v21
	v_cndmask_b32_e32 v21, v21, v20, vcc
	s_nop 1
	v_mov_b32_dpp v22, v21 quad_perm:[2,3,0,1] row_mask:0xf bank_mask:0xf
	v_cmp_gt_f32_e32 vcc, v21, v22
	v_cndmask_b32_e32 v21, v22, v21, vcc
	s_nop 1
	v_mov_b32_dpp v22, v21 row_half_mirror row_mask:0xf bank_mask:0xf
	v_cmp_gt_f32_e32 vcc, v21, v22
	v_cndmask_b32_e32 v21, v22, v21, vcc
	s_nop 1
	v_mov_b32_dpp v22, v21 row_mirror row_mask:0xf bank_mask:0xf
	v_cmp_gt_f32_e32 vcc, v21, v22
	v_cndmask_b32_e32 v21, v22, v21, vcc
	s_nop 1
	v_mov_b32_dpp v22, v21 row_bcast:15 row_mask:0xa bank_mask:0xf
	v_cmp_gt_f32_e32 vcc, v21, v22
	v_cndmask_b32_e32 v21, v22, v21, vcc
	ds_bpermute_b32 v21, v15, v21
.LBB230_25:                             ;   in Loop: Header=BB230_13 Depth=2
	s_cbranch_execnz .LBB230_28
.LBB230_26:                             ;   in Loop: Header=BB230_13 Depth=2
	s_cmp_eq_u32 s10, 16
	s_waitcnt lgkmcnt(0)
	v_mov_b32_e32 v21, v20
	s_cbranch_scc0 .LBB230_28
; %bb.27:                               ;   in Loop: Header=BB230_13 Depth=2
	s_nop 0
	v_mov_b32_dpp v21, v20 quad_perm:[1,0,3,2] row_mask:0xf bank_mask:0xf
	v_cmp_gt_f32_e32 vcc, v20, v21
	v_cndmask_b32_e32 v21, v21, v20, vcc
	s_nop 1
	v_mov_b32_dpp v22, v21 quad_perm:[2,3,0,1] row_mask:0xf bank_mask:0xf
	v_cmp_gt_f32_e32 vcc, v21, v22
	v_cndmask_b32_e32 v21, v22, v21, vcc
	s_nop 1
	v_mov_b32_dpp v22, v21 row_half_mirror row_mask:0xf bank_mask:0xf
	v_cmp_gt_f32_e32 vcc, v21, v22
	v_cndmask_b32_e32 v21, v22, v21, vcc
	s_nop 1
	v_mov_b32_dpp v22, v21 row_mirror row_mask:0xf bank_mask:0xf
	v_cmp_gt_f32_e32 vcc, v21, v22
	v_cndmask_b32_e32 v21, v22, v21, vcc
.LBB230_28:                             ;   in Loop: Header=BB230_13 Depth=2
	s_cbranch_execnz .LBB230_42
.LBB230_29:                             ;   in Loop: Header=BB230_13 Depth=2
	s_cmp_lt_i32 s10, 4
	s_cbranch_scc1 .LBB230_33
; %bb.30:                               ;   in Loop: Header=BB230_13 Depth=2
	s_cmp_lt_i32 s10, 8
	s_cbranch_scc1 .LBB230_34
; %bb.31:                               ;   in Loop: Header=BB230_13 Depth=2
	s_cmp_eq_u32 s10, 8
	s_waitcnt lgkmcnt(0)
	v_mov_b32_e32 v21, v20
	s_cbranch_scc0 .LBB230_35
; %bb.32:                               ;   in Loop: Header=BB230_13 Depth=2
	s_nop 0
	v_mov_b32_dpp v21, v20 quad_perm:[1,0,3,2] row_mask:0xf bank_mask:0xf
	v_cmp_gt_f32_e32 vcc, v20, v21
	v_cndmask_b32_e32 v21, v21, v20, vcc
	s_nop 1
	v_mov_b32_dpp v22, v21 quad_perm:[2,3,0,1] row_mask:0xf bank_mask:0xf
	v_cmp_gt_f32_e32 vcc, v21, v22
	v_cndmask_b32_e32 v21, v22, v21, vcc
	s_nop 1
	v_mov_b32_dpp v22, v21 row_half_mirror row_mask:0xf bank_mask:0xf
	v_cmp_gt_f32_e32 vcc, v21, v22
	v_cndmask_b32_e32 v21, v22, v21, vcc
	s_cbranch_execz .LBB230_36
	s_branch .LBB230_38
.LBB230_33:                             ;   in Loop: Header=BB230_13 Depth=2
                                        ; implicit-def: $vgpr21
	s_branch .LBB230_39
.LBB230_34:                             ;   in Loop: Header=BB230_13 Depth=2
                                        ; implicit-def: $vgpr21
	s_branch .LBB230_36
.LBB230_35:                             ;   in Loop: Header=BB230_13 Depth=2
	s_cbranch_execnz .LBB230_38
.LBB230_36:                             ;   in Loop: Header=BB230_13 Depth=2
	s_cmp_eq_u32 s10, 4
	s_waitcnt lgkmcnt(0)
	v_mov_b32_e32 v21, v20
	s_cbranch_scc0 .LBB230_38
; %bb.37:                               ;   in Loop: Header=BB230_13 Depth=2
	s_nop 0
	v_mov_b32_dpp v21, v20 quad_perm:[1,0,3,2] row_mask:0xf bank_mask:0xf
	v_cmp_gt_f32_e32 vcc, v20, v21
	v_cndmask_b32_e32 v21, v21, v20, vcc
	s_nop 1
	v_mov_b32_dpp v22, v21 quad_perm:[2,3,0,1] row_mask:0xf bank_mask:0xf
	v_cmp_gt_f32_e32 vcc, v21, v22
	v_cndmask_b32_e32 v21, v22, v21, vcc
.LBB230_38:                             ;   in Loop: Header=BB230_13 Depth=2
	s_cbranch_execnz .LBB230_42
.LBB230_39:                             ;   in Loop: Header=BB230_13 Depth=2
	s_cmp_lg_u32 s10, 2
	s_cbranch_scc1 .LBB230_41
; %bb.40:                               ;   in Loop: Header=BB230_13 Depth=2
	s_waitcnt lgkmcnt(0)
	v_mov_b32_dpp v21, v20 quad_perm:[1,0,3,2] row_mask:0xf bank_mask:0xf
	v_cmp_gt_f32_e32 vcc, v20, v21
	v_cndmask_b32_e32 v20, v21, v20, vcc
.LBB230_41:                             ;   in Loop: Header=BB230_13 Depth=2
	s_waitcnt lgkmcnt(0)
	v_mov_b32_e32 v21, v20
.LBB230_42:                             ;   in Loop: Header=BB230_13 Depth=2
	s_waitcnt lgkmcnt(0)
	v_mul_f32_e32 v20, 0x3b124925, v21
	v_bfe_u32 v21, v20, 23, 8
	v_and_b32_e32 v20, 0x7fffff, v20
	v_cmp_ne_u32_e32 vcc, s49, v21
	v_cmp_ne_u32_e64 s[4:5], 0, v20
	s_and_b64 vcc, s[4:5], vcc
	v_addc_co_u32_e32 v20, vcc, 0, v21, vcc
	s_and_saveexec_b64 s[4:5], s[38:39]
	s_cbranch_execz .LBB230_44
; %bb.43:                               ;   in Loop: Header=BB230_13 Depth=2
	s_ashr_i32 s24, s51, 31
	s_lshr_b32 s25, s24, 27
	s_add_i32 s25, s51, s25
	s_ashr_i32 s31, s25, 5
	s_and_b32 s25, s25, 0xffe0
	s_sub_i32 s25, s51, s25
	s_lshr_b32 s24, s24, 28
	s_bfe_i32 s53, s25, 0x80000
	s_add_i32 s24, s51, s24
	v_lshrrev_b16_e64 v21, 11, s53
	s_and_b32 s24, s24, 0x3ffffff0
	v_and_b32_e32 v21, 15, v21
	s_sub_i32 s24, s51, s24
	v_add_u16_e32 v21, s25, v21
	s_lshl_b32 s24, s24, 2
	v_ashrrev_i16_sdwa v21, v16, sext(v21) dst_sel:DWORD dst_unused:UNUSED_PAD src0_sel:DWORD src1_sel:BYTE_0
	s_mul_i32 s31, s44, s31
	v_add_u32_sdwa v21, sext(v21), s24 dst_sel:DWORD dst_unused:UNUSED_PAD src0_sel:WORD_0 src1_sel:DWORD
	v_add_u32_e32 v21, s31, v21
	v_add_u32_e32 v21, v21, v11
	v_ashrrev_i32_e32 v23, 31, v21
	v_mov_b32_e32 v24, s19
	v_add_co_u32_e32 v22, vcc, s18, v21
	v_addc_co_u32_e32 v23, vcc, v24, v23, vcc
	global_store_byte v[22:23], v20, off
.LBB230_44:                             ;   in Loop: Header=BB230_13 Depth=2
	s_or_b64 exec, exec, s[4:5]
	s_cmp_ge_i32 s29, s15
	s_cselect_b64 s[4:5], -1, 0
	s_and_b64 s[4:5], s[40:41], s[4:5]
	s_and_b64 vcc, exec, s[4:5]
	s_cbranch_vccnz .LBB230_11
; %bb.45:                               ;   in Loop: Header=BB230_13 Depth=2
	s_and_saveexec_b64 s[4:5], s[2:3]
	s_cbranch_execz .LBB230_10
; %bb.46:                               ;   in Loop: Header=BB230_13 Depth=2
	v_lshlrev_b32_e32 v20, 23, v20
	v_rcp_f32_e32 v20, v20
	s_mul_hi_i32 s24, s28, s45
	s_mul_i32 s28, s28, s45
	s_add_u32 s28, s16, s28
	v_mov_b32_e32 v21, v20
	;;#ASMSTART
	v_pk_mul_f32 v[6:7], v[6:7], v[20:21]
	;;#ASMEND
	;;#ASMSTART
	v_med3_f32 v6, v6, v12, v13
v_med3_f32 v7, v7, v12, v13
v_cvt_pk_fp8_f32 v22, v6, v7
	;;#ASMEND
	;;#ASMSTART
	v_pk_mul_f32 v[4:5], v[4:5], v[20:21]
	;;#ASMEND
	;;#ASMSTART
	v_med3_f32 v4, v4, v12, v13
v_med3_f32 v5, v5, v12, v13
v_cvt_pk_fp8_f32 v6, v4, v5
	;;#ASMEND
	v_perm_b32 v5, v6, v22, s50
	v_and_b32_e32 v4, 0xffffff00, v6
	v_and_b32_sdwa v6, v5, s49 dst_sel:DWORD dst_unused:UNUSED_PAD src0_sel:WORD_1 src1_sel:DWORD
	v_or_b32_sdwa v4, v6, v4 dst_sel:WORD_1 dst_unused:UNUSED_PAD src0_sel:DWORD src1_sel:DWORD
	;;#ASMSTART
	v_pk_mul_f32 v[2:3], v[2:3], v[20:21]
	;;#ASMEND
	v_and_or_b32 v4, v5, s47, v4
	;;#ASMSTART
	v_med3_f32 v2, v2, v12, v13
v_med3_f32 v3, v3, v12, v13
v_cvt_pk_fp8_f32 v5, v2, v3
	;;#ASMEND
	;;#ASMSTART
	v_pk_mul_f32 v[0:1], v[0:1], v[20:21]
	;;#ASMEND
	;;#ASMSTART
	v_med3_f32 v0, v0, v12, v13
v_med3_f32 v1, v1, v12, v13
v_cvt_pk_fp8_f32 v2, v0, v1
	;;#ASMEND
	s_addc_u32 s24, s17, s24
	v_lshlrev_b32_e32 v0, 16, v2
	s_and_b32 s29, s24, 0xffff
	s_mov_b32 s31, s27
	v_and_or_b32 v5, v5, s47, v0
	buffer_store_dwordx2 v[4:5], v9, s[28:31], 0 offen
	;;#ASMSTART
	s_nop 0
	;;#ASMEND
	s_branch .LBB230_10
.LBB230_47:
	s_endpgm
	.section	.rodata,"a",@progbits
	.p2align	6, 0x0
	.amdhsa_kernel _ZN5aiter30fused_mx_quant_moe_sort_kernelIDF16_DB8_Li256ELi8EEEvPT0_PhPKT_PKiS9_iiiiiiiii
		.amdhsa_group_segment_fixed_size 0
		.amdhsa_private_segment_fixed_size 0
		.amdhsa_kernarg_size 76
		.amdhsa_user_sgpr_count 6
		.amdhsa_user_sgpr_private_segment_buffer 1
		.amdhsa_user_sgpr_dispatch_ptr 0
		.amdhsa_user_sgpr_queue_ptr 0
		.amdhsa_user_sgpr_kernarg_segment_ptr 1
		.amdhsa_user_sgpr_dispatch_id 0
		.amdhsa_user_sgpr_flat_scratch_init 0
		.amdhsa_user_sgpr_kernarg_preload_length 0
		.amdhsa_user_sgpr_kernarg_preload_offset 0
		.amdhsa_user_sgpr_private_segment_size 0
		.amdhsa_uses_dynamic_stack 0
		.amdhsa_system_sgpr_private_segment_wavefront_offset 0
		.amdhsa_system_sgpr_workgroup_id_x 1
		.amdhsa_system_sgpr_workgroup_id_y 0
		.amdhsa_system_sgpr_workgroup_id_z 0
		.amdhsa_system_sgpr_workgroup_info 0
		.amdhsa_system_vgpr_workitem_id 0
		.amdhsa_next_free_vgpr 25
		.amdhsa_next_free_sgpr 54
		.amdhsa_accum_offset 28
		.amdhsa_reserve_vcc 1
		.amdhsa_reserve_flat_scratch 0
		.amdhsa_float_round_mode_32 0
		.amdhsa_float_round_mode_16_64 0
		.amdhsa_float_denorm_mode_32 3
		.amdhsa_float_denorm_mode_16_64 3
		.amdhsa_dx10_clamp 1
		.amdhsa_ieee_mode 1
		.amdhsa_fp16_overflow 0
		.amdhsa_tg_split 0
		.amdhsa_exception_fp_ieee_invalid_op 0
		.amdhsa_exception_fp_denorm_src 0
		.amdhsa_exception_fp_ieee_div_zero 0
		.amdhsa_exception_fp_ieee_overflow 0
		.amdhsa_exception_fp_ieee_underflow 0
		.amdhsa_exception_fp_ieee_inexact 0
		.amdhsa_exception_int_div_zero 0
	.end_amdhsa_kernel
	.section	.text._ZN5aiter30fused_mx_quant_moe_sort_kernelIDF16_DB8_Li256ELi8EEEvPT0_PhPKT_PKiS9_iiiiiiiii,"axG",@progbits,_ZN5aiter30fused_mx_quant_moe_sort_kernelIDF16_DB8_Li256ELi8EEEvPT0_PhPKT_PKiS9_iiiiiiiii,comdat
.Lfunc_end230:
	.size	_ZN5aiter30fused_mx_quant_moe_sort_kernelIDF16_DB8_Li256ELi8EEEvPT0_PhPKT_PKiS9_iiiiiiiii, .Lfunc_end230-_ZN5aiter30fused_mx_quant_moe_sort_kernelIDF16_DB8_Li256ELi8EEEvPT0_PhPKT_PKiS9_iiiiiiiii
                                        ; -- End function
	.section	.AMDGPU.csdata,"",@progbits
; Kernel info:
; codeLenInByte = 2132
; NumSgprs: 58
; NumVgprs: 25
; NumAgprs: 0
; TotalNumVgprs: 25
; ScratchSize: 0
; MemoryBound: 0
; FloatMode: 240
; IeeeMode: 1
; LDSByteSize: 0 bytes/workgroup (compile time only)
; SGPRBlocks: 7
; VGPRBlocks: 3
; NumSGPRsForWavesPerEU: 58
; NumVGPRsForWavesPerEU: 25
; AccumOffset: 28
; Occupancy: 8
; WaveLimiterHint : 0
; COMPUTE_PGM_RSRC2:SCRATCH_EN: 0
; COMPUTE_PGM_RSRC2:USER_SGPR: 6
; COMPUTE_PGM_RSRC2:TRAP_HANDLER: 0
; COMPUTE_PGM_RSRC2:TGID_X_EN: 1
; COMPUTE_PGM_RSRC2:TGID_Y_EN: 0
; COMPUTE_PGM_RSRC2:TGID_Z_EN: 0
; COMPUTE_PGM_RSRC2:TIDIG_COMP_CNT: 0
; COMPUTE_PGM_RSRC3_GFX90A:ACCUM_OFFSET: 6
; COMPUTE_PGM_RSRC3_GFX90A:TG_SPLIT: 0
	.section	.text._ZN5aiter30fused_mx_quant_moe_sort_kernelItDB8_Li256ELi8EEEvPT0_PhPKT_PKiS9_iiiiiiiii,"axG",@progbits,_ZN5aiter30fused_mx_quant_moe_sort_kernelItDB8_Li256ELi8EEEvPT0_PhPKT_PKiS9_iiiiiiiii,comdat
	.protected	_ZN5aiter30fused_mx_quant_moe_sort_kernelItDB8_Li256ELi8EEEvPT0_PhPKT_PKiS9_iiiiiiiii ; -- Begin function _ZN5aiter30fused_mx_quant_moe_sort_kernelItDB8_Li256ELi8EEEvPT0_PhPKT_PKiS9_iiiiiiiii
	.globl	_ZN5aiter30fused_mx_quant_moe_sort_kernelItDB8_Li256ELi8EEEvPT0_PhPKT_PKiS9_iiiiiiiii
	.p2align	8
	.type	_ZN5aiter30fused_mx_quant_moe_sort_kernelItDB8_Li256ELi8EEEvPT0_PhPKT_PKiS9_iiiiiiiii,@function
_ZN5aiter30fused_mx_quant_moe_sort_kernelItDB8_Li256ELi8EEEvPT0_PhPKT_PKiS9_iiiiiiiii: ; @_ZN5aiter30fused_mx_quant_moe_sort_kernelItDB8_Li256ELi8EEEvPT0_PhPKT_PKiS9_iiiiiiiii
; %bb.0:
	s_load_dwordx8 s[8:15], s[4:5], 0x28
	s_waitcnt lgkmcnt(0)
	s_abs_i32 s0, s10
	v_cvt_f32_u32_e32 v1, s0
	s_cmp_ge_i32 s6, s13
	v_rcp_iflag_f32_e32 v1, v1
	v_mul_f32_e32 v1, 0x4f7ffffe, v1
	v_cvt_u32_f32_e32 v1, v1
	v_readfirstlane_b32 s1, v1
	s_cbranch_scc1 .LBB231_47
; %bb.1:
	s_sub_i32 s25, 0, s0
	s_mul_i32 s25, s25, s1
	s_ashr_i32 s24, s10, 31
	s_mul_hi_u32 s25, s1, s25
	s_add_i32 s1, s1, s25
	s_lshr_b32 s25, s24, 29
	s_load_dwordx8 s[16:23], s[4:5], 0x0
	s_load_dwordx2 s[2:3], s[4:5], 0x20
	s_load_dword s7, s[4:5], 0x48
	s_add_i32 s4, s9, s10
	s_add_i32 s10, s10, s25
	s_ashr_i32 s10, s10, 3
	v_cvt_f32_u32_e32 v1, s10
	s_add_i32 s4, s4, -1
	s_ashr_i32 s5, s4, 31
	s_abs_i32 s4, s4
	v_rcp_iflag_f32_e32 v1, v1
	s_mul_hi_u32 s1, s4, s1
	s_waitcnt lgkmcnt(0)
	s_load_dword s33, s[2:3], 0x0
	s_mul_i32 s3, s1, s0
	s_sub_i32 s3, s4, s3
	v_mul_f32_e32 v1, 0x4f7ffffe, v1
	s_sub_i32 s25, 0, s10
	s_xor_b32 s2, s5, s24
	s_add_i32 s4, s1, 1
	s_sub_i32 s5, s3, s0
	v_cvt_u32_f32_e32 v1, v1
	s_cmp_ge_u32 s3, s0
	s_cselect_b32 s1, s4, s1
	s_cselect_b32 s3, s5, s3
	s_add_i32 s4, s1, 1
	s_cmp_ge_u32 s3, s0
	v_mul_lo_u32 v2, s25, v1
	s_cselect_b32 s0, s4, s1
	v_mul_hi_u32 v2, v1, v2
	s_xor_b32 s0, s0, s2
	v_add_u32_e32 v1, v1, v2
	s_sub_i32 s2, s0, s2
	v_mul_hi_u32 v1, v0, v1
	s_add_i32 s0, s2, 7
	v_mul_lo_u32 v2, v1, s10
	s_ashr_i32 s1, s0, 31
	v_sub_u32_e32 v2, v0, v2
	s_lshr_b32 s1, s1, 29
	v_add_u32_e32 v3, 1, v1
	v_cmp_le_u32_e32 vcc, s10, v2
	s_add_i32 s0, s0, s1
	v_cndmask_b32_e32 v1, v1, v3, vcc
	v_subrev_u32_e32 v3, s10, v2
	s_lshl_b32 s0, s0, 5
	v_cndmask_b32_e32 v2, v2, v3, vcc
	s_and_b32 s44, s0, 0xffffff00
	v_add_u32_e32 v3, 1, v1
	v_cmp_le_u32_e32 vcc, s10, v2
	v_cndmask_b32_e32 v1, v1, v3, vcc
	v_and_b32_e32 v2, 63, v0
	s_cmp_gt_i32 s12, 0
	v_cmp_gt_i32_e64 s[0:1], s12, v2
	v_mul_lo_u32 v8, v2, s11
	s_cselect_b64 s[34:35], -1, 0
	s_cmp_eq_u32 s15, 1
	v_lshlrev_b32_e32 v2, 5, v1
	v_lshlrev_b32_e32 v3, 6, v1
	v_lshrrev_b32_e32 v4, 1, v1
	s_cselect_b64 s[36:37], -1, 0
	v_and_b32_e32 v2, 0x7f00, v2
	v_and_b32_e32 v3, 0xc0, v3
	;; [unrolled: 1-line block ×3, first 2 shown]
	s_abs_i32 s46, s11
	v_or3_b32 v11, v3, v2, v4
	v_cvt_f32_u32_e32 v2, s46
	s_add_i32 s4, s9, 3
	v_cmp_gt_i32_e32 vcc, s2, v1
	s_add_i32 s2, s9, 7
	v_rcp_iflag_f32_e32 v2, v2
	s_ashr_i32 s5, s4, 31
	s_ashr_i32 s3, s2, 31
	s_lshr_b32 s5, s5, 30
	v_mul_f32_e32 v2, 0x4f7ffffe, v2
	v_cvt_u32_f32_e32 v2, v2
	s_lshr_b32 s3, s3, 29
	s_add_i32 s4, s4, s5
	s_add_i32 s2, s2, s3
	s_and_b32 s30, s4, -4
	s_sub_i32 s4, 0, s46
	v_readfirstlane_b32 s5, v2
	s_ashr_i32 s2, s2, 3
	s_mul_i32 s4, s4, s5
	v_mul_lo_u32 v1, v1, s10
	v_lshlrev_b32_e32 v9, 3, v0
	v_lshlrev_b32_e32 v10, 4, v0
	v_cmp_gt_u32_e64 s[2:3], s2, v0
	s_mul_hi_u32 s4, s5, s4
	v_sub_u32_e32 v0, v0, v1
	s_mov_b32 s45, s9
	s_lshl_b32 s26, s9, 1
	s_add_i32 s9, s5, s4
	v_cmp_eq_u32_e64 s[4:5], 0, v0
	v_mbcnt_lo_u32_b32 v0, -1, 0
	v_mbcnt_hi_u32_b32 v0, -1, v0
	v_bfrev_b32_e32 v1, 0.5
	v_lshl_or_b32 v14, v0, 2, v1
	v_mov_b32_e32 v1, 0x7c
	s_and_b64 s[38:39], s[4:5], vcc
	s_mov_b32 s47, 0xffff
	s_mov_b32 s27, 0x20000
	;; [unrolled: 1-line block ×3, first 2 shown]
	s_movk_i32 s49, 0xff
	s_xor_b64 s[40:41], s[36:37], -1
	v_mov_b32_e32 v12, 0xc3e00000
	v_mov_b32_e32 v13, 0x43e00000
	s_mov_b32 s50, 0x5040100
	v_lshl_or_b32 v15, v0, 2, v1
	v_mov_b32_e32 v16, 4
                                        ; implicit-def: $vgpr17
	s_branch .LBB231_3
.LBB231_2:                              ;   in Loop: Header=BB231_3 Depth=1
	s_add_i32 s6, s6, s14
	s_cmp_lt_i32 s6, s13
	s_cselect_b64 s[4:5], -1, 0
	s_and_b64 s[4:5], s[42:43], s[4:5]
	s_and_b64 vcc, exec, s[4:5]
	s_cbranch_vccz .LBB231_47
.LBB231_3:                              ; =>This Loop Header: Depth=1
                                        ;     Child Loop BB231_13 Depth 2
	s_abs_i32 s4, s6
	s_mul_hi_u32 s5, s4, s9
	s_mul_i32 s5, s5, s46
	s_sub_i32 s4, s4, s5
	s_ashr_i32 s28, s6, 31
	s_sub_i32 s5, s4, s46
	s_cmp_ge_u32 s4, s46
	s_cselect_b32 s4, s5, s4
	s_sub_i32 s5, s4, s46
	s_cmp_ge_u32 s4, s46
	s_cselect_b32 s4, s5, s4
	s_xor_b32 s29, s4, s28
	s_sub_i32 s4, s29, s28
	s_sub_i32 s5, s6, s4
	s_mul_i32 s24, s5, s12
	s_add_i32 s24, s24, s4
	s_waitcnt lgkmcnt(0)
	s_cmp_lt_i32 s24, s33
	s_cselect_b64 s[42:43], -1, 0
	s_cmp_ge_i32 s24, s33
	s_cbranch_scc1 .LBB231_2
; %bb.4:                                ;   in Loop: Header=BB231_3 Depth=1
	s_and_saveexec_b64 s[4:5], s[0:1]
	s_cbranch_execz .LBB231_8
; %bb.5:                                ;   in Loop: Header=BB231_3 Depth=1
	v_add_u32_e32 v0, s24, v8
	v_cmp_gt_i32_e32 vcc, s33, v0
	s_waitcnt vmcnt(0)
	v_mov_b32_e32 v17, s8
	s_and_saveexec_b64 s[24:25], vcc
	s_cbranch_execz .LBB231_7
; %bb.6:                                ;   in Loop: Header=BB231_3 Depth=1
	v_ashrrev_i32_e32 v1, 31, v0
	v_lshlrev_b64 v[0:1], 2, v[0:1]
	v_mov_b32_e32 v2, s23
	v_add_co_u32_e32 v0, vcc, s22, v0
	v_addc_co_u32_e32 v1, vcc, v2, v1, vcc
	global_load_dword v17, v[0:1], off
.LBB231_7:                              ;   in Loop: Header=BB231_3 Depth=1
	s_or_b64 exec, exec, s[24:25]
.LBB231_8:                              ;   in Loop: Header=BB231_3 Depth=1
	s_or_b64 exec, exec, s[4:5]
	s_andn2_b64 vcc, exec, s[34:35]
	s_cbranch_vccnz .LBB231_2
; %bb.9:                                ;   in Loop: Header=BB231_3 Depth=1
	s_add_i32 s4, s6, s28
	s_sub_i32 s4, s4, s29
	s_mul_i32 s4, s12, s4
	s_add_i32 s29, s29, s4
	s_waitcnt vmcnt(0)
	v_and_b32_e32 v18, 0xffffff, v17
	v_ashrrev_i32_e32 v19, 24, v17
	s_sub_i32 s51, s29, s28
	s_mov_b32 s52, 0
	s_branch .LBB231_13
.LBB231_10:                             ;   in Loop: Header=BB231_13 Depth=2
	s_or_b64 exec, exec, s[4:5]
.LBB231_11:                             ;   in Loop: Header=BB231_13 Depth=2
	s_add_i32 s52, s52, 1
	s_add_i32 s51, s51, s11
	s_cmp_eq_u32 s12, s52
	s_cselect_b64 s[4:5], -1, 0
.LBB231_12:                             ;   in Loop: Header=BB231_13 Depth=2
	s_and_b64 vcc, exec, s[4:5]
	s_cbranch_vccnz .LBB231_2
.LBB231_13:                             ;   Parent Loop BB231_3 Depth=1
                                        ; =>  This Inner Loop Header: Depth=2
	v_readlane_b32 s24, v18, s52
	v_readlane_b32 s29, v19, s52
	s_cmp_ge_i32 s24, s8
	s_mov_b64 s[4:5], -1
	s_cbranch_scc1 .LBB231_12
; %bb.14:                               ;   in Loop: Header=BB231_13 Depth=2
	s_mul_i32 s4, s24, s15
	s_add_i32 s25, s4, s29
	s_and_b64 s[4:5], s[36:37], exec
	s_cselect_b32 s28, s24, s25
	s_mul_hi_i32 s5, s28, s7
	s_mul_i32 s4, s28, s7
	s_lshl_b64 s[4:5], s[4:5], 1
	s_add_u32 s24, s20, s4
	s_addc_u32 s4, s21, s5
	s_and_b32 s25, s4, 0xffff
	buffer_load_dwordx4 v[20:23], v10, s[24:27], 0 offen
	s_cmp_lt_i32 s10, 16
	s_waitcnt vmcnt(0)
	v_cvt_f32_u32_sdwa v7, v20 dst_sel:DWORD dst_unused:UNUSED_PAD src0_sel:WORD_1
	v_cvt_f32_u32_sdwa v6, v20 dst_sel:DWORD dst_unused:UNUSED_PAD src0_sel:WORD_0
	v_cvt_f32_u32_sdwa v5, v21 dst_sel:DWORD dst_unused:UNUSED_PAD src0_sel:WORD_1
	v_cvt_f32_u32_sdwa v4, v21 dst_sel:DWORD dst_unused:UNUSED_PAD src0_sel:WORD_0
	;; [unrolled: 2-line block ×4, first 2 shown]
	v_max3_f32 v20, v6, s48, v7
	v_max3_f32 v20, v20, v4, v5
	;; [unrolled: 1-line block ×4, first 2 shown]
	s_cbranch_scc1 .LBB231_20
; %bb.15:                               ;   in Loop: Header=BB231_13 Depth=2
	s_cmp_lt_i32 s10, 32
	s_cbranch_scc1 .LBB231_21
; %bb.16:                               ;   in Loop: Header=BB231_13 Depth=2
	s_cmp_lt_i32 s10, 64
	s_cbranch_scc1 .LBB231_22
; %bb.17:                               ;   in Loop: Header=BB231_13 Depth=2
	s_cmp_eq_u32 s10, 64
	v_mov_b32_e32 v21, v20
	s_cbranch_scc0 .LBB231_19
; %bb.18:                               ;   in Loop: Header=BB231_13 Depth=2
	s_nop 0
	v_mov_b32_dpp v21, v20 quad_perm:[1,0,3,2] row_mask:0xf bank_mask:0xf
	v_cmp_gt_f32_e32 vcc, v20, v21
	v_cndmask_b32_e32 v21, v21, v20, vcc
	s_nop 1
	v_mov_b32_dpp v22, v21 quad_perm:[2,3,0,1] row_mask:0xf bank_mask:0xf
	v_cmp_gt_f32_e32 vcc, v21, v22
	v_cndmask_b32_e32 v21, v22, v21, vcc
	s_nop 1
	v_mov_b32_dpp v22, v21 row_ror:4 row_mask:0xf bank_mask:0xf
	v_cmp_gt_f32_e32 vcc, v21, v22
	v_cndmask_b32_e32 v21, v22, v21, vcc
	s_nop 1
	v_mov_b32_dpp v22, v21 row_ror:8 row_mask:0xf bank_mask:0xf
	v_cmp_gt_f32_e32 vcc, v21, v22
	v_cndmask_b32_e32 v21, v22, v21, vcc
	s_nop 1
	v_mov_b32_dpp v22, v21 row_bcast:15 row_mask:0xf bank_mask:0xf
	v_cmp_gt_f32_e32 vcc, v21, v22
	v_cndmask_b32_e32 v21, v22, v21, vcc
	s_nop 1
	v_mov_b32_dpp v22, v21 row_bcast:31 row_mask:0xf bank_mask:0xf
	v_cmp_gt_f32_e32 vcc, v21, v22
	v_cndmask_b32_e32 v21, v22, v21, vcc
	ds_bpermute_b32 v21, v14, v21
.LBB231_19:                             ;   in Loop: Header=BB231_13 Depth=2
	s_cbranch_execz .LBB231_23
	s_branch .LBB231_25
.LBB231_20:                             ;   in Loop: Header=BB231_13 Depth=2
                                        ; implicit-def: $vgpr21
	s_branch .LBB231_29
.LBB231_21:                             ;   in Loop: Header=BB231_13 Depth=2
                                        ; implicit-def: $vgpr21
	s_branch .LBB231_26
.LBB231_22:                             ;   in Loop: Header=BB231_13 Depth=2
                                        ; implicit-def: $vgpr21
.LBB231_23:                             ;   in Loop: Header=BB231_13 Depth=2
	s_cmp_eq_u32 s10, 32
	s_waitcnt lgkmcnt(0)
	v_mov_b32_e32 v21, v20
	s_cbranch_scc0 .LBB231_25
; %bb.24:                               ;   in Loop: Header=BB231_13 Depth=2
	s_nop 0
	v_mov_b32_dpp v21, v20 quad_perm:[1,0,3,2] row_mask:0xf bank_mask:0xf
	v_cmp_gt_f32_e32 vcc, v20, v21
	v_cndmask_b32_e32 v21, v21, v20, vcc
	s_nop 1
	v_mov_b32_dpp v22, v21 quad_perm:[2,3,0,1] row_mask:0xf bank_mask:0xf
	v_cmp_gt_f32_e32 vcc, v21, v22
	v_cndmask_b32_e32 v21, v22, v21, vcc
	s_nop 1
	v_mov_b32_dpp v22, v21 row_half_mirror row_mask:0xf bank_mask:0xf
	v_cmp_gt_f32_e32 vcc, v21, v22
	v_cndmask_b32_e32 v21, v22, v21, vcc
	s_nop 1
	v_mov_b32_dpp v22, v21 row_mirror row_mask:0xf bank_mask:0xf
	v_cmp_gt_f32_e32 vcc, v21, v22
	v_cndmask_b32_e32 v21, v22, v21, vcc
	s_nop 1
	v_mov_b32_dpp v22, v21 row_bcast:15 row_mask:0xa bank_mask:0xf
	v_cmp_gt_f32_e32 vcc, v21, v22
	v_cndmask_b32_e32 v21, v22, v21, vcc
	ds_bpermute_b32 v21, v15, v21
.LBB231_25:                             ;   in Loop: Header=BB231_13 Depth=2
	s_cbranch_execnz .LBB231_28
.LBB231_26:                             ;   in Loop: Header=BB231_13 Depth=2
	s_cmp_eq_u32 s10, 16
	s_waitcnt lgkmcnt(0)
	v_mov_b32_e32 v21, v20
	s_cbranch_scc0 .LBB231_28
; %bb.27:                               ;   in Loop: Header=BB231_13 Depth=2
	s_nop 0
	v_mov_b32_dpp v21, v20 quad_perm:[1,0,3,2] row_mask:0xf bank_mask:0xf
	v_cmp_gt_f32_e32 vcc, v20, v21
	v_cndmask_b32_e32 v21, v21, v20, vcc
	s_nop 1
	v_mov_b32_dpp v22, v21 quad_perm:[2,3,0,1] row_mask:0xf bank_mask:0xf
	v_cmp_gt_f32_e32 vcc, v21, v22
	v_cndmask_b32_e32 v21, v22, v21, vcc
	s_nop 1
	v_mov_b32_dpp v22, v21 row_half_mirror row_mask:0xf bank_mask:0xf
	v_cmp_gt_f32_e32 vcc, v21, v22
	v_cndmask_b32_e32 v21, v22, v21, vcc
	s_nop 1
	v_mov_b32_dpp v22, v21 row_mirror row_mask:0xf bank_mask:0xf
	v_cmp_gt_f32_e32 vcc, v21, v22
	v_cndmask_b32_e32 v21, v22, v21, vcc
.LBB231_28:                             ;   in Loop: Header=BB231_13 Depth=2
	s_cbranch_execnz .LBB231_42
.LBB231_29:                             ;   in Loop: Header=BB231_13 Depth=2
	s_cmp_lt_i32 s10, 4
	s_cbranch_scc1 .LBB231_33
; %bb.30:                               ;   in Loop: Header=BB231_13 Depth=2
	s_cmp_lt_i32 s10, 8
	s_cbranch_scc1 .LBB231_34
; %bb.31:                               ;   in Loop: Header=BB231_13 Depth=2
	s_cmp_eq_u32 s10, 8
	s_waitcnt lgkmcnt(0)
	v_mov_b32_e32 v21, v20
	s_cbranch_scc0 .LBB231_35
; %bb.32:                               ;   in Loop: Header=BB231_13 Depth=2
	s_nop 0
	v_mov_b32_dpp v21, v20 quad_perm:[1,0,3,2] row_mask:0xf bank_mask:0xf
	v_cmp_gt_f32_e32 vcc, v20, v21
	v_cndmask_b32_e32 v21, v21, v20, vcc
	s_nop 1
	v_mov_b32_dpp v22, v21 quad_perm:[2,3,0,1] row_mask:0xf bank_mask:0xf
	v_cmp_gt_f32_e32 vcc, v21, v22
	v_cndmask_b32_e32 v21, v22, v21, vcc
	s_nop 1
	v_mov_b32_dpp v22, v21 row_half_mirror row_mask:0xf bank_mask:0xf
	v_cmp_gt_f32_e32 vcc, v21, v22
	v_cndmask_b32_e32 v21, v22, v21, vcc
	s_cbranch_execz .LBB231_36
	s_branch .LBB231_38
.LBB231_33:                             ;   in Loop: Header=BB231_13 Depth=2
                                        ; implicit-def: $vgpr21
	s_branch .LBB231_39
.LBB231_34:                             ;   in Loop: Header=BB231_13 Depth=2
                                        ; implicit-def: $vgpr21
	s_branch .LBB231_36
.LBB231_35:                             ;   in Loop: Header=BB231_13 Depth=2
	s_cbranch_execnz .LBB231_38
.LBB231_36:                             ;   in Loop: Header=BB231_13 Depth=2
	s_cmp_eq_u32 s10, 4
	s_waitcnt lgkmcnt(0)
	v_mov_b32_e32 v21, v20
	s_cbranch_scc0 .LBB231_38
; %bb.37:                               ;   in Loop: Header=BB231_13 Depth=2
	s_nop 0
	v_mov_b32_dpp v21, v20 quad_perm:[1,0,3,2] row_mask:0xf bank_mask:0xf
	v_cmp_gt_f32_e32 vcc, v20, v21
	v_cndmask_b32_e32 v21, v21, v20, vcc
	s_nop 1
	v_mov_b32_dpp v22, v21 quad_perm:[2,3,0,1] row_mask:0xf bank_mask:0xf
	v_cmp_gt_f32_e32 vcc, v21, v22
	v_cndmask_b32_e32 v21, v22, v21, vcc
.LBB231_38:                             ;   in Loop: Header=BB231_13 Depth=2
	s_cbranch_execnz .LBB231_42
.LBB231_39:                             ;   in Loop: Header=BB231_13 Depth=2
	s_cmp_lg_u32 s10, 2
	s_cbranch_scc1 .LBB231_41
; %bb.40:                               ;   in Loop: Header=BB231_13 Depth=2
	s_waitcnt lgkmcnt(0)
	v_mov_b32_dpp v21, v20 quad_perm:[1,0,3,2] row_mask:0xf bank_mask:0xf
	v_cmp_gt_f32_e32 vcc, v20, v21
	v_cndmask_b32_e32 v20, v21, v20, vcc
.LBB231_41:                             ;   in Loop: Header=BB231_13 Depth=2
	s_waitcnt lgkmcnt(0)
	v_mov_b32_e32 v21, v20
.LBB231_42:                             ;   in Loop: Header=BB231_13 Depth=2
	s_waitcnt lgkmcnt(0)
	v_mul_f32_e32 v20, 0x3b124925, v21
	v_bfe_u32 v21, v20, 23, 8
	v_and_b32_e32 v20, 0x7fffff, v20
	v_cmp_ne_u32_e32 vcc, s49, v21
	v_cmp_ne_u32_e64 s[4:5], 0, v20
	s_and_b64 vcc, s[4:5], vcc
	v_addc_co_u32_e32 v20, vcc, 0, v21, vcc
	s_and_saveexec_b64 s[4:5], s[38:39]
	s_cbranch_execz .LBB231_44
; %bb.43:                               ;   in Loop: Header=BB231_13 Depth=2
	s_ashr_i32 s24, s51, 31
	s_lshr_b32 s25, s24, 27
	s_add_i32 s25, s51, s25
	s_ashr_i32 s31, s25, 5
	s_and_b32 s25, s25, 0xffe0
	s_sub_i32 s25, s51, s25
	s_lshr_b32 s24, s24, 28
	s_bfe_i32 s53, s25, 0x80000
	s_add_i32 s24, s51, s24
	v_lshrrev_b16_e64 v21, 11, s53
	s_and_b32 s24, s24, 0x3ffffff0
	v_and_b32_e32 v21, 15, v21
	s_sub_i32 s24, s51, s24
	v_add_u16_e32 v21, s25, v21
	s_lshl_b32 s24, s24, 2
	v_ashrrev_i16_sdwa v21, v16, sext(v21) dst_sel:DWORD dst_unused:UNUSED_PAD src0_sel:DWORD src1_sel:BYTE_0
	s_mul_i32 s31, s44, s31
	v_add_u32_sdwa v21, sext(v21), s24 dst_sel:DWORD dst_unused:UNUSED_PAD src0_sel:WORD_0 src1_sel:DWORD
	v_add_u32_e32 v21, s31, v21
	v_add_u32_e32 v21, v21, v11
	v_ashrrev_i32_e32 v23, 31, v21
	v_mov_b32_e32 v24, s19
	v_add_co_u32_e32 v22, vcc, s18, v21
	v_addc_co_u32_e32 v23, vcc, v24, v23, vcc
	global_store_byte v[22:23], v20, off
.LBB231_44:                             ;   in Loop: Header=BB231_13 Depth=2
	s_or_b64 exec, exec, s[4:5]
	s_cmp_ge_i32 s29, s15
	s_cselect_b64 s[4:5], -1, 0
	s_and_b64 s[4:5], s[40:41], s[4:5]
	s_and_b64 vcc, exec, s[4:5]
	s_cbranch_vccnz .LBB231_11
; %bb.45:                               ;   in Loop: Header=BB231_13 Depth=2
	s_and_saveexec_b64 s[4:5], s[2:3]
	s_cbranch_execz .LBB231_10
; %bb.46:                               ;   in Loop: Header=BB231_13 Depth=2
	v_lshlrev_b32_e32 v20, 23, v20
	v_rcp_f32_e32 v20, v20
	s_mul_hi_i32 s24, s28, s45
	s_mul_i32 s28, s28, s45
	s_add_u32 s28, s16, s28
	v_mov_b32_e32 v21, v20
	;;#ASMSTART
	v_pk_mul_f32 v[6:7], v[6:7], v[20:21]
	;;#ASMEND
	;;#ASMSTART
	v_med3_f32 v6, v6, v12, v13
v_med3_f32 v7, v7, v12, v13
v_cvt_pk_fp8_f32 v22, v6, v7
	;;#ASMEND
	;;#ASMSTART
	v_pk_mul_f32 v[4:5], v[4:5], v[20:21]
	;;#ASMEND
	;;#ASMSTART
	v_med3_f32 v4, v4, v12, v13
v_med3_f32 v5, v5, v12, v13
v_cvt_pk_fp8_f32 v6, v4, v5
	;;#ASMEND
	v_perm_b32 v5, v6, v22, s50
	v_and_b32_e32 v4, 0xffffff00, v6
	v_and_b32_sdwa v6, v5, s49 dst_sel:DWORD dst_unused:UNUSED_PAD src0_sel:WORD_1 src1_sel:DWORD
	v_or_b32_sdwa v4, v6, v4 dst_sel:WORD_1 dst_unused:UNUSED_PAD src0_sel:DWORD src1_sel:DWORD
	;;#ASMSTART
	v_pk_mul_f32 v[2:3], v[2:3], v[20:21]
	;;#ASMEND
	v_and_or_b32 v4, v5, s47, v4
	;;#ASMSTART
	v_med3_f32 v2, v2, v12, v13
v_med3_f32 v3, v3, v12, v13
v_cvt_pk_fp8_f32 v5, v2, v3
	;;#ASMEND
	;;#ASMSTART
	v_pk_mul_f32 v[0:1], v[0:1], v[20:21]
	;;#ASMEND
	;;#ASMSTART
	v_med3_f32 v0, v0, v12, v13
v_med3_f32 v1, v1, v12, v13
v_cvt_pk_fp8_f32 v2, v0, v1
	;;#ASMEND
	s_addc_u32 s24, s17, s24
	v_lshlrev_b32_e32 v0, 16, v2
	s_and_b32 s29, s24, 0xffff
	s_mov_b32 s31, s27
	v_and_or_b32 v5, v5, s47, v0
	buffer_store_dwordx2 v[4:5], v9, s[28:31], 0 offen
	;;#ASMSTART
	s_nop 0
	;;#ASMEND
	s_branch .LBB231_10
.LBB231_47:
	s_endpgm
	.section	.rodata,"a",@progbits
	.p2align	6, 0x0
	.amdhsa_kernel _ZN5aiter30fused_mx_quant_moe_sort_kernelItDB8_Li256ELi8EEEvPT0_PhPKT_PKiS9_iiiiiiiii
		.amdhsa_group_segment_fixed_size 0
		.amdhsa_private_segment_fixed_size 0
		.amdhsa_kernarg_size 76
		.amdhsa_user_sgpr_count 6
		.amdhsa_user_sgpr_private_segment_buffer 1
		.amdhsa_user_sgpr_dispatch_ptr 0
		.amdhsa_user_sgpr_queue_ptr 0
		.amdhsa_user_sgpr_kernarg_segment_ptr 1
		.amdhsa_user_sgpr_dispatch_id 0
		.amdhsa_user_sgpr_flat_scratch_init 0
		.amdhsa_user_sgpr_kernarg_preload_length 0
		.amdhsa_user_sgpr_kernarg_preload_offset 0
		.amdhsa_user_sgpr_private_segment_size 0
		.amdhsa_uses_dynamic_stack 0
		.amdhsa_system_sgpr_private_segment_wavefront_offset 0
		.amdhsa_system_sgpr_workgroup_id_x 1
		.amdhsa_system_sgpr_workgroup_id_y 0
		.amdhsa_system_sgpr_workgroup_id_z 0
		.amdhsa_system_sgpr_workgroup_info 0
		.amdhsa_system_vgpr_workitem_id 0
		.amdhsa_next_free_vgpr 25
		.amdhsa_next_free_sgpr 54
		.amdhsa_accum_offset 28
		.amdhsa_reserve_vcc 1
		.amdhsa_reserve_flat_scratch 0
		.amdhsa_float_round_mode_32 0
		.amdhsa_float_round_mode_16_64 0
		.amdhsa_float_denorm_mode_32 3
		.amdhsa_float_denorm_mode_16_64 3
		.amdhsa_dx10_clamp 1
		.amdhsa_ieee_mode 1
		.amdhsa_fp16_overflow 0
		.amdhsa_tg_split 0
		.amdhsa_exception_fp_ieee_invalid_op 0
		.amdhsa_exception_fp_denorm_src 0
		.amdhsa_exception_fp_ieee_div_zero 0
		.amdhsa_exception_fp_ieee_overflow 0
		.amdhsa_exception_fp_ieee_underflow 0
		.amdhsa_exception_fp_ieee_inexact 0
		.amdhsa_exception_int_div_zero 0
	.end_amdhsa_kernel
	.section	.text._ZN5aiter30fused_mx_quant_moe_sort_kernelItDB8_Li256ELi8EEEvPT0_PhPKT_PKiS9_iiiiiiiii,"axG",@progbits,_ZN5aiter30fused_mx_quant_moe_sort_kernelItDB8_Li256ELi8EEEvPT0_PhPKT_PKiS9_iiiiiiiii,comdat
.Lfunc_end231:
	.size	_ZN5aiter30fused_mx_quant_moe_sort_kernelItDB8_Li256ELi8EEEvPT0_PhPKT_PKiS9_iiiiiiiii, .Lfunc_end231-_ZN5aiter30fused_mx_quant_moe_sort_kernelItDB8_Li256ELi8EEEvPT0_PhPKT_PKiS9_iiiiiiiii
                                        ; -- End function
	.section	.AMDGPU.csdata,"",@progbits
; Kernel info:
; codeLenInByte = 2148
; NumSgprs: 58
; NumVgprs: 25
; NumAgprs: 0
; TotalNumVgprs: 25
; ScratchSize: 0
; MemoryBound: 0
; FloatMode: 240
; IeeeMode: 1
; LDSByteSize: 0 bytes/workgroup (compile time only)
; SGPRBlocks: 7
; VGPRBlocks: 3
; NumSGPRsForWavesPerEU: 58
; NumVGPRsForWavesPerEU: 25
; AccumOffset: 28
; Occupancy: 8
; WaveLimiterHint : 0
; COMPUTE_PGM_RSRC2:SCRATCH_EN: 0
; COMPUTE_PGM_RSRC2:USER_SGPR: 6
; COMPUTE_PGM_RSRC2:TRAP_HANDLER: 0
; COMPUTE_PGM_RSRC2:TGID_X_EN: 1
; COMPUTE_PGM_RSRC2:TGID_Y_EN: 0
; COMPUTE_PGM_RSRC2:TGID_Z_EN: 0
; COMPUTE_PGM_RSRC2:TIDIG_COMP_CNT: 0
; COMPUTE_PGM_RSRC3_GFX90A:ACCUM_OFFSET: 6
; COMPUTE_PGM_RSRC3_GFX90A:TG_SPLIT: 0
	.section	.text._ZN5aiter30fused_mx_quant_moe_sort_kernelIDF16_DB8_Li256ELi16EEEvPT0_PhPKT_PKiS9_iiiiiiiii,"axG",@progbits,_ZN5aiter30fused_mx_quant_moe_sort_kernelIDF16_DB8_Li256ELi16EEEvPT0_PhPKT_PKiS9_iiiiiiiii,comdat
	.protected	_ZN5aiter30fused_mx_quant_moe_sort_kernelIDF16_DB8_Li256ELi16EEEvPT0_PhPKT_PKiS9_iiiiiiiii ; -- Begin function _ZN5aiter30fused_mx_quant_moe_sort_kernelIDF16_DB8_Li256ELi16EEEvPT0_PhPKT_PKiS9_iiiiiiiii
	.globl	_ZN5aiter30fused_mx_quant_moe_sort_kernelIDF16_DB8_Li256ELi16EEEvPT0_PhPKT_PKiS9_iiiiiiiii
	.p2align	8
	.type	_ZN5aiter30fused_mx_quant_moe_sort_kernelIDF16_DB8_Li256ELi16EEEvPT0_PhPKT_PKiS9_iiiiiiiii,@function
_ZN5aiter30fused_mx_quant_moe_sort_kernelIDF16_DB8_Li256ELi16EEEvPT0_PhPKT_PKiS9_iiiiiiiii: ; @_ZN5aiter30fused_mx_quant_moe_sort_kernelIDF16_DB8_Li256ELi16EEEvPT0_PhPKT_PKiS9_iiiiiiiii
; %bb.0:
	s_load_dwordx8 s[8:15], s[4:5], 0x28
	s_waitcnt lgkmcnt(0)
	s_abs_i32 s0, s10
	v_cvt_f32_u32_e32 v1, s0
	s_cmp_ge_i32 s6, s13
	v_rcp_iflag_f32_e32 v1, v1
	v_mul_f32_e32 v1, 0x4f7ffffe, v1
	v_cvt_u32_f32_e32 v1, v1
	v_readfirstlane_b32 s1, v1
	s_cbranch_scc1 .LBB232_47
; %bb.1:
	s_sub_i32 s25, 0, s0
	s_mul_i32 s25, s25, s1
	s_ashr_i32 s24, s10, 31
	s_mul_hi_u32 s25, s1, s25
	s_add_i32 s1, s1, s25
	s_lshr_b32 s25, s24, 28
	s_load_dwordx8 s[16:23], s[4:5], 0x0
	s_load_dwordx2 s[2:3], s[4:5], 0x20
	s_load_dword s7, s[4:5], 0x48
	s_add_i32 s4, s9, s10
	s_add_i32 s10, s10, s25
	s_ashr_i32 s10, s10, 4
	v_cvt_f32_u32_e32 v1, s10
	s_add_i32 s4, s4, -1
	s_ashr_i32 s5, s4, 31
	s_abs_i32 s4, s4
	v_rcp_iflag_f32_e32 v1, v1
	s_mul_hi_u32 s1, s4, s1
	s_waitcnt lgkmcnt(0)
	s_load_dword s33, s[2:3], 0x0
	s_mul_i32 s3, s1, s0
	s_sub_i32 s3, s4, s3
	v_mul_f32_e32 v1, 0x4f7ffffe, v1
	s_sub_i32 s25, 0, s10
	s_xor_b32 s2, s5, s24
	s_add_i32 s4, s1, 1
	s_sub_i32 s5, s3, s0
	v_cvt_u32_f32_e32 v1, v1
	s_cmp_ge_u32 s3, s0
	s_cselect_b32 s1, s4, s1
	s_cselect_b32 s3, s5, s3
	s_add_i32 s4, s1, 1
	s_cmp_ge_u32 s3, s0
	v_mul_lo_u32 v2, s25, v1
	s_cselect_b32 s0, s4, s1
	v_mul_hi_u32 v2, v1, v2
	s_xor_b32 s0, s0, s2
	v_add_u32_e32 v1, v1, v2
	s_sub_i32 s2, s0, s2
	v_mul_hi_u32 v1, v0, v1
	s_add_i32 s0, s2, 7
	v_mul_lo_u32 v2, v1, s10
	s_ashr_i32 s1, s0, 31
	v_sub_u32_e32 v2, v0, v2
	s_lshr_b32 s1, s1, 29
	v_add_u32_e32 v3, 1, v1
	v_cmp_le_u32_e32 vcc, s10, v2
	s_add_i32 s0, s0, s1
	v_cndmask_b32_e32 v1, v1, v3, vcc
	v_subrev_u32_e32 v3, s10, v2
	s_lshl_b32 s0, s0, 5
	v_cndmask_b32_e32 v2, v2, v3, vcc
	s_and_b32 s44, s0, 0xffffff00
	v_add_u32_e32 v3, 1, v1
	v_cmp_le_u32_e32 vcc, s10, v2
	v_cndmask_b32_e32 v1, v1, v3, vcc
	v_and_b32_e32 v2, 63, v0
	s_cmp_gt_i32 s12, 0
	v_cmp_gt_i32_e64 s[0:1], s12, v2
	v_mul_lo_u32 v16, v2, s11
	s_cselect_b64 s[34:35], -1, 0
	s_cmp_eq_u32 s15, 1
	v_lshlrev_b32_e32 v2, 5, v1
	v_lshlrev_b32_e32 v3, 6, v1
	v_lshrrev_b32_e32 v4, 1, v1
	s_cselect_b64 s[36:37], -1, 0
	v_and_b32_e32 v2, 0x7f00, v2
	v_and_b32_e32 v3, 0xc0, v3
	;; [unrolled: 1-line block ×3, first 2 shown]
	s_abs_i32 s46, s11
	v_or3_b32 v19, v3, v2, v4
	v_cvt_f32_u32_e32 v2, s46
	s_add_i32 s4, s9, 3
	v_cmp_gt_i32_e32 vcc, s2, v1
	s_add_i32 s2, s9, 15
	v_rcp_iflag_f32_e32 v2, v2
	s_ashr_i32 s5, s4, 31
	s_ashr_i32 s3, s2, 31
	s_lshr_b32 s5, s5, 30
	v_mul_f32_e32 v2, 0x4f7ffffe, v2
	v_cvt_u32_f32_e32 v2, v2
	s_lshr_b32 s3, s3, 28
	s_add_i32 s4, s4, s5
	s_add_i32 s2, s2, s3
	s_and_b32 s30, s4, -4
	s_sub_i32 s4, 0, s46
	v_readfirstlane_b32 s5, v2
	s_ashr_i32 s2, s2, 4
	s_mul_i32 s4, s4, s5
	v_mul_lo_u32 v1, v1, s10
	v_lshlrev_b32_e32 v17, 4, v0
	v_lshlrev_b32_e32 v18, 5, v0
	v_cmp_gt_u32_e64 s[2:3], s2, v0
	s_mul_hi_u32 s4, s5, s4
	v_sub_u32_e32 v0, v0, v1
	s_mov_b32 s45, s9
	s_lshl_b32 s26, s9, 1
	s_add_i32 s9, s5, s4
	v_cmp_eq_u32_e64 s[4:5], 0, v0
	v_mbcnt_lo_u32_b32 v0, -1, 0
	v_mbcnt_hi_u32_b32 v22, -1, v0
	v_bfrev_b32_e32 v0, 0.5
	s_and_b64 s[38:39], s[4:5], vcc
	s_mov_b32 s27, 0x20000
	s_mov_b32 s47, 0x2edbe6ff
	s_movk_i32 s48, 0xff
	s_xor_b64 s[40:41], s[36:37], -1
	v_mov_b32_e32 v20, 0xc3e00000
	v_mov_b32_e32 v21, 0x43e00000
	s_mov_b32 s49, 0x5040100
	s_mov_b32 s50, 0x1060504
	;; [unrolled: 1-line block ×3, first 2 shown]
	v_lshl_or_b32 v23, v22, 2, v0
	v_mov_b32_e32 v24, 0x7c
	v_mov_b32_e32 v25, 4
                                        ; implicit-def: $vgpr26
	s_branch .LBB232_3
.LBB232_2:                              ;   in Loop: Header=BB232_3 Depth=1
	s_add_i32 s6, s6, s14
	s_cmp_lt_i32 s6, s13
	s_cselect_b64 s[4:5], -1, 0
	s_and_b64 s[4:5], s[42:43], s[4:5]
	s_and_b64 vcc, exec, s[4:5]
	s_cbranch_vccz .LBB232_47
.LBB232_3:                              ; =>This Loop Header: Depth=1
                                        ;     Child Loop BB232_13 Depth 2
	s_abs_i32 s4, s6
	s_mul_hi_u32 s5, s4, s9
	s_mul_i32 s5, s5, s46
	s_sub_i32 s4, s4, s5
	s_ashr_i32 s28, s6, 31
	s_sub_i32 s5, s4, s46
	s_cmp_ge_u32 s4, s46
	s_cselect_b32 s4, s5, s4
	s_sub_i32 s5, s4, s46
	s_cmp_ge_u32 s4, s46
	s_cselect_b32 s4, s5, s4
	s_xor_b32 s29, s4, s28
	s_sub_i32 s4, s29, s28
	s_sub_i32 s5, s6, s4
	s_mul_i32 s24, s5, s12
	s_add_i32 s24, s24, s4
	s_waitcnt lgkmcnt(0)
	s_cmp_lt_i32 s24, s33
	s_cselect_b64 s[42:43], -1, 0
	s_cmp_ge_i32 s24, s33
	s_cbranch_scc1 .LBB232_2
; %bb.4:                                ;   in Loop: Header=BB232_3 Depth=1
	s_and_saveexec_b64 s[4:5], s[0:1]
	s_cbranch_execz .LBB232_8
; %bb.5:                                ;   in Loop: Header=BB232_3 Depth=1
	v_add_u32_e32 v0, s24, v16
	v_cmp_gt_i32_e32 vcc, s33, v0
	s_waitcnt vmcnt(0)
	v_mov_b32_e32 v26, s8
	s_and_saveexec_b64 s[24:25], vcc
	s_cbranch_execz .LBB232_7
; %bb.6:                                ;   in Loop: Header=BB232_3 Depth=1
	v_ashrrev_i32_e32 v1, 31, v0
	v_lshlrev_b64 v[0:1], 2, v[0:1]
	v_mov_b32_e32 v2, s23
	v_add_co_u32_e32 v0, vcc, s22, v0
	v_addc_co_u32_e32 v1, vcc, v2, v1, vcc
	global_load_dword v26, v[0:1], off
.LBB232_7:                              ;   in Loop: Header=BB232_3 Depth=1
	s_or_b64 exec, exec, s[24:25]
.LBB232_8:                              ;   in Loop: Header=BB232_3 Depth=1
	s_or_b64 exec, exec, s[4:5]
	s_andn2_b64 vcc, exec, s[34:35]
	s_cbranch_vccnz .LBB232_2
; %bb.9:                                ;   in Loop: Header=BB232_3 Depth=1
	s_add_i32 s4, s6, s28
	s_sub_i32 s4, s4, s29
	s_mul_i32 s4, s12, s4
	s_add_i32 s29, s29, s4
	s_waitcnt vmcnt(0)
	v_and_b32_e32 v27, 0xffffff, v26
	v_ashrrev_i32_e32 v28, 24, v26
	s_sub_i32 s52, s29, s28
	s_mov_b32 s53, 0
	s_branch .LBB232_13
.LBB232_10:                             ;   in Loop: Header=BB232_13 Depth=2
	s_or_b64 exec, exec, s[4:5]
.LBB232_11:                             ;   in Loop: Header=BB232_13 Depth=2
	s_add_i32 s53, s53, 1
	s_add_i32 s52, s52, s11
	s_cmp_eq_u32 s12, s53
	s_cselect_b64 s[4:5], -1, 0
.LBB232_12:                             ;   in Loop: Header=BB232_13 Depth=2
	s_and_b64 vcc, exec, s[4:5]
	s_cbranch_vccnz .LBB232_2
.LBB232_13:                             ;   Parent Loop BB232_3 Depth=1
                                        ; =>  This Inner Loop Header: Depth=2
	v_readlane_b32 s24, v27, s53
	v_readlane_b32 s29, v28, s53
	s_cmp_ge_i32 s24, s8
	s_mov_b64 s[4:5], -1
	s_cbranch_scc1 .LBB232_12
; %bb.14:                               ;   in Loop: Header=BB232_13 Depth=2
	s_mul_i32 s4, s24, s15
	s_add_i32 s25, s4, s29
	s_and_b64 s[4:5], s[36:37], exec
	s_cselect_b32 s28, s24, s25
	s_mul_hi_i32 s5, s28, s7
	s_mul_i32 s4, s28, s7
	s_lshl_b64 s[4:5], s[4:5], 1
	s_add_u32 s24, s20, s4
	s_addc_u32 s4, s21, s5
	s_and_b32 s25, s4, 0xffff
	buffer_load_dwordx4 v[0:3], v18, s[24:27], 0 offen
	buffer_load_dwordx4 v[30:33], v18, s[24:27], 16 offen
	s_cmp_lt_i32 s10, 16
	s_waitcnt vmcnt(1)
	v_cvt_f32_f16_e32 v14, v0
	v_cvt_f32_f16_sdwa v15, v0 dst_sel:DWORD dst_unused:UNUSED_PAD src0_sel:WORD_1
	v_cvt_f32_f16_e32 v12, v1
	v_cvt_f32_f16_sdwa v13, v1 dst_sel:DWORD dst_unused:UNUSED_PAD src0_sel:WORD_1
	;; [unrolled: 2-line block ×4, first 2 shown]
	s_waitcnt vmcnt(0)
	v_cvt_f32_f16_e32 v6, v30
	v_cvt_f32_f16_sdwa v7, v30 dst_sel:DWORD dst_unused:UNUSED_PAD src0_sel:WORD_1
	v_max3_f32 v29, |v14|, s47, |v15|
	v_cvt_f32_f16_e32 v4, v31
	v_cvt_f32_f16_sdwa v5, v31 dst_sel:DWORD dst_unused:UNUSED_PAD src0_sel:WORD_1
	v_max3_f32 v29, v29, |v12|, |v13|
	v_cvt_f32_f16_e32 v2, v32
	v_cvt_f32_f16_sdwa v3, v32 dst_sel:DWORD dst_unused:UNUSED_PAD src0_sel:WORD_1
	v_max3_f32 v29, v29, |v10|, |v11|
	;; [unrolled: 3-line block ×3, first 2 shown]
	v_max3_f32 v29, v29, |v6|, |v7|
	v_max3_f32 v29, v29, |v4|, |v5|
	;; [unrolled: 1-line block ×4, first 2 shown]
	s_cbranch_scc1 .LBB232_20
; %bb.15:                               ;   in Loop: Header=BB232_13 Depth=2
	s_cmp_lt_i32 s10, 32
	s_cbranch_scc1 .LBB232_21
; %bb.16:                               ;   in Loop: Header=BB232_13 Depth=2
	s_cmp_lt_i32 s10, 64
	s_cbranch_scc1 .LBB232_22
; %bb.17:                               ;   in Loop: Header=BB232_13 Depth=2
	s_cmp_eq_u32 s10, 64
	v_mov_b32_e32 v30, v29
	s_cbranch_scc0 .LBB232_19
; %bb.18:                               ;   in Loop: Header=BB232_13 Depth=2
	s_nop 0
	v_mov_b32_dpp v30, v29 quad_perm:[1,0,3,2] row_mask:0xf bank_mask:0xf
	v_cmp_gt_f32_e32 vcc, v29, v30
	v_cndmask_b32_e32 v30, v30, v29, vcc
	s_nop 1
	v_mov_b32_dpp v31, v30 quad_perm:[2,3,0,1] row_mask:0xf bank_mask:0xf
	v_cmp_gt_f32_e32 vcc, v30, v31
	v_cndmask_b32_e32 v30, v31, v30, vcc
	s_nop 1
	v_mov_b32_dpp v31, v30 row_ror:4 row_mask:0xf bank_mask:0xf
	v_cmp_gt_f32_e32 vcc, v30, v31
	v_cndmask_b32_e32 v30, v31, v30, vcc
	s_nop 1
	v_mov_b32_dpp v31, v30 row_ror:8 row_mask:0xf bank_mask:0xf
	v_cmp_gt_f32_e32 vcc, v30, v31
	v_cndmask_b32_e32 v30, v31, v30, vcc
	s_nop 1
	v_mov_b32_dpp v31, v30 row_bcast:15 row_mask:0xf bank_mask:0xf
	v_cmp_gt_f32_e32 vcc, v30, v31
	v_cndmask_b32_e32 v30, v31, v30, vcc
	s_nop 1
	v_mov_b32_dpp v31, v30 row_bcast:31 row_mask:0xf bank_mask:0xf
	v_cmp_gt_f32_e32 vcc, v30, v31
	v_cndmask_b32_e32 v30, v31, v30, vcc
	ds_bpermute_b32 v30, v23, v30
.LBB232_19:                             ;   in Loop: Header=BB232_13 Depth=2
	s_cbranch_execz .LBB232_23
	s_branch .LBB232_25
.LBB232_20:                             ;   in Loop: Header=BB232_13 Depth=2
                                        ; implicit-def: $vgpr30
	s_branch .LBB232_29
.LBB232_21:                             ;   in Loop: Header=BB232_13 Depth=2
                                        ; implicit-def: $vgpr30
	s_branch .LBB232_26
.LBB232_22:                             ;   in Loop: Header=BB232_13 Depth=2
                                        ; implicit-def: $vgpr30
.LBB232_23:                             ;   in Loop: Header=BB232_13 Depth=2
	s_cmp_eq_u32 s10, 32
	s_waitcnt lgkmcnt(0)
	v_mov_b32_e32 v30, v29
	s_cbranch_scc0 .LBB232_25
; %bb.24:                               ;   in Loop: Header=BB232_13 Depth=2
	s_nop 0
	v_mov_b32_dpp v30, v29 quad_perm:[1,0,3,2] row_mask:0xf bank_mask:0xf
	v_cmp_gt_f32_e32 vcc, v29, v30
	v_cndmask_b32_e32 v30, v30, v29, vcc
	s_nop 1
	v_mov_b32_dpp v31, v30 quad_perm:[2,3,0,1] row_mask:0xf bank_mask:0xf
	v_cmp_gt_f32_e32 vcc, v30, v31
	v_cndmask_b32_e32 v30, v31, v30, vcc
	s_nop 1
	v_mov_b32_dpp v31, v30 row_half_mirror row_mask:0xf bank_mask:0xf
	v_cmp_gt_f32_e32 vcc, v30, v31
	v_cndmask_b32_e32 v30, v31, v30, vcc
	s_nop 1
	v_mov_b32_dpp v31, v30 row_mirror row_mask:0xf bank_mask:0xf
	v_cmp_gt_f32_e32 vcc, v30, v31
	v_cndmask_b32_e32 v30, v31, v30, vcc
	s_nop 1
	v_mov_b32_dpp v31, v30 row_bcast:15 row_mask:0xa bank_mask:0xf
	v_cmp_gt_f32_e32 vcc, v30, v31
	v_cndmask_b32_e32 v30, v31, v30, vcc
	v_lshl_or_b32 v31, v22, 2, v24
	ds_bpermute_b32 v30, v31, v30
.LBB232_25:                             ;   in Loop: Header=BB232_13 Depth=2
	s_cbranch_execnz .LBB232_28
.LBB232_26:                             ;   in Loop: Header=BB232_13 Depth=2
	s_cmp_eq_u32 s10, 16
	s_waitcnt lgkmcnt(0)
	v_mov_b32_e32 v30, v29
	s_cbranch_scc0 .LBB232_28
; %bb.27:                               ;   in Loop: Header=BB232_13 Depth=2
	s_nop 0
	v_mov_b32_dpp v30, v29 quad_perm:[1,0,3,2] row_mask:0xf bank_mask:0xf
	v_cmp_gt_f32_e32 vcc, v29, v30
	v_cndmask_b32_e32 v30, v30, v29, vcc
	s_nop 1
	v_mov_b32_dpp v31, v30 quad_perm:[2,3,0,1] row_mask:0xf bank_mask:0xf
	v_cmp_gt_f32_e32 vcc, v30, v31
	v_cndmask_b32_e32 v30, v31, v30, vcc
	s_nop 1
	v_mov_b32_dpp v31, v30 row_half_mirror row_mask:0xf bank_mask:0xf
	v_cmp_gt_f32_e32 vcc, v30, v31
	v_cndmask_b32_e32 v30, v31, v30, vcc
	s_nop 1
	v_mov_b32_dpp v31, v30 row_mirror row_mask:0xf bank_mask:0xf
	v_cmp_gt_f32_e32 vcc, v30, v31
	v_cndmask_b32_e32 v30, v31, v30, vcc
.LBB232_28:                             ;   in Loop: Header=BB232_13 Depth=2
	s_cbranch_execnz .LBB232_42
.LBB232_29:                             ;   in Loop: Header=BB232_13 Depth=2
	s_cmp_lt_i32 s10, 4
	s_cbranch_scc1 .LBB232_33
; %bb.30:                               ;   in Loop: Header=BB232_13 Depth=2
	s_cmp_lt_i32 s10, 8
	s_cbranch_scc1 .LBB232_34
; %bb.31:                               ;   in Loop: Header=BB232_13 Depth=2
	s_cmp_eq_u32 s10, 8
	s_waitcnt lgkmcnt(0)
	v_mov_b32_e32 v30, v29
	s_cbranch_scc0 .LBB232_35
; %bb.32:                               ;   in Loop: Header=BB232_13 Depth=2
	s_nop 0
	v_mov_b32_dpp v30, v29 quad_perm:[1,0,3,2] row_mask:0xf bank_mask:0xf
	v_cmp_gt_f32_e32 vcc, v29, v30
	v_cndmask_b32_e32 v30, v30, v29, vcc
	s_nop 1
	v_mov_b32_dpp v31, v30 quad_perm:[2,3,0,1] row_mask:0xf bank_mask:0xf
	v_cmp_gt_f32_e32 vcc, v30, v31
	v_cndmask_b32_e32 v30, v31, v30, vcc
	s_nop 1
	v_mov_b32_dpp v31, v30 row_half_mirror row_mask:0xf bank_mask:0xf
	v_cmp_gt_f32_e32 vcc, v30, v31
	v_cndmask_b32_e32 v30, v31, v30, vcc
	s_cbranch_execz .LBB232_36
	s_branch .LBB232_38
.LBB232_33:                             ;   in Loop: Header=BB232_13 Depth=2
                                        ; implicit-def: $vgpr30
	s_branch .LBB232_39
.LBB232_34:                             ;   in Loop: Header=BB232_13 Depth=2
                                        ; implicit-def: $vgpr30
	s_branch .LBB232_36
.LBB232_35:                             ;   in Loop: Header=BB232_13 Depth=2
	s_cbranch_execnz .LBB232_38
.LBB232_36:                             ;   in Loop: Header=BB232_13 Depth=2
	s_cmp_eq_u32 s10, 4
	s_waitcnt lgkmcnt(0)
	v_mov_b32_e32 v30, v29
	s_cbranch_scc0 .LBB232_38
; %bb.37:                               ;   in Loop: Header=BB232_13 Depth=2
	s_nop 0
	v_mov_b32_dpp v30, v29 quad_perm:[1,0,3,2] row_mask:0xf bank_mask:0xf
	v_cmp_gt_f32_e32 vcc, v29, v30
	v_cndmask_b32_e32 v30, v30, v29, vcc
	s_nop 1
	v_mov_b32_dpp v31, v30 quad_perm:[2,3,0,1] row_mask:0xf bank_mask:0xf
	v_cmp_gt_f32_e32 vcc, v30, v31
	v_cndmask_b32_e32 v30, v31, v30, vcc
.LBB232_38:                             ;   in Loop: Header=BB232_13 Depth=2
	s_cbranch_execnz .LBB232_42
.LBB232_39:                             ;   in Loop: Header=BB232_13 Depth=2
	s_cmp_lg_u32 s10, 2
	s_cbranch_scc1 .LBB232_41
; %bb.40:                               ;   in Loop: Header=BB232_13 Depth=2
	s_waitcnt lgkmcnt(0)
	v_mov_b32_dpp v30, v29 quad_perm:[1,0,3,2] row_mask:0xf bank_mask:0xf
	v_cmp_gt_f32_e32 vcc, v29, v30
	v_cndmask_b32_e32 v29, v30, v29, vcc
.LBB232_41:                             ;   in Loop: Header=BB232_13 Depth=2
	s_waitcnt lgkmcnt(0)
	v_mov_b32_e32 v30, v29
.LBB232_42:                             ;   in Loop: Header=BB232_13 Depth=2
	s_waitcnt lgkmcnt(0)
	v_mul_f32_e32 v29, 0x3b124925, v30
	v_bfe_u32 v30, v29, 23, 8
	v_and_b32_e32 v29, 0x7fffff, v29
	v_cmp_ne_u32_e32 vcc, s48, v30
	v_cmp_ne_u32_e64 s[4:5], 0, v29
	s_and_b64 vcc, s[4:5], vcc
	v_addc_co_u32_e32 v29, vcc, 0, v30, vcc
	s_and_saveexec_b64 s[4:5], s[38:39]
	s_cbranch_execz .LBB232_44
; %bb.43:                               ;   in Loop: Header=BB232_13 Depth=2
	s_ashr_i32 s24, s52, 31
	s_lshr_b32 s25, s24, 27
	s_add_i32 s25, s52, s25
	s_ashr_i32 s31, s25, 5
	s_and_b32 s25, s25, 0xffe0
	s_sub_i32 s25, s52, s25
	s_lshr_b32 s24, s24, 28
	s_bfe_i32 s54, s25, 0x80000
	s_add_i32 s24, s52, s24
	v_lshrrev_b16_e64 v30, 11, s54
	s_and_b32 s24, s24, 0x3ffffff0
	v_and_b32_e32 v30, 15, v30
	s_sub_i32 s24, s52, s24
	v_add_u16_e32 v30, s25, v30
	s_lshl_b32 s24, s24, 2
	v_ashrrev_i16_sdwa v30, v25, sext(v30) dst_sel:DWORD dst_unused:UNUSED_PAD src0_sel:DWORD src1_sel:BYTE_0
	s_mul_i32 s31, s44, s31
	v_add_u32_sdwa v30, sext(v30), s24 dst_sel:DWORD dst_unused:UNUSED_PAD src0_sel:WORD_0 src1_sel:DWORD
	v_add_u32_e32 v30, s31, v30
	v_add_u32_e32 v30, v30, v19
	v_ashrrev_i32_e32 v31, 31, v30
	v_mov_b32_e32 v32, s19
	v_add_co_u32_e32 v30, vcc, s18, v30
	v_addc_co_u32_e32 v31, vcc, v32, v31, vcc
	global_store_byte v[30:31], v29, off
.LBB232_44:                             ;   in Loop: Header=BB232_13 Depth=2
	s_or_b64 exec, exec, s[4:5]
	s_cmp_ge_i32 s29, s15
	s_cselect_b64 s[4:5], -1, 0
	s_and_b64 s[4:5], s[40:41], s[4:5]
	s_and_b64 vcc, exec, s[4:5]
	s_cbranch_vccnz .LBB232_11
; %bb.45:                               ;   in Loop: Header=BB232_13 Depth=2
	s_and_saveexec_b64 s[4:5], s[2:3]
	s_cbranch_execz .LBB232_10
; %bb.46:                               ;   in Loop: Header=BB232_13 Depth=2
	v_lshlrev_b32_e32 v29, 23, v29
	v_rcp_f32_e32 v30, v29
	s_mul_hi_i32 s24, s28, s45
	s_mul_i32 s28, s28, s45
	s_add_u32 s28, s16, s28
	v_mov_b32_e32 v31, v30
	;;#ASMSTART
	v_pk_mul_f32 v[14:15], v[14:15], v[30:31]
	;;#ASMEND
	;;#ASMSTART
	v_med3_f32 v14, v14, v20, v21
v_med3_f32 v15, v15, v20, v21
v_cvt_pk_fp8_f32 v29, v14, v15
	;;#ASMEND
	;;#ASMSTART
	v_pk_mul_f32 v[12:13], v[12:13], v[30:31]
	;;#ASMEND
	;;#ASMSTART
	v_med3_f32 v12, v12, v20, v21
v_med3_f32 v13, v13, v20, v21
v_cvt_pk_fp8_f32 v14, v12, v13
	;;#ASMEND
	;; [unrolled: 8-line block ×6, first 2 shown]
	;;#ASMSTART
	v_pk_mul_f32 v[2:3], v[2:3], v[30:31]
	;;#ASMEND
	s_addc_u32 s24, s17, s24
	v_perm_b32 v12, v14, v29, s49
	;;#ASMSTART
	v_med3_f32 v2, v2, v20, v21
v_med3_f32 v3, v3, v20, v21
v_cvt_pk_fp8_f32 v4, v2, v3
	;;#ASMEND
	;;#ASMSTART
	v_pk_mul_f32 v[0:1], v[0:1], v[30:31]
	;;#ASMEND
	s_and_b32 s29, s24, 0xffff
	s_mov_b32 s31, s27
	v_perm_b32 v12, v12, v14, s50
	v_perm_b32 v13, v13, v10, s51
	;; [unrolled: 1-line block ×3, first 2 shown]
	;;#ASMSTART
	v_med3_f32 v0, v0, v20, v21
v_med3_f32 v1, v1, v20, v21
v_cvt_pk_fp8_f32 v2, v0, v1
	;;#ASMEND
	v_perm_b32 v15, v4, v2, s51
	buffer_store_dwordx4 v[12:15], v17, s[28:31], 0 offen
	;;#ASMSTART
	s_nop 0
	;;#ASMEND
	s_branch .LBB232_10
.LBB232_47:
	s_endpgm
	.section	.rodata,"a",@progbits
	.p2align	6, 0x0
	.amdhsa_kernel _ZN5aiter30fused_mx_quant_moe_sort_kernelIDF16_DB8_Li256ELi16EEEvPT0_PhPKT_PKiS9_iiiiiiiii
		.amdhsa_group_segment_fixed_size 0
		.amdhsa_private_segment_fixed_size 0
		.amdhsa_kernarg_size 76
		.amdhsa_user_sgpr_count 6
		.amdhsa_user_sgpr_private_segment_buffer 1
		.amdhsa_user_sgpr_dispatch_ptr 0
		.amdhsa_user_sgpr_queue_ptr 0
		.amdhsa_user_sgpr_kernarg_segment_ptr 1
		.amdhsa_user_sgpr_dispatch_id 0
		.amdhsa_user_sgpr_flat_scratch_init 0
		.amdhsa_user_sgpr_kernarg_preload_length 0
		.amdhsa_user_sgpr_kernarg_preload_offset 0
		.amdhsa_user_sgpr_private_segment_size 0
		.amdhsa_uses_dynamic_stack 0
		.amdhsa_system_sgpr_private_segment_wavefront_offset 0
		.amdhsa_system_sgpr_workgroup_id_x 1
		.amdhsa_system_sgpr_workgroup_id_y 0
		.amdhsa_system_sgpr_workgroup_id_z 0
		.amdhsa_system_sgpr_workgroup_info 0
		.amdhsa_system_vgpr_workitem_id 0
		.amdhsa_next_free_vgpr 34
		.amdhsa_next_free_sgpr 55
		.amdhsa_accum_offset 36
		.amdhsa_reserve_vcc 1
		.amdhsa_reserve_flat_scratch 0
		.amdhsa_float_round_mode_32 0
		.amdhsa_float_round_mode_16_64 0
		.amdhsa_float_denorm_mode_32 3
		.amdhsa_float_denorm_mode_16_64 3
		.amdhsa_dx10_clamp 1
		.amdhsa_ieee_mode 1
		.amdhsa_fp16_overflow 0
		.amdhsa_tg_split 0
		.amdhsa_exception_fp_ieee_invalid_op 0
		.amdhsa_exception_fp_denorm_src 0
		.amdhsa_exception_fp_ieee_div_zero 0
		.amdhsa_exception_fp_ieee_overflow 0
		.amdhsa_exception_fp_ieee_underflow 0
		.amdhsa_exception_fp_ieee_inexact 0
		.amdhsa_exception_int_div_zero 0
	.end_amdhsa_kernel
	.section	.text._ZN5aiter30fused_mx_quant_moe_sort_kernelIDF16_DB8_Li256ELi16EEEvPT0_PhPKT_PKiS9_iiiiiiiii,"axG",@progbits,_ZN5aiter30fused_mx_quant_moe_sort_kernelIDF16_DB8_Li256ELi16EEEvPT0_PhPKT_PKiS9_iiiiiiiii,comdat
.Lfunc_end232:
	.size	_ZN5aiter30fused_mx_quant_moe_sort_kernelIDF16_DB8_Li256ELi16EEEvPT0_PhPKT_PKiS9_iiiiiiiii, .Lfunc_end232-_ZN5aiter30fused_mx_quant_moe_sort_kernelIDF16_DB8_Li256ELi16EEEvPT0_PhPKT_PKiS9_iiiiiiiii
                                        ; -- End function
	.section	.AMDGPU.csdata,"",@progbits
; Kernel info:
; codeLenInByte = 2348
; NumSgprs: 59
; NumVgprs: 34
; NumAgprs: 0
; TotalNumVgprs: 34
; ScratchSize: 0
; MemoryBound: 0
; FloatMode: 240
; IeeeMode: 1
; LDSByteSize: 0 bytes/workgroup (compile time only)
; SGPRBlocks: 7
; VGPRBlocks: 4
; NumSGPRsForWavesPerEU: 59
; NumVGPRsForWavesPerEU: 34
; AccumOffset: 36
; Occupancy: 8
; WaveLimiterHint : 0
; COMPUTE_PGM_RSRC2:SCRATCH_EN: 0
; COMPUTE_PGM_RSRC2:USER_SGPR: 6
; COMPUTE_PGM_RSRC2:TRAP_HANDLER: 0
; COMPUTE_PGM_RSRC2:TGID_X_EN: 1
; COMPUTE_PGM_RSRC2:TGID_Y_EN: 0
; COMPUTE_PGM_RSRC2:TGID_Z_EN: 0
; COMPUTE_PGM_RSRC2:TIDIG_COMP_CNT: 0
; COMPUTE_PGM_RSRC3_GFX90A:ACCUM_OFFSET: 8
; COMPUTE_PGM_RSRC3_GFX90A:TG_SPLIT: 0
	.section	.text._ZN5aiter30fused_mx_quant_moe_sort_kernelItDB8_Li256ELi16EEEvPT0_PhPKT_PKiS9_iiiiiiiii,"axG",@progbits,_ZN5aiter30fused_mx_quant_moe_sort_kernelItDB8_Li256ELi16EEEvPT0_PhPKT_PKiS9_iiiiiiiii,comdat
	.protected	_ZN5aiter30fused_mx_quant_moe_sort_kernelItDB8_Li256ELi16EEEvPT0_PhPKT_PKiS9_iiiiiiiii ; -- Begin function _ZN5aiter30fused_mx_quant_moe_sort_kernelItDB8_Li256ELi16EEEvPT0_PhPKT_PKiS9_iiiiiiiii
	.globl	_ZN5aiter30fused_mx_quant_moe_sort_kernelItDB8_Li256ELi16EEEvPT0_PhPKT_PKiS9_iiiiiiiii
	.p2align	8
	.type	_ZN5aiter30fused_mx_quant_moe_sort_kernelItDB8_Li256ELi16EEEvPT0_PhPKT_PKiS9_iiiiiiiii,@function
_ZN5aiter30fused_mx_quant_moe_sort_kernelItDB8_Li256ELi16EEEvPT0_PhPKT_PKiS9_iiiiiiiii: ; @_ZN5aiter30fused_mx_quant_moe_sort_kernelItDB8_Li256ELi16EEEvPT0_PhPKT_PKiS9_iiiiiiiii
; %bb.0:
	s_load_dwordx8 s[8:15], s[4:5], 0x28
	s_waitcnt lgkmcnt(0)
	s_abs_i32 s0, s10
	v_cvt_f32_u32_e32 v1, s0
	s_cmp_ge_i32 s6, s13
	v_rcp_iflag_f32_e32 v1, v1
	v_mul_f32_e32 v1, 0x4f7ffffe, v1
	v_cvt_u32_f32_e32 v1, v1
	v_readfirstlane_b32 s1, v1
	s_cbranch_scc1 .LBB233_47
; %bb.1:
	s_sub_i32 s25, 0, s0
	s_mul_i32 s25, s25, s1
	s_ashr_i32 s24, s10, 31
	s_mul_hi_u32 s25, s1, s25
	s_add_i32 s1, s1, s25
	s_lshr_b32 s25, s24, 28
	s_load_dwordx8 s[16:23], s[4:5], 0x0
	s_load_dwordx2 s[2:3], s[4:5], 0x20
	s_load_dword s7, s[4:5], 0x48
	s_add_i32 s4, s9, s10
	s_add_i32 s10, s10, s25
	s_ashr_i32 s10, s10, 4
	v_cvt_f32_u32_e32 v1, s10
	s_add_i32 s4, s4, -1
	s_ashr_i32 s5, s4, 31
	s_abs_i32 s4, s4
	v_rcp_iflag_f32_e32 v1, v1
	s_mul_hi_u32 s1, s4, s1
	s_waitcnt lgkmcnt(0)
	s_load_dword s33, s[2:3], 0x0
	s_mul_i32 s3, s1, s0
	s_sub_i32 s3, s4, s3
	v_mul_f32_e32 v1, 0x4f7ffffe, v1
	s_sub_i32 s25, 0, s10
	s_xor_b32 s2, s5, s24
	s_add_i32 s4, s1, 1
	s_sub_i32 s5, s3, s0
	v_cvt_u32_f32_e32 v1, v1
	s_cmp_ge_u32 s3, s0
	s_cselect_b32 s1, s4, s1
	s_cselect_b32 s3, s5, s3
	s_add_i32 s4, s1, 1
	s_cmp_ge_u32 s3, s0
	v_mul_lo_u32 v2, s25, v1
	s_cselect_b32 s0, s4, s1
	v_mul_hi_u32 v2, v1, v2
	s_xor_b32 s0, s0, s2
	v_add_u32_e32 v1, v1, v2
	s_sub_i32 s2, s0, s2
	v_mul_hi_u32 v1, v0, v1
	s_add_i32 s0, s2, 7
	v_mul_lo_u32 v2, v1, s10
	s_ashr_i32 s1, s0, 31
	v_sub_u32_e32 v2, v0, v2
	s_lshr_b32 s1, s1, 29
	v_add_u32_e32 v3, 1, v1
	v_cmp_le_u32_e32 vcc, s10, v2
	s_add_i32 s0, s0, s1
	v_cndmask_b32_e32 v1, v1, v3, vcc
	v_subrev_u32_e32 v3, s10, v2
	s_lshl_b32 s0, s0, 5
	v_cndmask_b32_e32 v2, v2, v3, vcc
	s_and_b32 s44, s0, 0xffffff00
	v_add_u32_e32 v3, 1, v1
	v_cmp_le_u32_e32 vcc, s10, v2
	v_cndmask_b32_e32 v1, v1, v3, vcc
	v_and_b32_e32 v2, 63, v0
	s_cmp_gt_i32 s12, 0
	v_cmp_gt_i32_e64 s[0:1], s12, v2
	v_mul_lo_u32 v16, v2, s11
	s_cselect_b64 s[34:35], -1, 0
	s_cmp_eq_u32 s15, 1
	v_lshlrev_b32_e32 v2, 5, v1
	v_lshlrev_b32_e32 v3, 6, v1
	v_lshrrev_b32_e32 v4, 1, v1
	s_cselect_b64 s[36:37], -1, 0
	v_and_b32_e32 v2, 0x7f00, v2
	v_and_b32_e32 v3, 0xc0, v3
	;; [unrolled: 1-line block ×3, first 2 shown]
	s_abs_i32 s46, s11
	v_or3_b32 v19, v3, v2, v4
	v_cvt_f32_u32_e32 v2, s46
	s_add_i32 s4, s9, 3
	v_cmp_gt_i32_e32 vcc, s2, v1
	s_add_i32 s2, s9, 15
	v_rcp_iflag_f32_e32 v2, v2
	s_ashr_i32 s5, s4, 31
	s_ashr_i32 s3, s2, 31
	s_lshr_b32 s5, s5, 30
	v_mul_f32_e32 v2, 0x4f7ffffe, v2
	v_cvt_u32_f32_e32 v2, v2
	s_lshr_b32 s3, s3, 28
	s_add_i32 s4, s4, s5
	s_add_i32 s2, s2, s3
	s_and_b32 s30, s4, -4
	s_sub_i32 s4, 0, s46
	v_readfirstlane_b32 s5, v2
	s_ashr_i32 s2, s2, 4
	s_mul_i32 s4, s4, s5
	v_mul_lo_u32 v1, v1, s10
	v_lshlrev_b32_e32 v17, 4, v0
	v_lshlrev_b32_e32 v18, 5, v0
	v_cmp_gt_u32_e64 s[2:3], s2, v0
	s_mul_hi_u32 s4, s5, s4
	v_sub_u32_e32 v0, v0, v1
	s_mov_b32 s45, s9
	s_lshl_b32 s26, s9, 1
	s_add_i32 s9, s5, s4
	v_cmp_eq_u32_e64 s[4:5], 0, v0
	v_mbcnt_lo_u32_b32 v0, -1, 0
	v_mbcnt_hi_u32_b32 v22, -1, v0
	v_bfrev_b32_e32 v0, 0.5
	s_and_b64 s[38:39], s[4:5], vcc
	s_mov_b32 s27, 0x20000
	s_mov_b32 s47, 0x2edbe6ff
	s_movk_i32 s48, 0xff
	s_xor_b64 s[40:41], s[36:37], -1
	v_mov_b32_e32 v20, 0xc3e00000
	v_mov_b32_e32 v21, 0x43e00000
	s_mov_b32 s49, 0x5040100
	s_mov_b32 s50, 0x1060504
	;; [unrolled: 1-line block ×3, first 2 shown]
	v_lshl_or_b32 v23, v22, 2, v0
	v_mov_b32_e32 v24, 0x7c
	v_mov_b32_e32 v25, 4
                                        ; implicit-def: $vgpr26
	s_branch .LBB233_3
.LBB233_2:                              ;   in Loop: Header=BB233_3 Depth=1
	s_add_i32 s6, s6, s14
	s_cmp_lt_i32 s6, s13
	s_cselect_b64 s[4:5], -1, 0
	s_and_b64 s[4:5], s[42:43], s[4:5]
	s_and_b64 vcc, exec, s[4:5]
	s_cbranch_vccz .LBB233_47
.LBB233_3:                              ; =>This Loop Header: Depth=1
                                        ;     Child Loop BB233_13 Depth 2
	s_abs_i32 s4, s6
	s_mul_hi_u32 s5, s4, s9
	s_mul_i32 s5, s5, s46
	s_sub_i32 s4, s4, s5
	s_ashr_i32 s28, s6, 31
	s_sub_i32 s5, s4, s46
	s_cmp_ge_u32 s4, s46
	s_cselect_b32 s4, s5, s4
	s_sub_i32 s5, s4, s46
	s_cmp_ge_u32 s4, s46
	s_cselect_b32 s4, s5, s4
	s_xor_b32 s29, s4, s28
	s_sub_i32 s4, s29, s28
	s_sub_i32 s5, s6, s4
	s_mul_i32 s24, s5, s12
	s_add_i32 s24, s24, s4
	s_waitcnt lgkmcnt(0)
	s_cmp_lt_i32 s24, s33
	s_cselect_b64 s[42:43], -1, 0
	s_cmp_ge_i32 s24, s33
	s_cbranch_scc1 .LBB233_2
; %bb.4:                                ;   in Loop: Header=BB233_3 Depth=1
	s_and_saveexec_b64 s[4:5], s[0:1]
	s_cbranch_execz .LBB233_8
; %bb.5:                                ;   in Loop: Header=BB233_3 Depth=1
	v_add_u32_e32 v0, s24, v16
	v_cmp_gt_i32_e32 vcc, s33, v0
	s_waitcnt vmcnt(0)
	v_mov_b32_e32 v26, s8
	s_and_saveexec_b64 s[24:25], vcc
	s_cbranch_execz .LBB233_7
; %bb.6:                                ;   in Loop: Header=BB233_3 Depth=1
	v_ashrrev_i32_e32 v1, 31, v0
	v_lshlrev_b64 v[0:1], 2, v[0:1]
	v_mov_b32_e32 v2, s23
	v_add_co_u32_e32 v0, vcc, s22, v0
	v_addc_co_u32_e32 v1, vcc, v2, v1, vcc
	global_load_dword v26, v[0:1], off
.LBB233_7:                              ;   in Loop: Header=BB233_3 Depth=1
	s_or_b64 exec, exec, s[24:25]
.LBB233_8:                              ;   in Loop: Header=BB233_3 Depth=1
	s_or_b64 exec, exec, s[4:5]
	s_andn2_b64 vcc, exec, s[34:35]
	s_cbranch_vccnz .LBB233_2
; %bb.9:                                ;   in Loop: Header=BB233_3 Depth=1
	s_add_i32 s4, s6, s28
	s_sub_i32 s4, s4, s29
	s_mul_i32 s4, s12, s4
	s_add_i32 s29, s29, s4
	s_waitcnt vmcnt(0)
	v_and_b32_e32 v27, 0xffffff, v26
	v_ashrrev_i32_e32 v28, 24, v26
	s_sub_i32 s52, s29, s28
	s_mov_b32 s53, 0
	s_branch .LBB233_13
.LBB233_10:                             ;   in Loop: Header=BB233_13 Depth=2
	s_or_b64 exec, exec, s[4:5]
.LBB233_11:                             ;   in Loop: Header=BB233_13 Depth=2
	s_add_i32 s53, s53, 1
	s_add_i32 s52, s52, s11
	s_cmp_eq_u32 s12, s53
	s_cselect_b64 s[4:5], -1, 0
.LBB233_12:                             ;   in Loop: Header=BB233_13 Depth=2
	s_and_b64 vcc, exec, s[4:5]
	s_cbranch_vccnz .LBB233_2
.LBB233_13:                             ;   Parent Loop BB233_3 Depth=1
                                        ; =>  This Inner Loop Header: Depth=2
	v_readlane_b32 s24, v27, s53
	v_readlane_b32 s29, v28, s53
	s_cmp_ge_i32 s24, s8
	s_mov_b64 s[4:5], -1
	s_cbranch_scc1 .LBB233_12
; %bb.14:                               ;   in Loop: Header=BB233_13 Depth=2
	s_mul_i32 s4, s24, s15
	s_add_i32 s25, s4, s29
	s_and_b64 s[4:5], s[36:37], exec
	s_cselect_b32 s28, s24, s25
	s_mul_hi_i32 s5, s28, s7
	s_mul_i32 s4, s28, s7
	s_lshl_b64 s[4:5], s[4:5], 1
	s_add_u32 s24, s20, s4
	s_addc_u32 s4, s21, s5
	s_and_b32 s25, s4, 0xffff
	buffer_load_dwordx4 v[0:3], v18, s[24:27], 0 offen
	buffer_load_dwordx4 v[30:33], v18, s[24:27], 16 offen
	s_cmp_lt_i32 s10, 16
	s_waitcnt vmcnt(1)
	v_cvt_f32_u32_sdwa v15, v0 dst_sel:DWORD dst_unused:UNUSED_PAD src0_sel:WORD_1
	v_cvt_f32_u32_sdwa v14, v0 dst_sel:DWORD dst_unused:UNUSED_PAD src0_sel:WORD_0
	v_cvt_f32_u32_sdwa v13, v1 dst_sel:DWORD dst_unused:UNUSED_PAD src0_sel:WORD_1
	v_cvt_f32_u32_sdwa v12, v1 dst_sel:DWORD dst_unused:UNUSED_PAD src0_sel:WORD_0
	;; [unrolled: 2-line block ×4, first 2 shown]
	s_waitcnt vmcnt(0)
	v_cvt_f32_u32_sdwa v7, v30 dst_sel:DWORD dst_unused:UNUSED_PAD src0_sel:WORD_1
	v_cvt_f32_u32_sdwa v6, v30 dst_sel:DWORD dst_unused:UNUSED_PAD src0_sel:WORD_0
	v_max3_f32 v29, v14, s47, v15
	v_cvt_f32_u32_sdwa v5, v31 dst_sel:DWORD dst_unused:UNUSED_PAD src0_sel:WORD_1
	v_cvt_f32_u32_sdwa v4, v31 dst_sel:DWORD dst_unused:UNUSED_PAD src0_sel:WORD_0
	v_max3_f32 v29, v29, v12, v13
	;; [unrolled: 3-line block ×4, first 2 shown]
	v_max3_f32 v29, v29, v6, v7
	v_max3_f32 v29, v29, v4, v5
	;; [unrolled: 1-line block ×4, first 2 shown]
	s_cbranch_scc1 .LBB233_20
; %bb.15:                               ;   in Loop: Header=BB233_13 Depth=2
	s_cmp_lt_i32 s10, 32
	s_cbranch_scc1 .LBB233_21
; %bb.16:                               ;   in Loop: Header=BB233_13 Depth=2
	s_cmp_lt_i32 s10, 64
	s_cbranch_scc1 .LBB233_22
; %bb.17:                               ;   in Loop: Header=BB233_13 Depth=2
	s_cmp_eq_u32 s10, 64
	v_mov_b32_e32 v30, v29
	s_cbranch_scc0 .LBB233_19
; %bb.18:                               ;   in Loop: Header=BB233_13 Depth=2
	s_nop 0
	v_mov_b32_dpp v30, v29 quad_perm:[1,0,3,2] row_mask:0xf bank_mask:0xf
	v_cmp_gt_f32_e32 vcc, v29, v30
	v_cndmask_b32_e32 v30, v30, v29, vcc
	s_nop 1
	v_mov_b32_dpp v31, v30 quad_perm:[2,3,0,1] row_mask:0xf bank_mask:0xf
	v_cmp_gt_f32_e32 vcc, v30, v31
	v_cndmask_b32_e32 v30, v31, v30, vcc
	s_nop 1
	v_mov_b32_dpp v31, v30 row_ror:4 row_mask:0xf bank_mask:0xf
	v_cmp_gt_f32_e32 vcc, v30, v31
	v_cndmask_b32_e32 v30, v31, v30, vcc
	s_nop 1
	v_mov_b32_dpp v31, v30 row_ror:8 row_mask:0xf bank_mask:0xf
	v_cmp_gt_f32_e32 vcc, v30, v31
	v_cndmask_b32_e32 v30, v31, v30, vcc
	s_nop 1
	v_mov_b32_dpp v31, v30 row_bcast:15 row_mask:0xf bank_mask:0xf
	v_cmp_gt_f32_e32 vcc, v30, v31
	v_cndmask_b32_e32 v30, v31, v30, vcc
	s_nop 1
	v_mov_b32_dpp v31, v30 row_bcast:31 row_mask:0xf bank_mask:0xf
	v_cmp_gt_f32_e32 vcc, v30, v31
	v_cndmask_b32_e32 v30, v31, v30, vcc
	ds_bpermute_b32 v30, v23, v30
.LBB233_19:                             ;   in Loop: Header=BB233_13 Depth=2
	s_cbranch_execz .LBB233_23
	s_branch .LBB233_25
.LBB233_20:                             ;   in Loop: Header=BB233_13 Depth=2
                                        ; implicit-def: $vgpr30
	s_branch .LBB233_29
.LBB233_21:                             ;   in Loop: Header=BB233_13 Depth=2
                                        ; implicit-def: $vgpr30
	s_branch .LBB233_26
.LBB233_22:                             ;   in Loop: Header=BB233_13 Depth=2
                                        ; implicit-def: $vgpr30
.LBB233_23:                             ;   in Loop: Header=BB233_13 Depth=2
	s_cmp_eq_u32 s10, 32
	s_waitcnt lgkmcnt(0)
	v_mov_b32_e32 v30, v29
	s_cbranch_scc0 .LBB233_25
; %bb.24:                               ;   in Loop: Header=BB233_13 Depth=2
	s_nop 0
	v_mov_b32_dpp v30, v29 quad_perm:[1,0,3,2] row_mask:0xf bank_mask:0xf
	v_cmp_gt_f32_e32 vcc, v29, v30
	v_cndmask_b32_e32 v30, v30, v29, vcc
	s_nop 1
	v_mov_b32_dpp v31, v30 quad_perm:[2,3,0,1] row_mask:0xf bank_mask:0xf
	v_cmp_gt_f32_e32 vcc, v30, v31
	v_cndmask_b32_e32 v30, v31, v30, vcc
	s_nop 1
	v_mov_b32_dpp v31, v30 row_half_mirror row_mask:0xf bank_mask:0xf
	v_cmp_gt_f32_e32 vcc, v30, v31
	v_cndmask_b32_e32 v30, v31, v30, vcc
	s_nop 1
	v_mov_b32_dpp v31, v30 row_mirror row_mask:0xf bank_mask:0xf
	v_cmp_gt_f32_e32 vcc, v30, v31
	v_cndmask_b32_e32 v30, v31, v30, vcc
	s_nop 1
	v_mov_b32_dpp v31, v30 row_bcast:15 row_mask:0xa bank_mask:0xf
	v_cmp_gt_f32_e32 vcc, v30, v31
	v_cndmask_b32_e32 v30, v31, v30, vcc
	v_lshl_or_b32 v31, v22, 2, v24
	ds_bpermute_b32 v30, v31, v30
.LBB233_25:                             ;   in Loop: Header=BB233_13 Depth=2
	s_cbranch_execnz .LBB233_28
.LBB233_26:                             ;   in Loop: Header=BB233_13 Depth=2
	s_cmp_eq_u32 s10, 16
	s_waitcnt lgkmcnt(0)
	v_mov_b32_e32 v30, v29
	s_cbranch_scc0 .LBB233_28
; %bb.27:                               ;   in Loop: Header=BB233_13 Depth=2
	s_nop 0
	v_mov_b32_dpp v30, v29 quad_perm:[1,0,3,2] row_mask:0xf bank_mask:0xf
	v_cmp_gt_f32_e32 vcc, v29, v30
	v_cndmask_b32_e32 v30, v30, v29, vcc
	s_nop 1
	v_mov_b32_dpp v31, v30 quad_perm:[2,3,0,1] row_mask:0xf bank_mask:0xf
	v_cmp_gt_f32_e32 vcc, v30, v31
	v_cndmask_b32_e32 v30, v31, v30, vcc
	s_nop 1
	v_mov_b32_dpp v31, v30 row_half_mirror row_mask:0xf bank_mask:0xf
	v_cmp_gt_f32_e32 vcc, v30, v31
	v_cndmask_b32_e32 v30, v31, v30, vcc
	s_nop 1
	v_mov_b32_dpp v31, v30 row_mirror row_mask:0xf bank_mask:0xf
	v_cmp_gt_f32_e32 vcc, v30, v31
	v_cndmask_b32_e32 v30, v31, v30, vcc
.LBB233_28:                             ;   in Loop: Header=BB233_13 Depth=2
	s_cbranch_execnz .LBB233_42
.LBB233_29:                             ;   in Loop: Header=BB233_13 Depth=2
	s_cmp_lt_i32 s10, 4
	s_cbranch_scc1 .LBB233_33
; %bb.30:                               ;   in Loop: Header=BB233_13 Depth=2
	s_cmp_lt_i32 s10, 8
	s_cbranch_scc1 .LBB233_34
; %bb.31:                               ;   in Loop: Header=BB233_13 Depth=2
	s_cmp_eq_u32 s10, 8
	s_waitcnt lgkmcnt(0)
	v_mov_b32_e32 v30, v29
	s_cbranch_scc0 .LBB233_35
; %bb.32:                               ;   in Loop: Header=BB233_13 Depth=2
	s_nop 0
	v_mov_b32_dpp v30, v29 quad_perm:[1,0,3,2] row_mask:0xf bank_mask:0xf
	v_cmp_gt_f32_e32 vcc, v29, v30
	v_cndmask_b32_e32 v30, v30, v29, vcc
	s_nop 1
	v_mov_b32_dpp v31, v30 quad_perm:[2,3,0,1] row_mask:0xf bank_mask:0xf
	v_cmp_gt_f32_e32 vcc, v30, v31
	v_cndmask_b32_e32 v30, v31, v30, vcc
	s_nop 1
	v_mov_b32_dpp v31, v30 row_half_mirror row_mask:0xf bank_mask:0xf
	v_cmp_gt_f32_e32 vcc, v30, v31
	v_cndmask_b32_e32 v30, v31, v30, vcc
	s_cbranch_execz .LBB233_36
	s_branch .LBB233_38
.LBB233_33:                             ;   in Loop: Header=BB233_13 Depth=2
                                        ; implicit-def: $vgpr30
	s_branch .LBB233_39
.LBB233_34:                             ;   in Loop: Header=BB233_13 Depth=2
                                        ; implicit-def: $vgpr30
	s_branch .LBB233_36
.LBB233_35:                             ;   in Loop: Header=BB233_13 Depth=2
	s_cbranch_execnz .LBB233_38
.LBB233_36:                             ;   in Loop: Header=BB233_13 Depth=2
	s_cmp_eq_u32 s10, 4
	s_waitcnt lgkmcnt(0)
	v_mov_b32_e32 v30, v29
	s_cbranch_scc0 .LBB233_38
; %bb.37:                               ;   in Loop: Header=BB233_13 Depth=2
	s_nop 0
	v_mov_b32_dpp v30, v29 quad_perm:[1,0,3,2] row_mask:0xf bank_mask:0xf
	v_cmp_gt_f32_e32 vcc, v29, v30
	v_cndmask_b32_e32 v30, v30, v29, vcc
	s_nop 1
	v_mov_b32_dpp v31, v30 quad_perm:[2,3,0,1] row_mask:0xf bank_mask:0xf
	v_cmp_gt_f32_e32 vcc, v30, v31
	v_cndmask_b32_e32 v30, v31, v30, vcc
.LBB233_38:                             ;   in Loop: Header=BB233_13 Depth=2
	s_cbranch_execnz .LBB233_42
.LBB233_39:                             ;   in Loop: Header=BB233_13 Depth=2
	s_cmp_lg_u32 s10, 2
	s_cbranch_scc1 .LBB233_41
; %bb.40:                               ;   in Loop: Header=BB233_13 Depth=2
	s_waitcnt lgkmcnt(0)
	v_mov_b32_dpp v30, v29 quad_perm:[1,0,3,2] row_mask:0xf bank_mask:0xf
	v_cmp_gt_f32_e32 vcc, v29, v30
	v_cndmask_b32_e32 v29, v30, v29, vcc
.LBB233_41:                             ;   in Loop: Header=BB233_13 Depth=2
	s_waitcnt lgkmcnt(0)
	v_mov_b32_e32 v30, v29
.LBB233_42:                             ;   in Loop: Header=BB233_13 Depth=2
	s_waitcnt lgkmcnt(0)
	v_mul_f32_e32 v29, 0x3b124925, v30
	v_bfe_u32 v30, v29, 23, 8
	v_and_b32_e32 v29, 0x7fffff, v29
	v_cmp_ne_u32_e32 vcc, s48, v30
	v_cmp_ne_u32_e64 s[4:5], 0, v29
	s_and_b64 vcc, s[4:5], vcc
	v_addc_co_u32_e32 v29, vcc, 0, v30, vcc
	s_and_saveexec_b64 s[4:5], s[38:39]
	s_cbranch_execz .LBB233_44
; %bb.43:                               ;   in Loop: Header=BB233_13 Depth=2
	s_ashr_i32 s24, s52, 31
	s_lshr_b32 s25, s24, 27
	s_add_i32 s25, s52, s25
	s_ashr_i32 s31, s25, 5
	s_and_b32 s25, s25, 0xffe0
	s_sub_i32 s25, s52, s25
	s_lshr_b32 s24, s24, 28
	s_bfe_i32 s54, s25, 0x80000
	s_add_i32 s24, s52, s24
	v_lshrrev_b16_e64 v30, 11, s54
	s_and_b32 s24, s24, 0x3ffffff0
	v_and_b32_e32 v30, 15, v30
	s_sub_i32 s24, s52, s24
	v_add_u16_e32 v30, s25, v30
	s_lshl_b32 s24, s24, 2
	v_ashrrev_i16_sdwa v30, v25, sext(v30) dst_sel:DWORD dst_unused:UNUSED_PAD src0_sel:DWORD src1_sel:BYTE_0
	s_mul_i32 s31, s44, s31
	v_add_u32_sdwa v30, sext(v30), s24 dst_sel:DWORD dst_unused:UNUSED_PAD src0_sel:WORD_0 src1_sel:DWORD
	v_add_u32_e32 v30, s31, v30
	v_add_u32_e32 v30, v30, v19
	v_ashrrev_i32_e32 v31, 31, v30
	v_mov_b32_e32 v32, s19
	v_add_co_u32_e32 v30, vcc, s18, v30
	v_addc_co_u32_e32 v31, vcc, v32, v31, vcc
	global_store_byte v[30:31], v29, off
.LBB233_44:                             ;   in Loop: Header=BB233_13 Depth=2
	s_or_b64 exec, exec, s[4:5]
	s_cmp_ge_i32 s29, s15
	s_cselect_b64 s[4:5], -1, 0
	s_and_b64 s[4:5], s[40:41], s[4:5]
	s_and_b64 vcc, exec, s[4:5]
	s_cbranch_vccnz .LBB233_11
; %bb.45:                               ;   in Loop: Header=BB233_13 Depth=2
	s_and_saveexec_b64 s[4:5], s[2:3]
	s_cbranch_execz .LBB233_10
; %bb.46:                               ;   in Loop: Header=BB233_13 Depth=2
	v_lshlrev_b32_e32 v29, 23, v29
	v_rcp_f32_e32 v30, v29
	s_mul_hi_i32 s24, s28, s45
	s_mul_i32 s28, s28, s45
	s_add_u32 s28, s16, s28
	v_mov_b32_e32 v31, v30
	;;#ASMSTART
	v_pk_mul_f32 v[14:15], v[14:15], v[30:31]
	;;#ASMEND
	;;#ASMSTART
	v_med3_f32 v14, v14, v20, v21
v_med3_f32 v15, v15, v20, v21
v_cvt_pk_fp8_f32 v29, v14, v15
	;;#ASMEND
	;;#ASMSTART
	v_pk_mul_f32 v[12:13], v[12:13], v[30:31]
	;;#ASMEND
	;;#ASMSTART
	v_med3_f32 v12, v12, v20, v21
v_med3_f32 v13, v13, v20, v21
v_cvt_pk_fp8_f32 v14, v12, v13
	;;#ASMEND
	;; [unrolled: 8-line block ×6, first 2 shown]
	;;#ASMSTART
	v_pk_mul_f32 v[2:3], v[2:3], v[30:31]
	;;#ASMEND
	s_addc_u32 s24, s17, s24
	v_perm_b32 v12, v14, v29, s49
	;;#ASMSTART
	v_med3_f32 v2, v2, v20, v21
v_med3_f32 v3, v3, v20, v21
v_cvt_pk_fp8_f32 v4, v2, v3
	;;#ASMEND
	;;#ASMSTART
	v_pk_mul_f32 v[0:1], v[0:1], v[30:31]
	;;#ASMEND
	s_and_b32 s29, s24, 0xffff
	s_mov_b32 s31, s27
	v_perm_b32 v12, v12, v14, s50
	v_perm_b32 v13, v13, v10, s51
	;; [unrolled: 1-line block ×3, first 2 shown]
	;;#ASMSTART
	v_med3_f32 v0, v0, v20, v21
v_med3_f32 v1, v1, v20, v21
v_cvt_pk_fp8_f32 v2, v0, v1
	;;#ASMEND
	v_perm_b32 v15, v4, v2, s51
	buffer_store_dwordx4 v[12:15], v17, s[28:31], 0 offen
	;;#ASMSTART
	s_nop 0
	;;#ASMEND
	s_branch .LBB233_10
.LBB233_47:
	s_endpgm
	.section	.rodata,"a",@progbits
	.p2align	6, 0x0
	.amdhsa_kernel _ZN5aiter30fused_mx_quant_moe_sort_kernelItDB8_Li256ELi16EEEvPT0_PhPKT_PKiS9_iiiiiiiii
		.amdhsa_group_segment_fixed_size 0
		.amdhsa_private_segment_fixed_size 0
		.amdhsa_kernarg_size 76
		.amdhsa_user_sgpr_count 6
		.amdhsa_user_sgpr_private_segment_buffer 1
		.amdhsa_user_sgpr_dispatch_ptr 0
		.amdhsa_user_sgpr_queue_ptr 0
		.amdhsa_user_sgpr_kernarg_segment_ptr 1
		.amdhsa_user_sgpr_dispatch_id 0
		.amdhsa_user_sgpr_flat_scratch_init 0
		.amdhsa_user_sgpr_kernarg_preload_length 0
		.amdhsa_user_sgpr_kernarg_preload_offset 0
		.amdhsa_user_sgpr_private_segment_size 0
		.amdhsa_uses_dynamic_stack 0
		.amdhsa_system_sgpr_private_segment_wavefront_offset 0
		.amdhsa_system_sgpr_workgroup_id_x 1
		.amdhsa_system_sgpr_workgroup_id_y 0
		.amdhsa_system_sgpr_workgroup_id_z 0
		.amdhsa_system_sgpr_workgroup_info 0
		.amdhsa_system_vgpr_workitem_id 0
		.amdhsa_next_free_vgpr 34
		.amdhsa_next_free_sgpr 55
		.amdhsa_accum_offset 36
		.amdhsa_reserve_vcc 1
		.amdhsa_reserve_flat_scratch 0
		.amdhsa_float_round_mode_32 0
		.amdhsa_float_round_mode_16_64 0
		.amdhsa_float_denorm_mode_32 3
		.amdhsa_float_denorm_mode_16_64 3
		.amdhsa_dx10_clamp 1
		.amdhsa_ieee_mode 1
		.amdhsa_fp16_overflow 0
		.amdhsa_tg_split 0
		.amdhsa_exception_fp_ieee_invalid_op 0
		.amdhsa_exception_fp_denorm_src 0
		.amdhsa_exception_fp_ieee_div_zero 0
		.amdhsa_exception_fp_ieee_overflow 0
		.amdhsa_exception_fp_ieee_underflow 0
		.amdhsa_exception_fp_ieee_inexact 0
		.amdhsa_exception_int_div_zero 0
	.end_amdhsa_kernel
	.section	.text._ZN5aiter30fused_mx_quant_moe_sort_kernelItDB8_Li256ELi16EEEvPT0_PhPKT_PKiS9_iiiiiiiii,"axG",@progbits,_ZN5aiter30fused_mx_quant_moe_sort_kernelItDB8_Li256ELi16EEEvPT0_PhPKT_PKiS9_iiiiiiiii,comdat
.Lfunc_end233:
	.size	_ZN5aiter30fused_mx_quant_moe_sort_kernelItDB8_Li256ELi16EEEvPT0_PhPKT_PKiS9_iiiiiiiii, .Lfunc_end233-_ZN5aiter30fused_mx_quant_moe_sort_kernelItDB8_Li256ELi16EEEvPT0_PhPKT_PKiS9_iiiiiiiii
                                        ; -- End function
	.section	.AMDGPU.csdata,"",@progbits
; Kernel info:
; codeLenInByte = 2380
; NumSgprs: 59
; NumVgprs: 34
; NumAgprs: 0
; TotalNumVgprs: 34
; ScratchSize: 0
; MemoryBound: 0
; FloatMode: 240
; IeeeMode: 1
; LDSByteSize: 0 bytes/workgroup (compile time only)
; SGPRBlocks: 7
; VGPRBlocks: 4
; NumSGPRsForWavesPerEU: 59
; NumVGPRsForWavesPerEU: 34
; AccumOffset: 36
; Occupancy: 8
; WaveLimiterHint : 0
; COMPUTE_PGM_RSRC2:SCRATCH_EN: 0
; COMPUTE_PGM_RSRC2:USER_SGPR: 6
; COMPUTE_PGM_RSRC2:TRAP_HANDLER: 0
; COMPUTE_PGM_RSRC2:TGID_X_EN: 1
; COMPUTE_PGM_RSRC2:TGID_Y_EN: 0
; COMPUTE_PGM_RSRC2:TGID_Z_EN: 0
; COMPUTE_PGM_RSRC2:TIDIG_COMP_CNT: 0
; COMPUTE_PGM_RSRC3_GFX90A:ACCUM_OFFSET: 8
; COMPUTE_PGM_RSRC3_GFX90A:TG_SPLIT: 0
	.section	.text._ZN5aiter30fused_mx_quant_moe_sort_kernelIDF16_DB8_Li256ELi32EEEvPT0_PhPKT_PKiS9_iiiiiiiii,"axG",@progbits,_ZN5aiter30fused_mx_quant_moe_sort_kernelIDF16_DB8_Li256ELi32EEEvPT0_PhPKT_PKiS9_iiiiiiiii,comdat
	.protected	_ZN5aiter30fused_mx_quant_moe_sort_kernelIDF16_DB8_Li256ELi32EEEvPT0_PhPKT_PKiS9_iiiiiiiii ; -- Begin function _ZN5aiter30fused_mx_quant_moe_sort_kernelIDF16_DB8_Li256ELi32EEEvPT0_PhPKT_PKiS9_iiiiiiiii
	.globl	_ZN5aiter30fused_mx_quant_moe_sort_kernelIDF16_DB8_Li256ELi32EEEvPT0_PhPKT_PKiS9_iiiiiiiii
	.p2align	8
	.type	_ZN5aiter30fused_mx_quant_moe_sort_kernelIDF16_DB8_Li256ELi32EEEvPT0_PhPKT_PKiS9_iiiiiiiii,@function
_ZN5aiter30fused_mx_quant_moe_sort_kernelIDF16_DB8_Li256ELi32EEEvPT0_PhPKT_PKiS9_iiiiiiiii: ; @_ZN5aiter30fused_mx_quant_moe_sort_kernelIDF16_DB8_Li256ELi32EEEvPT0_PhPKT_PKiS9_iiiiiiiii
; %bb.0:
	s_load_dwordx8 s[8:15], s[4:5], 0x28
	s_waitcnt lgkmcnt(0)
	s_abs_i32 s0, s10
	v_cvt_f32_u32_e32 v1, s0
	s_cmp_ge_i32 s6, s13
	v_rcp_iflag_f32_e32 v1, v1
	v_mul_f32_e32 v1, 0x4f7ffffe, v1
	v_cvt_u32_f32_e32 v1, v1
	v_readfirstlane_b32 s1, v1
	s_cbranch_scc1 .LBB234_47
; %bb.1:
	s_sub_i32 s25, 0, s0
	s_mul_i32 s25, s25, s1
	s_ashr_i32 s24, s10, 31
	s_mul_hi_u32 s25, s1, s25
	s_add_i32 s1, s1, s25
	s_lshr_b32 s25, s24, 27
	s_load_dwordx8 s[16:23], s[4:5], 0x0
	s_load_dwordx2 s[2:3], s[4:5], 0x20
	s_load_dword s7, s[4:5], 0x48
	s_add_i32 s4, s9, s10
	s_add_i32 s10, s10, s25
	s_ashr_i32 s10, s10, 5
	v_cvt_f32_u32_e32 v1, s10
	s_add_i32 s4, s4, -1
	s_ashr_i32 s5, s4, 31
	s_abs_i32 s4, s4
	v_rcp_iflag_f32_e32 v1, v1
	s_mul_hi_u32 s1, s4, s1
	s_waitcnt lgkmcnt(0)
	s_load_dword s33, s[2:3], 0x0
	s_mul_i32 s3, s1, s0
	s_sub_i32 s3, s4, s3
	v_mul_f32_e32 v1, 0x4f7ffffe, v1
	s_sub_i32 s25, 0, s10
	s_xor_b32 s2, s5, s24
	s_add_i32 s4, s1, 1
	s_sub_i32 s5, s3, s0
	v_cvt_u32_f32_e32 v1, v1
	s_cmp_ge_u32 s3, s0
	s_cselect_b32 s1, s4, s1
	s_cselect_b32 s3, s5, s3
	s_add_i32 s4, s1, 1
	s_cmp_ge_u32 s3, s0
	v_mul_lo_u32 v2, s25, v1
	s_cselect_b32 s0, s4, s1
	v_mul_hi_u32 v2, v1, v2
	s_xor_b32 s0, s0, s2
	v_add_u32_e32 v1, v1, v2
	s_sub_i32 s2, s0, s2
	v_mul_hi_u32 v1, v0, v1
	s_add_i32 s0, s2, 7
	v_mul_lo_u32 v2, v1, s10
	s_ashr_i32 s1, s0, 31
	v_sub_u32_e32 v2, v0, v2
	s_lshr_b32 s1, s1, 29
	v_add_u32_e32 v3, 1, v1
	v_cmp_le_u32_e32 vcc, s10, v2
	s_add_i32 s0, s0, s1
	v_cndmask_b32_e32 v1, v1, v3, vcc
	v_subrev_u32_e32 v3, s10, v2
	s_lshl_b32 s0, s0, 5
	v_cndmask_b32_e32 v2, v2, v3, vcc
	s_and_b32 s44, s0, 0xffffff00
	v_add_u32_e32 v3, 1, v1
	v_cmp_le_u32_e32 vcc, s10, v2
	v_cndmask_b32_e32 v1, v1, v3, vcc
	v_and_b32_e32 v2, 63, v0
	s_cmp_gt_i32 s12, 0
	v_cmp_gt_i32_e64 s[0:1], s12, v2
	v_mul_lo_u32 v34, v2, s11
	s_cselect_b64 s[34:35], -1, 0
	s_cmp_eq_u32 s15, 1
	v_lshlrev_b32_e32 v2, 5, v1
	v_lshlrev_b32_e32 v3, 6, v1
	v_lshrrev_b32_e32 v4, 1, v1
	s_cselect_b64 s[36:37], -1, 0
	v_and_b32_e32 v2, 0x7f00, v2
	v_and_b32_e32 v3, 0xc0, v3
	;; [unrolled: 1-line block ×3, first 2 shown]
	s_abs_i32 s46, s11
	v_or3_b32 v37, v3, v2, v4
	v_cvt_f32_u32_e32 v2, s46
	s_add_i32 s4, s9, 3
	v_cmp_gt_i32_e32 vcc, s2, v1
	s_add_i32 s2, s9, 31
	v_rcp_iflag_f32_e32 v2, v2
	s_ashr_i32 s5, s4, 31
	s_ashr_i32 s3, s2, 31
	s_lshr_b32 s5, s5, 30
	v_mul_f32_e32 v2, 0x4f7ffffe, v2
	v_cvt_u32_f32_e32 v2, v2
	s_lshr_b32 s3, s3, 27
	s_add_i32 s4, s4, s5
	s_add_i32 s2, s2, s3
	s_and_b32 s30, s4, -4
	s_sub_i32 s4, 0, s46
	v_readfirstlane_b32 s5, v2
	s_ashr_i32 s2, s2, 5
	s_mul_i32 s4, s4, s5
	v_mul_lo_u32 v1, v1, s10
	v_lshlrev_b32_e32 v35, 5, v0
	v_lshlrev_b32_e32 v36, 6, v0
	v_cmp_gt_u32_e64 s[2:3], s2, v0
	s_mul_hi_u32 s4, s5, s4
	v_sub_u32_e32 v0, v0, v1
	s_mov_b32 s45, s9
	s_lshl_b32 s26, s9, 1
	s_add_i32 s9, s5, s4
	v_cmp_eq_u32_e64 s[4:5], 0, v0
	v_mbcnt_lo_u32_b32 v0, -1, 0
	v_mbcnt_hi_u32_b32 v40, -1, v0
	v_bfrev_b32_e32 v0, 0.5
	s_and_b64 s[38:39], s[4:5], vcc
	s_mov_b32 s27, 0x20000
	s_mov_b32 s47, 0x2edbe6ff
	s_movk_i32 s48, 0xff
	s_xor_b64 s[40:41], s[36:37], -1
	v_mov_b32_e32 v38, 0xc3e00000
	v_mov_b32_e32 v39, 0x43e00000
	s_mov_b32 s49, 0x5040100
	s_mov_b32 s50, 0x1060504
	s_mov_b32 s51, 0x1000504
	v_lshl_or_b32 v41, v40, 2, v0
	v_mov_b32_e32 v42, 0x7c
	v_mov_b32_e32 v43, 4
                                        ; implicit-def: $vgpr44
	s_branch .LBB234_3
.LBB234_2:                              ;   in Loop: Header=BB234_3 Depth=1
	s_add_i32 s6, s6, s14
	s_cmp_lt_i32 s6, s13
	s_cselect_b64 s[4:5], -1, 0
	s_and_b64 s[4:5], s[42:43], s[4:5]
	s_and_b64 vcc, exec, s[4:5]
	s_cbranch_vccz .LBB234_47
.LBB234_3:                              ; =>This Loop Header: Depth=1
                                        ;     Child Loop BB234_13 Depth 2
	s_abs_i32 s4, s6
	s_mul_hi_u32 s5, s4, s9
	s_mul_i32 s5, s5, s46
	s_sub_i32 s4, s4, s5
	s_ashr_i32 s28, s6, 31
	s_sub_i32 s5, s4, s46
	s_cmp_ge_u32 s4, s46
	s_cselect_b32 s4, s5, s4
	s_sub_i32 s5, s4, s46
	s_cmp_ge_u32 s4, s46
	s_cselect_b32 s4, s5, s4
	s_xor_b32 s29, s4, s28
	s_sub_i32 s4, s29, s28
	s_sub_i32 s5, s6, s4
	s_mul_i32 s24, s5, s12
	s_add_i32 s24, s24, s4
	s_waitcnt lgkmcnt(0)
	s_cmp_lt_i32 s24, s33
	s_cselect_b64 s[42:43], -1, 0
	s_cmp_ge_i32 s24, s33
	s_cbranch_scc1 .LBB234_2
; %bb.4:                                ;   in Loop: Header=BB234_3 Depth=1
	s_and_saveexec_b64 s[4:5], s[0:1]
	s_cbranch_execz .LBB234_8
; %bb.5:                                ;   in Loop: Header=BB234_3 Depth=1
	v_add_u32_e32 v0, s24, v34
	v_cmp_gt_i32_e32 vcc, s33, v0
	s_waitcnt vmcnt(0)
	v_mov_b32_e32 v44, s8
	s_and_saveexec_b64 s[24:25], vcc
	s_cbranch_execz .LBB234_7
; %bb.6:                                ;   in Loop: Header=BB234_3 Depth=1
	v_ashrrev_i32_e32 v1, 31, v0
	v_lshlrev_b64 v[0:1], 2, v[0:1]
	v_mov_b32_e32 v2, s23
	v_add_co_u32_e32 v0, vcc, s22, v0
	v_addc_co_u32_e32 v1, vcc, v2, v1, vcc
	global_load_dword v44, v[0:1], off
.LBB234_7:                              ;   in Loop: Header=BB234_3 Depth=1
	s_or_b64 exec, exec, s[24:25]
.LBB234_8:                              ;   in Loop: Header=BB234_3 Depth=1
	s_or_b64 exec, exec, s[4:5]
	s_andn2_b64 vcc, exec, s[34:35]
	s_cbranch_vccnz .LBB234_2
; %bb.9:                                ;   in Loop: Header=BB234_3 Depth=1
	s_add_i32 s4, s6, s28
	s_sub_i32 s4, s4, s29
	s_mul_i32 s4, s12, s4
	s_add_i32 s29, s29, s4
	s_waitcnt vmcnt(0)
	v_and_b32_e32 v45, 0xffffff, v44
	v_ashrrev_i32_e32 v46, 24, v44
	s_sub_i32 s52, s29, s28
	s_mov_b32 s53, 0
	s_branch .LBB234_13
.LBB234_10:                             ;   in Loop: Header=BB234_13 Depth=2
	s_or_b64 exec, exec, s[4:5]
.LBB234_11:                             ;   in Loop: Header=BB234_13 Depth=2
	s_add_i32 s53, s53, 1
	s_add_i32 s52, s52, s11
	s_cmp_eq_u32 s12, s53
	s_cselect_b64 s[4:5], -1, 0
.LBB234_12:                             ;   in Loop: Header=BB234_13 Depth=2
	s_and_b64 vcc, exec, s[4:5]
	s_cbranch_vccnz .LBB234_2
.LBB234_13:                             ;   Parent Loop BB234_3 Depth=1
                                        ; =>  This Inner Loop Header: Depth=2
	v_readlane_b32 s24, v45, s53
	v_readlane_b32 s29, v46, s53
	s_cmp_ge_i32 s24, s8
	s_mov_b64 s[4:5], -1
	s_cbranch_scc1 .LBB234_12
; %bb.14:                               ;   in Loop: Header=BB234_13 Depth=2
	s_mul_i32 s4, s24, s15
	s_add_i32 s25, s4, s29
	s_and_b64 s[4:5], s[36:37], exec
	s_cselect_b32 s28, s24, s25
	s_mul_hi_i32 s5, s28, s7
	s_mul_i32 s4, s28, s7
	s_lshl_b64 s[4:5], s[4:5], 1
	s_add_u32 s24, s20, s4
	s_addc_u32 s4, s21, s5
	s_and_b32 s25, s4, 0xffff
	buffer_load_dwordx4 v[0:3], v36, s[24:27], 0 offen
	buffer_load_dwordx4 v[4:7], v36, s[24:27], 16 offen
	;; [unrolled: 1-line block ×4, first 2 shown]
	s_cmp_lt_i32 s10, 16
	s_waitcnt vmcnt(3)
	v_cvt_f32_f16_e32 v30, v0
	v_cvt_f32_f16_sdwa v31, v0 dst_sel:DWORD dst_unused:UNUSED_PAD src0_sel:WORD_1
	v_cvt_f32_f16_e32 v28, v1
	v_cvt_f32_f16_sdwa v29, v1 dst_sel:DWORD dst_unused:UNUSED_PAD src0_sel:WORD_1
	;; [unrolled: 2-line block ×4, first 2 shown]
	s_waitcnt vmcnt(2)
	v_cvt_f32_f16_e32 v22, v4
	v_cvt_f32_f16_sdwa v23, v4 dst_sel:DWORD dst_unused:UNUSED_PAD src0_sel:WORD_1
	v_max3_f32 v32, |v30|, s47, |v31|
	v_cvt_f32_f16_e32 v20, v5
	v_cvt_f32_f16_sdwa v21, v5 dst_sel:DWORD dst_unused:UNUSED_PAD src0_sel:WORD_1
	v_max3_f32 v32, v32, |v28|, |v29|
	v_cvt_f32_f16_e32 v18, v6
	v_cvt_f32_f16_sdwa v19, v6 dst_sel:DWORD dst_unused:UNUSED_PAD src0_sel:WORD_1
	v_max3_f32 v32, v32, |v26|, |v27|
	;; [unrolled: 3-line block ×3, first 2 shown]
	s_waitcnt vmcnt(1)
	v_cvt_f32_f16_e32 v14, v48
	v_cvt_f32_f16_sdwa v15, v48 dst_sel:DWORD dst_unused:UNUSED_PAD src0_sel:WORD_1
	v_max3_f32 v32, v32, |v22|, |v23|
	v_cvt_f32_f16_e32 v12, v49
	v_cvt_f32_f16_sdwa v13, v49 dst_sel:DWORD dst_unused:UNUSED_PAD src0_sel:WORD_1
	v_max3_f32 v32, v32, |v20|, |v21|
	;; [unrolled: 3-line block ×4, first 2 shown]
	s_waitcnt vmcnt(0)
	v_cvt_f32_f16_e32 v6, v52
	v_cvt_f32_f16_sdwa v7, v52 dst_sel:DWORD dst_unused:UNUSED_PAD src0_sel:WORD_1
	v_max3_f32 v32, v32, |v14|, |v15|
	v_cvt_f32_f16_e32 v4, v53
	v_cvt_f32_f16_sdwa v5, v53 dst_sel:DWORD dst_unused:UNUSED_PAD src0_sel:WORD_1
	v_max3_f32 v32, v32, |v12|, |v13|
	;; [unrolled: 3-line block ×4, first 2 shown]
	v_max3_f32 v32, v32, |v6|, |v7|
	v_max3_f32 v32, v32, |v4|, |v5|
	;; [unrolled: 1-line block ×4, first 2 shown]
	s_cbranch_scc1 .LBB234_20
; %bb.15:                               ;   in Loop: Header=BB234_13 Depth=2
	s_cmp_lt_i32 s10, 32
	s_cbranch_scc1 .LBB234_21
; %bb.16:                               ;   in Loop: Header=BB234_13 Depth=2
	s_cmp_lt_i32 s10, 64
	s_cbranch_scc1 .LBB234_22
; %bb.17:                               ;   in Loop: Header=BB234_13 Depth=2
	s_cmp_eq_u32 s10, 64
	v_mov_b32_e32 v33, v32
	s_cbranch_scc0 .LBB234_19
; %bb.18:                               ;   in Loop: Header=BB234_13 Depth=2
	s_nop 0
	v_mov_b32_dpp v33, v32 quad_perm:[1,0,3,2] row_mask:0xf bank_mask:0xf
	v_cmp_gt_f32_e32 vcc, v32, v33
	v_cndmask_b32_e32 v33, v33, v32, vcc
	s_nop 1
	v_mov_b32_dpp v47, v33 quad_perm:[2,3,0,1] row_mask:0xf bank_mask:0xf
	v_cmp_gt_f32_e32 vcc, v33, v47
	v_cndmask_b32_e32 v33, v47, v33, vcc
	s_nop 1
	v_mov_b32_dpp v47, v33 row_ror:4 row_mask:0xf bank_mask:0xf
	v_cmp_gt_f32_e32 vcc, v33, v47
	v_cndmask_b32_e32 v33, v47, v33, vcc
	s_nop 1
	v_mov_b32_dpp v47, v33 row_ror:8 row_mask:0xf bank_mask:0xf
	v_cmp_gt_f32_e32 vcc, v33, v47
	v_cndmask_b32_e32 v33, v47, v33, vcc
	s_nop 1
	v_mov_b32_dpp v47, v33 row_bcast:15 row_mask:0xf bank_mask:0xf
	v_cmp_gt_f32_e32 vcc, v33, v47
	v_cndmask_b32_e32 v33, v47, v33, vcc
	s_nop 1
	v_mov_b32_dpp v47, v33 row_bcast:31 row_mask:0xf bank_mask:0xf
	v_cmp_gt_f32_e32 vcc, v33, v47
	v_cndmask_b32_e32 v33, v47, v33, vcc
	ds_bpermute_b32 v33, v41, v33
.LBB234_19:                             ;   in Loop: Header=BB234_13 Depth=2
	s_cbranch_execz .LBB234_23
	s_branch .LBB234_25
.LBB234_20:                             ;   in Loop: Header=BB234_13 Depth=2
                                        ; implicit-def: $vgpr33
	s_branch .LBB234_29
.LBB234_21:                             ;   in Loop: Header=BB234_13 Depth=2
                                        ; implicit-def: $vgpr33
	s_branch .LBB234_26
.LBB234_22:                             ;   in Loop: Header=BB234_13 Depth=2
                                        ; implicit-def: $vgpr33
.LBB234_23:                             ;   in Loop: Header=BB234_13 Depth=2
	s_cmp_eq_u32 s10, 32
	s_waitcnt lgkmcnt(0)
	v_mov_b32_e32 v33, v32
	s_cbranch_scc0 .LBB234_25
; %bb.24:                               ;   in Loop: Header=BB234_13 Depth=2
	s_nop 0
	v_mov_b32_dpp v33, v32 quad_perm:[1,0,3,2] row_mask:0xf bank_mask:0xf
	v_cmp_gt_f32_e32 vcc, v32, v33
	v_cndmask_b32_e32 v33, v33, v32, vcc
	s_nop 1
	v_mov_b32_dpp v47, v33 quad_perm:[2,3,0,1] row_mask:0xf bank_mask:0xf
	v_cmp_gt_f32_e32 vcc, v33, v47
	v_cndmask_b32_e32 v33, v47, v33, vcc
	s_nop 1
	v_mov_b32_dpp v47, v33 row_half_mirror row_mask:0xf bank_mask:0xf
	v_cmp_gt_f32_e32 vcc, v33, v47
	v_cndmask_b32_e32 v33, v47, v33, vcc
	s_nop 1
	v_mov_b32_dpp v47, v33 row_mirror row_mask:0xf bank_mask:0xf
	v_cmp_gt_f32_e32 vcc, v33, v47
	v_cndmask_b32_e32 v33, v47, v33, vcc
	s_nop 1
	v_mov_b32_dpp v47, v33 row_bcast:15 row_mask:0xa bank_mask:0xf
	v_cmp_gt_f32_e32 vcc, v33, v47
	v_cndmask_b32_e32 v33, v47, v33, vcc
	v_lshl_or_b32 v47, v40, 2, v42
	ds_bpermute_b32 v33, v47, v33
.LBB234_25:                             ;   in Loop: Header=BB234_13 Depth=2
	s_cbranch_execnz .LBB234_28
.LBB234_26:                             ;   in Loop: Header=BB234_13 Depth=2
	s_cmp_eq_u32 s10, 16
	s_waitcnt lgkmcnt(0)
	v_mov_b32_e32 v33, v32
	s_cbranch_scc0 .LBB234_28
; %bb.27:                               ;   in Loop: Header=BB234_13 Depth=2
	s_nop 0
	v_mov_b32_dpp v33, v32 quad_perm:[1,0,3,2] row_mask:0xf bank_mask:0xf
	v_cmp_gt_f32_e32 vcc, v32, v33
	v_cndmask_b32_e32 v33, v33, v32, vcc
	s_nop 1
	v_mov_b32_dpp v47, v33 quad_perm:[2,3,0,1] row_mask:0xf bank_mask:0xf
	v_cmp_gt_f32_e32 vcc, v33, v47
	v_cndmask_b32_e32 v33, v47, v33, vcc
	s_nop 1
	v_mov_b32_dpp v47, v33 row_half_mirror row_mask:0xf bank_mask:0xf
	v_cmp_gt_f32_e32 vcc, v33, v47
	v_cndmask_b32_e32 v33, v47, v33, vcc
	s_nop 1
	v_mov_b32_dpp v47, v33 row_mirror row_mask:0xf bank_mask:0xf
	v_cmp_gt_f32_e32 vcc, v33, v47
	v_cndmask_b32_e32 v33, v47, v33, vcc
.LBB234_28:                             ;   in Loop: Header=BB234_13 Depth=2
	s_cbranch_execnz .LBB234_42
.LBB234_29:                             ;   in Loop: Header=BB234_13 Depth=2
	s_cmp_lt_i32 s10, 4
	s_cbranch_scc1 .LBB234_33
; %bb.30:                               ;   in Loop: Header=BB234_13 Depth=2
	s_cmp_lt_i32 s10, 8
	s_cbranch_scc1 .LBB234_34
; %bb.31:                               ;   in Loop: Header=BB234_13 Depth=2
	s_cmp_eq_u32 s10, 8
	s_waitcnt lgkmcnt(0)
	v_mov_b32_e32 v33, v32
	s_cbranch_scc0 .LBB234_35
; %bb.32:                               ;   in Loop: Header=BB234_13 Depth=2
	s_nop 0
	v_mov_b32_dpp v33, v32 quad_perm:[1,0,3,2] row_mask:0xf bank_mask:0xf
	v_cmp_gt_f32_e32 vcc, v32, v33
	v_cndmask_b32_e32 v33, v33, v32, vcc
	s_nop 1
	v_mov_b32_dpp v47, v33 quad_perm:[2,3,0,1] row_mask:0xf bank_mask:0xf
	v_cmp_gt_f32_e32 vcc, v33, v47
	v_cndmask_b32_e32 v33, v47, v33, vcc
	s_nop 1
	v_mov_b32_dpp v47, v33 row_half_mirror row_mask:0xf bank_mask:0xf
	v_cmp_gt_f32_e32 vcc, v33, v47
	v_cndmask_b32_e32 v33, v47, v33, vcc
	s_cbranch_execz .LBB234_36
	s_branch .LBB234_38
.LBB234_33:                             ;   in Loop: Header=BB234_13 Depth=2
                                        ; implicit-def: $vgpr33
	s_branch .LBB234_39
.LBB234_34:                             ;   in Loop: Header=BB234_13 Depth=2
                                        ; implicit-def: $vgpr33
	s_branch .LBB234_36
.LBB234_35:                             ;   in Loop: Header=BB234_13 Depth=2
	s_cbranch_execnz .LBB234_38
.LBB234_36:                             ;   in Loop: Header=BB234_13 Depth=2
	s_cmp_eq_u32 s10, 4
	s_waitcnt lgkmcnt(0)
	v_mov_b32_e32 v33, v32
	s_cbranch_scc0 .LBB234_38
; %bb.37:                               ;   in Loop: Header=BB234_13 Depth=2
	s_nop 0
	v_mov_b32_dpp v33, v32 quad_perm:[1,0,3,2] row_mask:0xf bank_mask:0xf
	v_cmp_gt_f32_e32 vcc, v32, v33
	v_cndmask_b32_e32 v33, v33, v32, vcc
	s_nop 1
	v_mov_b32_dpp v47, v33 quad_perm:[2,3,0,1] row_mask:0xf bank_mask:0xf
	v_cmp_gt_f32_e32 vcc, v33, v47
	v_cndmask_b32_e32 v33, v47, v33, vcc
.LBB234_38:                             ;   in Loop: Header=BB234_13 Depth=2
	s_cbranch_execnz .LBB234_42
.LBB234_39:                             ;   in Loop: Header=BB234_13 Depth=2
	s_cmp_lg_u32 s10, 2
	s_cbranch_scc1 .LBB234_41
; %bb.40:                               ;   in Loop: Header=BB234_13 Depth=2
	s_waitcnt lgkmcnt(0)
	v_mov_b32_dpp v33, v32 quad_perm:[1,0,3,2] row_mask:0xf bank_mask:0xf
	v_cmp_gt_f32_e32 vcc, v32, v33
	v_cndmask_b32_e32 v32, v33, v32, vcc
.LBB234_41:                             ;   in Loop: Header=BB234_13 Depth=2
	s_waitcnt lgkmcnt(0)
	v_mov_b32_e32 v33, v32
.LBB234_42:                             ;   in Loop: Header=BB234_13 Depth=2
	s_waitcnt lgkmcnt(0)
	v_mul_f32_e32 v32, 0x3b124925, v33
	v_bfe_u32 v33, v32, 23, 8
	v_and_b32_e32 v32, 0x7fffff, v32
	v_cmp_ne_u32_e32 vcc, s48, v33
	v_cmp_ne_u32_e64 s[4:5], 0, v32
	s_and_b64 vcc, s[4:5], vcc
	v_addc_co_u32_e32 v32, vcc, 0, v33, vcc
	s_and_saveexec_b64 s[4:5], s[38:39]
	s_cbranch_execz .LBB234_44
; %bb.43:                               ;   in Loop: Header=BB234_13 Depth=2
	s_ashr_i32 s24, s52, 31
	s_lshr_b32 s25, s24, 27
	s_add_i32 s25, s52, s25
	s_ashr_i32 s31, s25, 5
	s_and_b32 s25, s25, 0xffe0
	s_sub_i32 s25, s52, s25
	s_lshr_b32 s24, s24, 28
	s_bfe_i32 s54, s25, 0x80000
	s_add_i32 s24, s52, s24
	v_lshrrev_b16_e64 v33, 11, s54
	s_and_b32 s24, s24, 0x3ffffff0
	v_and_b32_e32 v33, 15, v33
	s_sub_i32 s24, s52, s24
	v_add_u16_e32 v33, s25, v33
	s_lshl_b32 s24, s24, 2
	v_ashrrev_i16_sdwa v33, v43, sext(v33) dst_sel:DWORD dst_unused:UNUSED_PAD src0_sel:DWORD src1_sel:BYTE_0
	s_mul_i32 s31, s44, s31
	v_add_u32_sdwa v33, sext(v33), s24 dst_sel:DWORD dst_unused:UNUSED_PAD src0_sel:WORD_0 src1_sel:DWORD
	v_add_u32_e32 v33, s31, v33
	v_add_u32_e32 v33, v33, v37
	v_ashrrev_i32_e32 v47, 31, v33
	v_mov_b32_e32 v49, s19
	v_add_co_u32_e32 v48, vcc, s18, v33
	v_addc_co_u32_e32 v49, vcc, v49, v47, vcc
	global_store_byte v[48:49], v32, off
.LBB234_44:                             ;   in Loop: Header=BB234_13 Depth=2
	s_or_b64 exec, exec, s[4:5]
	s_cmp_ge_i32 s29, s15
	s_cselect_b64 s[4:5], -1, 0
	s_and_b64 s[4:5], s[40:41], s[4:5]
	s_and_b64 vcc, exec, s[4:5]
	s_cbranch_vccnz .LBB234_11
; %bb.45:                               ;   in Loop: Header=BB234_13 Depth=2
	s_and_saveexec_b64 s[4:5], s[2:3]
	s_cbranch_execz .LBB234_10
; %bb.46:                               ;   in Loop: Header=BB234_13 Depth=2
	v_lshlrev_b32_e32 v32, 23, v32
	v_rcp_f32_e32 v32, v32
	s_mul_hi_i32 s24, s28, s45
	s_mul_i32 s28, s28, s45
	s_add_u32 s28, s16, s28
	v_mov_b32_e32 v33, v32
	;;#ASMSTART
	v_pk_mul_f32 v[30:31], v[30:31], v[32:33]
	;;#ASMEND
	;;#ASMSTART
	v_med3_f32 v30, v30, v38, v39
v_med3_f32 v31, v31, v38, v39
v_cvt_pk_fp8_f32 v47, v30, v31
	;;#ASMEND
	;;#ASMSTART
	v_pk_mul_f32 v[28:29], v[28:29], v[32:33]
	;;#ASMEND
	;;#ASMSTART
	v_med3_f32 v28, v28, v38, v39
v_med3_f32 v29, v29, v38, v39
v_cvt_pk_fp8_f32 v30, v28, v29
	;;#ASMEND
	;; [unrolled: 8-line block ×6, first 2 shown]
	;;#ASMSTART
	v_pk_mul_f32 v[18:19], v[18:19], v[32:33]
	;;#ASMEND
	s_addc_u32 s24, s17, s24
	v_perm_b32 v28, v30, v47, s49
	;;#ASMSTART
	v_med3_f32 v18, v18, v38, v39
v_med3_f32 v19, v19, v38, v39
v_cvt_pk_fp8_f32 v20, v18, v19
	;;#ASMEND
	;;#ASMSTART
	v_pk_mul_f32 v[16:17], v[16:17], v[32:33]
	;;#ASMEND
	s_and_b32 s29, s24, 0xffff
	s_mov_b32 s31, s27
	v_perm_b32 v28, v28, v30, s50
	v_perm_b32 v29, v29, v26, s51
	;; [unrolled: 1-line block ×3, first 2 shown]
	;;#ASMSTART
	v_med3_f32 v16, v16, v38, v39
v_med3_f32 v17, v17, v38, v39
v_cvt_pk_fp8_f32 v18, v16, v17
	;;#ASMEND
	v_perm_b32 v31, v20, v18, s51
	buffer_store_dwordx4 v[28:31], v35, s[28:31], 0 offen
	;;#ASMSTART
	s_nop 0
	;;#ASMEND
	;;#ASMSTART
	v_pk_mul_f32 v[14:15], v[14:15], v[32:33]
	;;#ASMEND
	;;#ASMSTART
	v_med3_f32 v14, v14, v38, v39
v_med3_f32 v15, v15, v38, v39
v_cvt_pk_fp8_f32 v16, v14, v15
	;;#ASMEND
	;;#ASMSTART
	v_pk_mul_f32 v[12:13], v[12:13], v[32:33]
	;;#ASMEND
	;;#ASMSTART
	v_med3_f32 v12, v12, v38, v39
v_med3_f32 v13, v13, v38, v39
v_cvt_pk_fp8_f32 v14, v12, v13
	;; [unrolled: 8-line block ×6, first 2 shown]
	;;#ASMEND
	;;#ASMSTART
	v_pk_mul_f32 v[2:3], v[2:3], v[32:33]
	;;#ASMEND
	v_perm_b32 v12, v14, v16, s49
	;;#ASMSTART
	v_med3_f32 v2, v2, v38, v39
v_med3_f32 v3, v3, v38, v39
v_cvt_pk_fp8_f32 v4, v2, v3
	;;#ASMEND
	;;#ASMSTART
	v_pk_mul_f32 v[0:1], v[0:1], v[32:33]
	;;#ASMEND
	v_perm_b32 v12, v12, v14, s50
	v_perm_b32 v13, v13, v10, s51
	v_perm_b32 v14, v8, v6, s51
	;;#ASMSTART
	v_med3_f32 v0, v0, v38, v39
v_med3_f32 v1, v1, v38, v39
v_cvt_pk_fp8_f32 v2, v0, v1
	;;#ASMEND
	v_perm_b32 v15, v4, v2, s51
	buffer_store_dwordx4 v[12:15], v35, s[28:31], 16 offen
	;;#ASMSTART
	s_nop 0
	;;#ASMEND
	s_branch .LBB234_10
.LBB234_47:
	s_endpgm
	.section	.rodata,"a",@progbits
	.p2align	6, 0x0
	.amdhsa_kernel _ZN5aiter30fused_mx_quant_moe_sort_kernelIDF16_DB8_Li256ELi32EEEvPT0_PhPKT_PKiS9_iiiiiiiii
		.amdhsa_group_segment_fixed_size 0
		.amdhsa_private_segment_fixed_size 0
		.amdhsa_kernarg_size 76
		.amdhsa_user_sgpr_count 6
		.amdhsa_user_sgpr_private_segment_buffer 1
		.amdhsa_user_sgpr_dispatch_ptr 0
		.amdhsa_user_sgpr_queue_ptr 0
		.amdhsa_user_sgpr_kernarg_segment_ptr 1
		.amdhsa_user_sgpr_dispatch_id 0
		.amdhsa_user_sgpr_flat_scratch_init 0
		.amdhsa_user_sgpr_kernarg_preload_length 0
		.amdhsa_user_sgpr_kernarg_preload_offset 0
		.amdhsa_user_sgpr_private_segment_size 0
		.amdhsa_uses_dynamic_stack 0
		.amdhsa_system_sgpr_private_segment_wavefront_offset 0
		.amdhsa_system_sgpr_workgroup_id_x 1
		.amdhsa_system_sgpr_workgroup_id_y 0
		.amdhsa_system_sgpr_workgroup_id_z 0
		.amdhsa_system_sgpr_workgroup_info 0
		.amdhsa_system_vgpr_workitem_id 0
		.amdhsa_next_free_vgpr 56
		.amdhsa_next_free_sgpr 55
		.amdhsa_accum_offset 56
		.amdhsa_reserve_vcc 1
		.amdhsa_reserve_flat_scratch 0
		.amdhsa_float_round_mode_32 0
		.amdhsa_float_round_mode_16_64 0
		.amdhsa_float_denorm_mode_32 3
		.amdhsa_float_denorm_mode_16_64 3
		.amdhsa_dx10_clamp 1
		.amdhsa_ieee_mode 1
		.amdhsa_fp16_overflow 0
		.amdhsa_tg_split 0
		.amdhsa_exception_fp_ieee_invalid_op 0
		.amdhsa_exception_fp_denorm_src 0
		.amdhsa_exception_fp_ieee_div_zero 0
		.amdhsa_exception_fp_ieee_overflow 0
		.amdhsa_exception_fp_ieee_underflow 0
		.amdhsa_exception_fp_ieee_inexact 0
		.amdhsa_exception_int_div_zero 0
	.end_amdhsa_kernel
	.section	.text._ZN5aiter30fused_mx_quant_moe_sort_kernelIDF16_DB8_Li256ELi32EEEvPT0_PhPKT_PKiS9_iiiiiiiii,"axG",@progbits,_ZN5aiter30fused_mx_quant_moe_sort_kernelIDF16_DB8_Li256ELi32EEEvPT0_PhPKT_PKiS9_iiiiiiiii,comdat
.Lfunc_end234:
	.size	_ZN5aiter30fused_mx_quant_moe_sort_kernelIDF16_DB8_Li256ELi32EEEvPT0_PhPKT_PKiS9_iiiiiiiii, .Lfunc_end234-_ZN5aiter30fused_mx_quant_moe_sort_kernelIDF16_DB8_Li256ELi32EEEvPT0_PhPKT_PKiS9_iiiiiiiii
                                        ; -- End function
	.section	.AMDGPU.csdata,"",@progbits
; Kernel info:
; codeLenInByte = 2844
; NumSgprs: 59
; NumVgprs: 56
; NumAgprs: 0
; TotalNumVgprs: 56
; ScratchSize: 0
; MemoryBound: 0
; FloatMode: 240
; IeeeMode: 1
; LDSByteSize: 0 bytes/workgroup (compile time only)
; SGPRBlocks: 7
; VGPRBlocks: 6
; NumSGPRsForWavesPerEU: 59
; NumVGPRsForWavesPerEU: 56
; AccumOffset: 56
; Occupancy: 8
; WaveLimiterHint : 0
; COMPUTE_PGM_RSRC2:SCRATCH_EN: 0
; COMPUTE_PGM_RSRC2:USER_SGPR: 6
; COMPUTE_PGM_RSRC2:TRAP_HANDLER: 0
; COMPUTE_PGM_RSRC2:TGID_X_EN: 1
; COMPUTE_PGM_RSRC2:TGID_Y_EN: 0
; COMPUTE_PGM_RSRC2:TGID_Z_EN: 0
; COMPUTE_PGM_RSRC2:TIDIG_COMP_CNT: 0
; COMPUTE_PGM_RSRC3_GFX90A:ACCUM_OFFSET: 13
; COMPUTE_PGM_RSRC3_GFX90A:TG_SPLIT: 0
	.section	.text._ZN5aiter30fused_mx_quant_moe_sort_kernelItDB8_Li256ELi32EEEvPT0_PhPKT_PKiS9_iiiiiiiii,"axG",@progbits,_ZN5aiter30fused_mx_quant_moe_sort_kernelItDB8_Li256ELi32EEEvPT0_PhPKT_PKiS9_iiiiiiiii,comdat
	.protected	_ZN5aiter30fused_mx_quant_moe_sort_kernelItDB8_Li256ELi32EEEvPT0_PhPKT_PKiS9_iiiiiiiii ; -- Begin function _ZN5aiter30fused_mx_quant_moe_sort_kernelItDB8_Li256ELi32EEEvPT0_PhPKT_PKiS9_iiiiiiiii
	.globl	_ZN5aiter30fused_mx_quant_moe_sort_kernelItDB8_Li256ELi32EEEvPT0_PhPKT_PKiS9_iiiiiiiii
	.p2align	8
	.type	_ZN5aiter30fused_mx_quant_moe_sort_kernelItDB8_Li256ELi32EEEvPT0_PhPKT_PKiS9_iiiiiiiii,@function
_ZN5aiter30fused_mx_quant_moe_sort_kernelItDB8_Li256ELi32EEEvPT0_PhPKT_PKiS9_iiiiiiiii: ; @_ZN5aiter30fused_mx_quant_moe_sort_kernelItDB8_Li256ELi32EEEvPT0_PhPKT_PKiS9_iiiiiiiii
; %bb.0:
	s_load_dwordx8 s[8:15], s[4:5], 0x28
	s_waitcnt lgkmcnt(0)
	s_abs_i32 s0, s10
	v_cvt_f32_u32_e32 v1, s0
	s_cmp_ge_i32 s6, s13
	v_rcp_iflag_f32_e32 v1, v1
	v_mul_f32_e32 v1, 0x4f7ffffe, v1
	v_cvt_u32_f32_e32 v1, v1
	v_readfirstlane_b32 s1, v1
	s_cbranch_scc1 .LBB235_47
; %bb.1:
	s_sub_i32 s25, 0, s0
	s_mul_i32 s25, s25, s1
	s_ashr_i32 s24, s10, 31
	s_mul_hi_u32 s25, s1, s25
	s_add_i32 s1, s1, s25
	s_lshr_b32 s25, s24, 27
	s_load_dwordx8 s[16:23], s[4:5], 0x0
	s_load_dwordx2 s[2:3], s[4:5], 0x20
	s_load_dword s7, s[4:5], 0x48
	s_add_i32 s4, s9, s10
	s_add_i32 s10, s10, s25
	s_ashr_i32 s10, s10, 5
	v_cvt_f32_u32_e32 v1, s10
	s_add_i32 s4, s4, -1
	s_ashr_i32 s5, s4, 31
	s_abs_i32 s4, s4
	v_rcp_iflag_f32_e32 v1, v1
	s_mul_hi_u32 s1, s4, s1
	s_waitcnt lgkmcnt(0)
	s_load_dword s33, s[2:3], 0x0
	s_mul_i32 s3, s1, s0
	s_sub_i32 s3, s4, s3
	v_mul_f32_e32 v1, 0x4f7ffffe, v1
	s_sub_i32 s25, 0, s10
	s_xor_b32 s2, s5, s24
	s_add_i32 s4, s1, 1
	s_sub_i32 s5, s3, s0
	v_cvt_u32_f32_e32 v1, v1
	s_cmp_ge_u32 s3, s0
	s_cselect_b32 s1, s4, s1
	s_cselect_b32 s3, s5, s3
	s_add_i32 s4, s1, 1
	s_cmp_ge_u32 s3, s0
	v_mul_lo_u32 v2, s25, v1
	s_cselect_b32 s0, s4, s1
	v_mul_hi_u32 v2, v1, v2
	s_xor_b32 s0, s0, s2
	v_add_u32_e32 v1, v1, v2
	s_sub_i32 s2, s0, s2
	v_mul_hi_u32 v1, v0, v1
	s_add_i32 s0, s2, 7
	v_mul_lo_u32 v2, v1, s10
	s_ashr_i32 s1, s0, 31
	v_sub_u32_e32 v2, v0, v2
	s_lshr_b32 s1, s1, 29
	v_add_u32_e32 v3, 1, v1
	v_cmp_le_u32_e32 vcc, s10, v2
	s_add_i32 s0, s0, s1
	v_cndmask_b32_e32 v1, v1, v3, vcc
	v_subrev_u32_e32 v3, s10, v2
	s_lshl_b32 s0, s0, 5
	v_cndmask_b32_e32 v2, v2, v3, vcc
	s_and_b32 s44, s0, 0xffffff00
	v_add_u32_e32 v3, 1, v1
	v_cmp_le_u32_e32 vcc, s10, v2
	v_cndmask_b32_e32 v1, v1, v3, vcc
	v_and_b32_e32 v2, 63, v0
	s_cmp_gt_i32 s12, 0
	v_cmp_gt_i32_e64 s[0:1], s12, v2
	v_mul_lo_u32 v34, v2, s11
	s_cselect_b64 s[34:35], -1, 0
	s_cmp_eq_u32 s15, 1
	v_lshlrev_b32_e32 v2, 5, v1
	v_lshlrev_b32_e32 v3, 6, v1
	v_lshrrev_b32_e32 v4, 1, v1
	s_cselect_b64 s[36:37], -1, 0
	v_and_b32_e32 v2, 0x7f00, v2
	v_and_b32_e32 v3, 0xc0, v3
	;; [unrolled: 1-line block ×3, first 2 shown]
	s_abs_i32 s46, s11
	v_or3_b32 v37, v3, v2, v4
	v_cvt_f32_u32_e32 v2, s46
	s_add_i32 s4, s9, 3
	v_cmp_gt_i32_e32 vcc, s2, v1
	s_add_i32 s2, s9, 31
	v_rcp_iflag_f32_e32 v2, v2
	s_ashr_i32 s5, s4, 31
	s_ashr_i32 s3, s2, 31
	s_lshr_b32 s5, s5, 30
	v_mul_f32_e32 v2, 0x4f7ffffe, v2
	v_cvt_u32_f32_e32 v2, v2
	s_lshr_b32 s3, s3, 27
	s_add_i32 s4, s4, s5
	s_add_i32 s2, s2, s3
	s_and_b32 s30, s4, -4
	s_sub_i32 s4, 0, s46
	v_readfirstlane_b32 s5, v2
	s_ashr_i32 s2, s2, 5
	s_mul_i32 s4, s4, s5
	v_mul_lo_u32 v1, v1, s10
	v_lshlrev_b32_e32 v35, 5, v0
	v_lshlrev_b32_e32 v36, 6, v0
	v_cmp_gt_u32_e64 s[2:3], s2, v0
	s_mul_hi_u32 s4, s5, s4
	v_sub_u32_e32 v0, v0, v1
	s_mov_b32 s45, s9
	s_lshl_b32 s26, s9, 1
	s_add_i32 s9, s5, s4
	v_cmp_eq_u32_e64 s[4:5], 0, v0
	v_mbcnt_lo_u32_b32 v0, -1, 0
	v_mbcnt_hi_u32_b32 v40, -1, v0
	v_bfrev_b32_e32 v0, 0.5
	s_and_b64 s[38:39], s[4:5], vcc
	s_mov_b32 s27, 0x20000
	s_mov_b32 s47, 0x2edbe6ff
	s_movk_i32 s48, 0xff
	s_xor_b64 s[40:41], s[36:37], -1
	v_mov_b32_e32 v38, 0xc3e00000
	v_mov_b32_e32 v39, 0x43e00000
	s_mov_b32 s49, 0x5040100
	s_mov_b32 s50, 0x1060504
	;; [unrolled: 1-line block ×3, first 2 shown]
	v_lshl_or_b32 v41, v40, 2, v0
	v_mov_b32_e32 v42, 0x7c
	v_mov_b32_e32 v43, 4
                                        ; implicit-def: $vgpr44
	s_branch .LBB235_3
.LBB235_2:                              ;   in Loop: Header=BB235_3 Depth=1
	s_add_i32 s6, s6, s14
	s_cmp_lt_i32 s6, s13
	s_cselect_b64 s[4:5], -1, 0
	s_and_b64 s[4:5], s[42:43], s[4:5]
	s_and_b64 vcc, exec, s[4:5]
	s_cbranch_vccz .LBB235_47
.LBB235_3:                              ; =>This Loop Header: Depth=1
                                        ;     Child Loop BB235_13 Depth 2
	s_abs_i32 s4, s6
	s_mul_hi_u32 s5, s4, s9
	s_mul_i32 s5, s5, s46
	s_sub_i32 s4, s4, s5
	s_ashr_i32 s28, s6, 31
	s_sub_i32 s5, s4, s46
	s_cmp_ge_u32 s4, s46
	s_cselect_b32 s4, s5, s4
	s_sub_i32 s5, s4, s46
	s_cmp_ge_u32 s4, s46
	s_cselect_b32 s4, s5, s4
	s_xor_b32 s29, s4, s28
	s_sub_i32 s4, s29, s28
	s_sub_i32 s5, s6, s4
	s_mul_i32 s24, s5, s12
	s_add_i32 s24, s24, s4
	s_waitcnt lgkmcnt(0)
	s_cmp_lt_i32 s24, s33
	s_cselect_b64 s[42:43], -1, 0
	s_cmp_ge_i32 s24, s33
	s_cbranch_scc1 .LBB235_2
; %bb.4:                                ;   in Loop: Header=BB235_3 Depth=1
	s_and_saveexec_b64 s[4:5], s[0:1]
	s_cbranch_execz .LBB235_8
; %bb.5:                                ;   in Loop: Header=BB235_3 Depth=1
	v_add_u32_e32 v0, s24, v34
	v_cmp_gt_i32_e32 vcc, s33, v0
	s_waitcnt vmcnt(0)
	v_mov_b32_e32 v44, s8
	s_and_saveexec_b64 s[24:25], vcc
	s_cbranch_execz .LBB235_7
; %bb.6:                                ;   in Loop: Header=BB235_3 Depth=1
	v_ashrrev_i32_e32 v1, 31, v0
	v_lshlrev_b64 v[0:1], 2, v[0:1]
	v_mov_b32_e32 v2, s23
	v_add_co_u32_e32 v0, vcc, s22, v0
	v_addc_co_u32_e32 v1, vcc, v2, v1, vcc
	global_load_dword v44, v[0:1], off
.LBB235_7:                              ;   in Loop: Header=BB235_3 Depth=1
	s_or_b64 exec, exec, s[24:25]
.LBB235_8:                              ;   in Loop: Header=BB235_3 Depth=1
	s_or_b64 exec, exec, s[4:5]
	s_andn2_b64 vcc, exec, s[34:35]
	s_cbranch_vccnz .LBB235_2
; %bb.9:                                ;   in Loop: Header=BB235_3 Depth=1
	s_add_i32 s4, s6, s28
	s_sub_i32 s4, s4, s29
	s_mul_i32 s4, s12, s4
	s_add_i32 s29, s29, s4
	s_waitcnt vmcnt(0)
	v_and_b32_e32 v45, 0xffffff, v44
	v_ashrrev_i32_e32 v46, 24, v44
	s_sub_i32 s52, s29, s28
	s_mov_b32 s53, 0
	s_branch .LBB235_13
.LBB235_10:                             ;   in Loop: Header=BB235_13 Depth=2
	s_or_b64 exec, exec, s[4:5]
.LBB235_11:                             ;   in Loop: Header=BB235_13 Depth=2
	s_add_i32 s53, s53, 1
	s_add_i32 s52, s52, s11
	s_cmp_eq_u32 s12, s53
	s_cselect_b64 s[4:5], -1, 0
.LBB235_12:                             ;   in Loop: Header=BB235_13 Depth=2
	s_and_b64 vcc, exec, s[4:5]
	s_cbranch_vccnz .LBB235_2
.LBB235_13:                             ;   Parent Loop BB235_3 Depth=1
                                        ; =>  This Inner Loop Header: Depth=2
	v_readlane_b32 s24, v45, s53
	v_readlane_b32 s29, v46, s53
	s_cmp_ge_i32 s24, s8
	s_mov_b64 s[4:5], -1
	s_cbranch_scc1 .LBB235_12
; %bb.14:                               ;   in Loop: Header=BB235_13 Depth=2
	s_mul_i32 s4, s24, s15
	s_add_i32 s25, s4, s29
	s_and_b64 s[4:5], s[36:37], exec
	s_cselect_b32 s28, s24, s25
	s_mul_hi_i32 s5, s28, s7
	s_mul_i32 s4, s28, s7
	s_lshl_b64 s[4:5], s[4:5], 1
	s_add_u32 s24, s20, s4
	s_addc_u32 s4, s21, s5
	s_and_b32 s25, s4, 0xffff
	buffer_load_dwordx4 v[0:3], v36, s[24:27], 0 offen
	buffer_load_dwordx4 v[4:7], v36, s[24:27], 16 offen
	;; [unrolled: 1-line block ×4, first 2 shown]
	s_cmp_lt_i32 s10, 16
	s_waitcnt vmcnt(3)
	v_cvt_f32_u32_sdwa v31, v0 dst_sel:DWORD dst_unused:UNUSED_PAD src0_sel:WORD_1
	v_cvt_f32_u32_sdwa v30, v0 dst_sel:DWORD dst_unused:UNUSED_PAD src0_sel:WORD_0
	v_cvt_f32_u32_sdwa v29, v1 dst_sel:DWORD dst_unused:UNUSED_PAD src0_sel:WORD_1
	v_cvt_f32_u32_sdwa v28, v1 dst_sel:DWORD dst_unused:UNUSED_PAD src0_sel:WORD_0
	;; [unrolled: 2-line block ×4, first 2 shown]
	s_waitcnt vmcnt(2)
	v_cvt_f32_u32_sdwa v23, v4 dst_sel:DWORD dst_unused:UNUSED_PAD src0_sel:WORD_1
	v_cvt_f32_u32_sdwa v22, v4 dst_sel:DWORD dst_unused:UNUSED_PAD src0_sel:WORD_0
	v_max3_f32 v32, v30, s47, v31
	v_cvt_f32_u32_sdwa v21, v5 dst_sel:DWORD dst_unused:UNUSED_PAD src0_sel:WORD_1
	v_cvt_f32_u32_sdwa v20, v5 dst_sel:DWORD dst_unused:UNUSED_PAD src0_sel:WORD_0
	v_max3_f32 v32, v32, v28, v29
	v_cvt_f32_u32_sdwa v19, v6 dst_sel:DWORD dst_unused:UNUSED_PAD src0_sel:WORD_1
	v_cvt_f32_u32_sdwa v18, v6 dst_sel:DWORD dst_unused:UNUSED_PAD src0_sel:WORD_0
	v_max3_f32 v32, v32, v26, v27
	v_cvt_f32_u32_sdwa v17, v7 dst_sel:DWORD dst_unused:UNUSED_PAD src0_sel:WORD_1
	v_cvt_f32_u32_sdwa v16, v7 dst_sel:DWORD dst_unused:UNUSED_PAD src0_sel:WORD_0
	v_max3_f32 v32, v32, v24, v25
	s_waitcnt vmcnt(1)
	v_cvt_f32_u32_sdwa v15, v48 dst_sel:DWORD dst_unused:UNUSED_PAD src0_sel:WORD_1
	v_cvt_f32_u32_sdwa v14, v48 dst_sel:DWORD dst_unused:UNUSED_PAD src0_sel:WORD_0
	v_max3_f32 v32, v32, v22, v23
	v_cvt_f32_u32_sdwa v13, v49 dst_sel:DWORD dst_unused:UNUSED_PAD src0_sel:WORD_1
	v_cvt_f32_u32_sdwa v12, v49 dst_sel:DWORD dst_unused:UNUSED_PAD src0_sel:WORD_0
	v_max3_f32 v32, v32, v20, v21
	v_cvt_f32_u32_sdwa v11, v50 dst_sel:DWORD dst_unused:UNUSED_PAD src0_sel:WORD_1
	v_cvt_f32_u32_sdwa v10, v50 dst_sel:DWORD dst_unused:UNUSED_PAD src0_sel:WORD_0
	v_max3_f32 v32, v32, v18, v19
	v_cvt_f32_u32_sdwa v9, v51 dst_sel:DWORD dst_unused:UNUSED_PAD src0_sel:WORD_1
	v_cvt_f32_u32_sdwa v8, v51 dst_sel:DWORD dst_unused:UNUSED_PAD src0_sel:WORD_0
	v_max3_f32 v32, v32, v16, v17
	;; [unrolled: 13-line block ×3, first 2 shown]
	v_max3_f32 v32, v32, v6, v7
	v_max3_f32 v32, v32, v4, v5
	;; [unrolled: 1-line block ×4, first 2 shown]
	s_cbranch_scc1 .LBB235_20
; %bb.15:                               ;   in Loop: Header=BB235_13 Depth=2
	s_cmp_lt_i32 s10, 32
	s_cbranch_scc1 .LBB235_21
; %bb.16:                               ;   in Loop: Header=BB235_13 Depth=2
	s_cmp_lt_i32 s10, 64
	s_cbranch_scc1 .LBB235_22
; %bb.17:                               ;   in Loop: Header=BB235_13 Depth=2
	s_cmp_eq_u32 s10, 64
	v_mov_b32_e32 v33, v32
	s_cbranch_scc0 .LBB235_19
; %bb.18:                               ;   in Loop: Header=BB235_13 Depth=2
	s_nop 0
	v_mov_b32_dpp v33, v32 quad_perm:[1,0,3,2] row_mask:0xf bank_mask:0xf
	v_cmp_gt_f32_e32 vcc, v32, v33
	v_cndmask_b32_e32 v33, v33, v32, vcc
	s_nop 1
	v_mov_b32_dpp v47, v33 quad_perm:[2,3,0,1] row_mask:0xf bank_mask:0xf
	v_cmp_gt_f32_e32 vcc, v33, v47
	v_cndmask_b32_e32 v33, v47, v33, vcc
	s_nop 1
	v_mov_b32_dpp v47, v33 row_ror:4 row_mask:0xf bank_mask:0xf
	v_cmp_gt_f32_e32 vcc, v33, v47
	v_cndmask_b32_e32 v33, v47, v33, vcc
	s_nop 1
	v_mov_b32_dpp v47, v33 row_ror:8 row_mask:0xf bank_mask:0xf
	v_cmp_gt_f32_e32 vcc, v33, v47
	v_cndmask_b32_e32 v33, v47, v33, vcc
	s_nop 1
	v_mov_b32_dpp v47, v33 row_bcast:15 row_mask:0xf bank_mask:0xf
	v_cmp_gt_f32_e32 vcc, v33, v47
	v_cndmask_b32_e32 v33, v47, v33, vcc
	s_nop 1
	v_mov_b32_dpp v47, v33 row_bcast:31 row_mask:0xf bank_mask:0xf
	v_cmp_gt_f32_e32 vcc, v33, v47
	v_cndmask_b32_e32 v33, v47, v33, vcc
	ds_bpermute_b32 v33, v41, v33
.LBB235_19:                             ;   in Loop: Header=BB235_13 Depth=2
	s_cbranch_execz .LBB235_23
	s_branch .LBB235_25
.LBB235_20:                             ;   in Loop: Header=BB235_13 Depth=2
                                        ; implicit-def: $vgpr33
	s_branch .LBB235_29
.LBB235_21:                             ;   in Loop: Header=BB235_13 Depth=2
                                        ; implicit-def: $vgpr33
	s_branch .LBB235_26
.LBB235_22:                             ;   in Loop: Header=BB235_13 Depth=2
                                        ; implicit-def: $vgpr33
.LBB235_23:                             ;   in Loop: Header=BB235_13 Depth=2
	s_cmp_eq_u32 s10, 32
	s_waitcnt lgkmcnt(0)
	v_mov_b32_e32 v33, v32
	s_cbranch_scc0 .LBB235_25
; %bb.24:                               ;   in Loop: Header=BB235_13 Depth=2
	s_nop 0
	v_mov_b32_dpp v33, v32 quad_perm:[1,0,3,2] row_mask:0xf bank_mask:0xf
	v_cmp_gt_f32_e32 vcc, v32, v33
	v_cndmask_b32_e32 v33, v33, v32, vcc
	s_nop 1
	v_mov_b32_dpp v47, v33 quad_perm:[2,3,0,1] row_mask:0xf bank_mask:0xf
	v_cmp_gt_f32_e32 vcc, v33, v47
	v_cndmask_b32_e32 v33, v47, v33, vcc
	s_nop 1
	v_mov_b32_dpp v47, v33 row_half_mirror row_mask:0xf bank_mask:0xf
	v_cmp_gt_f32_e32 vcc, v33, v47
	v_cndmask_b32_e32 v33, v47, v33, vcc
	s_nop 1
	v_mov_b32_dpp v47, v33 row_mirror row_mask:0xf bank_mask:0xf
	v_cmp_gt_f32_e32 vcc, v33, v47
	v_cndmask_b32_e32 v33, v47, v33, vcc
	s_nop 1
	v_mov_b32_dpp v47, v33 row_bcast:15 row_mask:0xa bank_mask:0xf
	v_cmp_gt_f32_e32 vcc, v33, v47
	v_cndmask_b32_e32 v33, v47, v33, vcc
	v_lshl_or_b32 v47, v40, 2, v42
	ds_bpermute_b32 v33, v47, v33
.LBB235_25:                             ;   in Loop: Header=BB235_13 Depth=2
	s_cbranch_execnz .LBB235_28
.LBB235_26:                             ;   in Loop: Header=BB235_13 Depth=2
	s_cmp_eq_u32 s10, 16
	s_waitcnt lgkmcnt(0)
	v_mov_b32_e32 v33, v32
	s_cbranch_scc0 .LBB235_28
; %bb.27:                               ;   in Loop: Header=BB235_13 Depth=2
	s_nop 0
	v_mov_b32_dpp v33, v32 quad_perm:[1,0,3,2] row_mask:0xf bank_mask:0xf
	v_cmp_gt_f32_e32 vcc, v32, v33
	v_cndmask_b32_e32 v33, v33, v32, vcc
	s_nop 1
	v_mov_b32_dpp v47, v33 quad_perm:[2,3,0,1] row_mask:0xf bank_mask:0xf
	v_cmp_gt_f32_e32 vcc, v33, v47
	v_cndmask_b32_e32 v33, v47, v33, vcc
	s_nop 1
	v_mov_b32_dpp v47, v33 row_half_mirror row_mask:0xf bank_mask:0xf
	v_cmp_gt_f32_e32 vcc, v33, v47
	v_cndmask_b32_e32 v33, v47, v33, vcc
	s_nop 1
	v_mov_b32_dpp v47, v33 row_mirror row_mask:0xf bank_mask:0xf
	v_cmp_gt_f32_e32 vcc, v33, v47
	v_cndmask_b32_e32 v33, v47, v33, vcc
.LBB235_28:                             ;   in Loop: Header=BB235_13 Depth=2
	s_cbranch_execnz .LBB235_42
.LBB235_29:                             ;   in Loop: Header=BB235_13 Depth=2
	s_cmp_lt_i32 s10, 4
	s_cbranch_scc1 .LBB235_33
; %bb.30:                               ;   in Loop: Header=BB235_13 Depth=2
	s_cmp_lt_i32 s10, 8
	s_cbranch_scc1 .LBB235_34
; %bb.31:                               ;   in Loop: Header=BB235_13 Depth=2
	s_cmp_eq_u32 s10, 8
	s_waitcnt lgkmcnt(0)
	v_mov_b32_e32 v33, v32
	s_cbranch_scc0 .LBB235_35
; %bb.32:                               ;   in Loop: Header=BB235_13 Depth=2
	s_nop 0
	v_mov_b32_dpp v33, v32 quad_perm:[1,0,3,2] row_mask:0xf bank_mask:0xf
	v_cmp_gt_f32_e32 vcc, v32, v33
	v_cndmask_b32_e32 v33, v33, v32, vcc
	s_nop 1
	v_mov_b32_dpp v47, v33 quad_perm:[2,3,0,1] row_mask:0xf bank_mask:0xf
	v_cmp_gt_f32_e32 vcc, v33, v47
	v_cndmask_b32_e32 v33, v47, v33, vcc
	s_nop 1
	v_mov_b32_dpp v47, v33 row_half_mirror row_mask:0xf bank_mask:0xf
	v_cmp_gt_f32_e32 vcc, v33, v47
	v_cndmask_b32_e32 v33, v47, v33, vcc
	s_cbranch_execz .LBB235_36
	s_branch .LBB235_38
.LBB235_33:                             ;   in Loop: Header=BB235_13 Depth=2
                                        ; implicit-def: $vgpr33
	s_branch .LBB235_39
.LBB235_34:                             ;   in Loop: Header=BB235_13 Depth=2
                                        ; implicit-def: $vgpr33
	s_branch .LBB235_36
.LBB235_35:                             ;   in Loop: Header=BB235_13 Depth=2
	s_cbranch_execnz .LBB235_38
.LBB235_36:                             ;   in Loop: Header=BB235_13 Depth=2
	s_cmp_eq_u32 s10, 4
	s_waitcnt lgkmcnt(0)
	v_mov_b32_e32 v33, v32
	s_cbranch_scc0 .LBB235_38
; %bb.37:                               ;   in Loop: Header=BB235_13 Depth=2
	s_nop 0
	v_mov_b32_dpp v33, v32 quad_perm:[1,0,3,2] row_mask:0xf bank_mask:0xf
	v_cmp_gt_f32_e32 vcc, v32, v33
	v_cndmask_b32_e32 v33, v33, v32, vcc
	s_nop 1
	v_mov_b32_dpp v47, v33 quad_perm:[2,3,0,1] row_mask:0xf bank_mask:0xf
	v_cmp_gt_f32_e32 vcc, v33, v47
	v_cndmask_b32_e32 v33, v47, v33, vcc
.LBB235_38:                             ;   in Loop: Header=BB235_13 Depth=2
	s_cbranch_execnz .LBB235_42
.LBB235_39:                             ;   in Loop: Header=BB235_13 Depth=2
	s_cmp_lg_u32 s10, 2
	s_cbranch_scc1 .LBB235_41
; %bb.40:                               ;   in Loop: Header=BB235_13 Depth=2
	s_waitcnt lgkmcnt(0)
	v_mov_b32_dpp v33, v32 quad_perm:[1,0,3,2] row_mask:0xf bank_mask:0xf
	v_cmp_gt_f32_e32 vcc, v32, v33
	v_cndmask_b32_e32 v32, v33, v32, vcc
.LBB235_41:                             ;   in Loop: Header=BB235_13 Depth=2
	s_waitcnt lgkmcnt(0)
	v_mov_b32_e32 v33, v32
.LBB235_42:                             ;   in Loop: Header=BB235_13 Depth=2
	s_waitcnt lgkmcnt(0)
	v_mul_f32_e32 v32, 0x3b124925, v33
	v_bfe_u32 v33, v32, 23, 8
	v_and_b32_e32 v32, 0x7fffff, v32
	v_cmp_ne_u32_e32 vcc, s48, v33
	v_cmp_ne_u32_e64 s[4:5], 0, v32
	s_and_b64 vcc, s[4:5], vcc
	v_addc_co_u32_e32 v32, vcc, 0, v33, vcc
	s_and_saveexec_b64 s[4:5], s[38:39]
	s_cbranch_execz .LBB235_44
; %bb.43:                               ;   in Loop: Header=BB235_13 Depth=2
	s_ashr_i32 s24, s52, 31
	s_lshr_b32 s25, s24, 27
	s_add_i32 s25, s52, s25
	s_ashr_i32 s31, s25, 5
	s_and_b32 s25, s25, 0xffe0
	s_sub_i32 s25, s52, s25
	s_lshr_b32 s24, s24, 28
	s_bfe_i32 s54, s25, 0x80000
	s_add_i32 s24, s52, s24
	v_lshrrev_b16_e64 v33, 11, s54
	s_and_b32 s24, s24, 0x3ffffff0
	v_and_b32_e32 v33, 15, v33
	s_sub_i32 s24, s52, s24
	v_add_u16_e32 v33, s25, v33
	s_lshl_b32 s24, s24, 2
	v_ashrrev_i16_sdwa v33, v43, sext(v33) dst_sel:DWORD dst_unused:UNUSED_PAD src0_sel:DWORD src1_sel:BYTE_0
	s_mul_i32 s31, s44, s31
	v_add_u32_sdwa v33, sext(v33), s24 dst_sel:DWORD dst_unused:UNUSED_PAD src0_sel:WORD_0 src1_sel:DWORD
	v_add_u32_e32 v33, s31, v33
	v_add_u32_e32 v33, v33, v37
	v_ashrrev_i32_e32 v47, 31, v33
	v_mov_b32_e32 v49, s19
	v_add_co_u32_e32 v48, vcc, s18, v33
	v_addc_co_u32_e32 v49, vcc, v49, v47, vcc
	global_store_byte v[48:49], v32, off
.LBB235_44:                             ;   in Loop: Header=BB235_13 Depth=2
	s_or_b64 exec, exec, s[4:5]
	s_cmp_ge_i32 s29, s15
	s_cselect_b64 s[4:5], -1, 0
	s_and_b64 s[4:5], s[40:41], s[4:5]
	s_and_b64 vcc, exec, s[4:5]
	s_cbranch_vccnz .LBB235_11
; %bb.45:                               ;   in Loop: Header=BB235_13 Depth=2
	s_and_saveexec_b64 s[4:5], s[2:3]
	s_cbranch_execz .LBB235_10
; %bb.46:                               ;   in Loop: Header=BB235_13 Depth=2
	v_lshlrev_b32_e32 v32, 23, v32
	v_rcp_f32_e32 v32, v32
	s_mul_hi_i32 s24, s28, s45
	s_mul_i32 s28, s28, s45
	s_add_u32 s28, s16, s28
	v_mov_b32_e32 v33, v32
	;;#ASMSTART
	v_pk_mul_f32 v[30:31], v[30:31], v[32:33]
	;;#ASMEND
	;;#ASMSTART
	v_med3_f32 v30, v30, v38, v39
v_med3_f32 v31, v31, v38, v39
v_cvt_pk_fp8_f32 v47, v30, v31
	;;#ASMEND
	;;#ASMSTART
	v_pk_mul_f32 v[28:29], v[28:29], v[32:33]
	;;#ASMEND
	;;#ASMSTART
	v_med3_f32 v28, v28, v38, v39
v_med3_f32 v29, v29, v38, v39
v_cvt_pk_fp8_f32 v30, v28, v29
	;;#ASMEND
	;; [unrolled: 8-line block ×6, first 2 shown]
	;;#ASMSTART
	v_pk_mul_f32 v[18:19], v[18:19], v[32:33]
	;;#ASMEND
	s_addc_u32 s24, s17, s24
	v_perm_b32 v28, v30, v47, s49
	;;#ASMSTART
	v_med3_f32 v18, v18, v38, v39
v_med3_f32 v19, v19, v38, v39
v_cvt_pk_fp8_f32 v20, v18, v19
	;;#ASMEND
	;;#ASMSTART
	v_pk_mul_f32 v[16:17], v[16:17], v[32:33]
	;;#ASMEND
	s_and_b32 s29, s24, 0xffff
	s_mov_b32 s31, s27
	v_perm_b32 v28, v28, v30, s50
	v_perm_b32 v29, v29, v26, s51
	;; [unrolled: 1-line block ×3, first 2 shown]
	;;#ASMSTART
	v_med3_f32 v16, v16, v38, v39
v_med3_f32 v17, v17, v38, v39
v_cvt_pk_fp8_f32 v18, v16, v17
	;;#ASMEND
	v_perm_b32 v31, v20, v18, s51
	buffer_store_dwordx4 v[28:31], v35, s[28:31], 0 offen
	;;#ASMSTART
	s_nop 0
	;;#ASMEND
	;;#ASMSTART
	v_pk_mul_f32 v[14:15], v[14:15], v[32:33]
	;;#ASMEND
	;;#ASMSTART
	v_med3_f32 v14, v14, v38, v39
v_med3_f32 v15, v15, v38, v39
v_cvt_pk_fp8_f32 v16, v14, v15
	;;#ASMEND
	;;#ASMSTART
	v_pk_mul_f32 v[12:13], v[12:13], v[32:33]
	;;#ASMEND
	;;#ASMSTART
	v_med3_f32 v12, v12, v38, v39
v_med3_f32 v13, v13, v38, v39
v_cvt_pk_fp8_f32 v14, v12, v13
	;; [unrolled: 8-line block ×6, first 2 shown]
	;;#ASMEND
	;;#ASMSTART
	v_pk_mul_f32 v[2:3], v[2:3], v[32:33]
	;;#ASMEND
	v_perm_b32 v12, v14, v16, s49
	;;#ASMSTART
	v_med3_f32 v2, v2, v38, v39
v_med3_f32 v3, v3, v38, v39
v_cvt_pk_fp8_f32 v4, v2, v3
	;;#ASMEND
	;;#ASMSTART
	v_pk_mul_f32 v[0:1], v[0:1], v[32:33]
	;;#ASMEND
	v_perm_b32 v12, v12, v14, s50
	v_perm_b32 v13, v13, v10, s51
	;; [unrolled: 1-line block ×3, first 2 shown]
	;;#ASMSTART
	v_med3_f32 v0, v0, v38, v39
v_med3_f32 v1, v1, v38, v39
v_cvt_pk_fp8_f32 v2, v0, v1
	;;#ASMEND
	v_perm_b32 v15, v4, v2, s51
	buffer_store_dwordx4 v[12:15], v35, s[28:31], 16 offen
	;;#ASMSTART
	s_nop 0
	;;#ASMEND
	s_branch .LBB235_10
.LBB235_47:
	s_endpgm
	.section	.rodata,"a",@progbits
	.p2align	6, 0x0
	.amdhsa_kernel _ZN5aiter30fused_mx_quant_moe_sort_kernelItDB8_Li256ELi32EEEvPT0_PhPKT_PKiS9_iiiiiiiii
		.amdhsa_group_segment_fixed_size 0
		.amdhsa_private_segment_fixed_size 0
		.amdhsa_kernarg_size 76
		.amdhsa_user_sgpr_count 6
		.amdhsa_user_sgpr_private_segment_buffer 1
		.amdhsa_user_sgpr_dispatch_ptr 0
		.amdhsa_user_sgpr_queue_ptr 0
		.amdhsa_user_sgpr_kernarg_segment_ptr 1
		.amdhsa_user_sgpr_dispatch_id 0
		.amdhsa_user_sgpr_flat_scratch_init 0
		.amdhsa_user_sgpr_kernarg_preload_length 0
		.amdhsa_user_sgpr_kernarg_preload_offset 0
		.amdhsa_user_sgpr_private_segment_size 0
		.amdhsa_uses_dynamic_stack 0
		.amdhsa_system_sgpr_private_segment_wavefront_offset 0
		.amdhsa_system_sgpr_workgroup_id_x 1
		.amdhsa_system_sgpr_workgroup_id_y 0
		.amdhsa_system_sgpr_workgroup_id_z 0
		.amdhsa_system_sgpr_workgroup_info 0
		.amdhsa_system_vgpr_workitem_id 0
		.amdhsa_next_free_vgpr 56
		.amdhsa_next_free_sgpr 55
		.amdhsa_accum_offset 56
		.amdhsa_reserve_vcc 1
		.amdhsa_reserve_flat_scratch 0
		.amdhsa_float_round_mode_32 0
		.amdhsa_float_round_mode_16_64 0
		.amdhsa_float_denorm_mode_32 3
		.amdhsa_float_denorm_mode_16_64 3
		.amdhsa_dx10_clamp 1
		.amdhsa_ieee_mode 1
		.amdhsa_fp16_overflow 0
		.amdhsa_tg_split 0
		.amdhsa_exception_fp_ieee_invalid_op 0
		.amdhsa_exception_fp_denorm_src 0
		.amdhsa_exception_fp_ieee_div_zero 0
		.amdhsa_exception_fp_ieee_overflow 0
		.amdhsa_exception_fp_ieee_underflow 0
		.amdhsa_exception_fp_ieee_inexact 0
		.amdhsa_exception_int_div_zero 0
	.end_amdhsa_kernel
	.section	.text._ZN5aiter30fused_mx_quant_moe_sort_kernelItDB8_Li256ELi32EEEvPT0_PhPKT_PKiS9_iiiiiiiii,"axG",@progbits,_ZN5aiter30fused_mx_quant_moe_sort_kernelItDB8_Li256ELi32EEEvPT0_PhPKT_PKiS9_iiiiiiiii,comdat
.Lfunc_end235:
	.size	_ZN5aiter30fused_mx_quant_moe_sort_kernelItDB8_Li256ELi32EEEvPT0_PhPKT_PKiS9_iiiiiiiii, .Lfunc_end235-_ZN5aiter30fused_mx_quant_moe_sort_kernelItDB8_Li256ELi32EEEvPT0_PhPKT_PKiS9_iiiiiiiii
                                        ; -- End function
	.section	.AMDGPU.csdata,"",@progbits
; Kernel info:
; codeLenInByte = 2908
; NumSgprs: 59
; NumVgprs: 56
; NumAgprs: 0
; TotalNumVgprs: 56
; ScratchSize: 0
; MemoryBound: 0
; FloatMode: 240
; IeeeMode: 1
; LDSByteSize: 0 bytes/workgroup (compile time only)
; SGPRBlocks: 7
; VGPRBlocks: 6
; NumSGPRsForWavesPerEU: 59
; NumVGPRsForWavesPerEU: 56
; AccumOffset: 56
; Occupancy: 8
; WaveLimiterHint : 0
; COMPUTE_PGM_RSRC2:SCRATCH_EN: 0
; COMPUTE_PGM_RSRC2:USER_SGPR: 6
; COMPUTE_PGM_RSRC2:TRAP_HANDLER: 0
; COMPUTE_PGM_RSRC2:TGID_X_EN: 1
; COMPUTE_PGM_RSRC2:TGID_Y_EN: 0
; COMPUTE_PGM_RSRC2:TGID_Z_EN: 0
; COMPUTE_PGM_RSRC2:TIDIG_COMP_CNT: 0
; COMPUTE_PGM_RSRC3_GFX90A:ACCUM_OFFSET: 13
; COMPUTE_PGM_RSRC3_GFX90A:TG_SPLIT: 0
	.section	.text._ZN5aiter21mxfp4_moe_sort_kernelILi256ELi128ELi4ELi32EEEvPhS1_PKiS3_iiiii,"axG",@progbits,_ZN5aiter21mxfp4_moe_sort_kernelILi256ELi128ELi4ELi32EEEvPhS1_PKiS3_iiiii,comdat
	.protected	_ZN5aiter21mxfp4_moe_sort_kernelILi256ELi128ELi4ELi32EEEvPhS1_PKiS3_iiiii ; -- Begin function _ZN5aiter21mxfp4_moe_sort_kernelILi256ELi128ELi4ELi32EEEvPhS1_PKiS3_iiiii
	.globl	_ZN5aiter21mxfp4_moe_sort_kernelILi256ELi128ELi4ELi32EEEvPhS1_PKiS3_iiiii
	.p2align	8
	.type	_ZN5aiter21mxfp4_moe_sort_kernelILi256ELi128ELi4ELi32EEEvPhS1_PKiS3_iiiii,@function
_ZN5aiter21mxfp4_moe_sort_kernelILi256ELi128ELi4ELi32EEEvPhS1_PKiS3_iiiii: ; @_ZN5aiter21mxfp4_moe_sort_kernelILi256ELi128ELi4ELi32EEEvPhS1_PKiS3_iiiii
; %bb.0:
	s_load_dwordx4 s[24:27], s[4:5], 0x20
	s_waitcnt lgkmcnt(0)
	s_cmp_ge_i32 s6, s26
	s_cbranch_scc1 .LBB236_14
; %bb.1:
	s_load_dwordx8 s[16:23], s[4:5], 0x0
	s_load_dword s7, s[4:5], 0x30
	s_add_i32 s0, s25, 31
	s_ashr_i32 s1, s0, 31
	s_lshr_b32 s1, s1, 27
	s_add_i32 s0, s0, s1
	s_waitcnt lgkmcnt(0)
	s_load_dword s22, s[22:23], 0x0
	s_ashr_i32 s23, s0, 5
	s_add_i32 s0, s23, 7
	s_lshr_b32 s1, s0, 29
	s_add_i32 s0, s0, s1
	s_lshl_b32 s0, s0, 5
	s_and_b32 s25, s0, 0xffffff00
	s_and_b32 s19, s19, 0xffff
	s_cmp_eq_u32 s7, 1
	v_lshrrev_b32_e32 v2, 1, v0
	v_lshlrev_b32_e32 v0, 2, v0
	s_mov_b64 s[28:29], s[18:19]
	s_cselect_b64 vcc, -1, 0
	s_add_u32 s18, s16, 64
	v_and_b32_e32 v0, 4, v0
	s_addc_u32 s19, s17, 0
	v_or_b32_e32 v3, 1, v0
	s_add_u32 s33, s16, 0x80
	v_cmp_gt_i32_e64 s[2:3], s23, v3
	v_or_b32_e32 v3, 2, v0
	s_addc_u32 s34, s17, 0
	s_mul_i32 s0, s23, s24
	v_cmp_gt_i32_e64 s[4:5], s23, v3
	v_or_b32_e32 v3, 3, v0
	s_add_u32 s35, s16, 0xc0
	s_mul_i32 s30, s0, s7
	s_mov_b32 s31, 0x20000
	v_lshrrev_b32_e32 v1, 1, v0
	v_cmp_gt_i32_e64 s[0:1], s23, v0
	v_cmp_gt_i32_e64 s[8:9], s23, v3
	s_addc_u32 s36, s17, 0
	v_lshl_add_u32 v2, s6, 7, v2
	s_lshl_b32 s37, s27, 7
	v_mov_b32_e32 v5, 11
	v_mov_b32_e32 v6, 4
	s_branch .LBB236_3
.LBB236_2:                              ;   in Loop: Header=BB236_3 Depth=1
	s_or_b64 exec, exec, s[12:13]
	s_add_i32 s6, s6, s27
	s_cmp_lt_i32 s6, s26
	v_add_u32_e32 v2, s37, v2
	s_cbranch_scc0 .LBB236_14
.LBB236_3:                              ; =>This Inner Loop Header: Depth=1
	s_waitcnt lgkmcnt(0)
	v_cmp_gt_i32_e64 s[10:11], s22, v2
	s_waitcnt vmcnt(0)
	v_mov_b32_e32 v4, s24
	v_ashrrev_i32_e32 v3, 31, v2
	s_and_saveexec_b64 s[12:13], s[10:11]
	s_cbranch_execz .LBB236_5
; %bb.4:                                ;   in Loop: Header=BB236_3 Depth=1
	v_lshlrev_b64 v[8:9], 2, v[2:3]
	v_mov_b32_e32 v4, s21
	v_add_co_u32_e64 v8, s[10:11], s20, v8
	v_addc_co_u32_e64 v9, s[10:11], v4, v9, s[10:11]
	global_load_dword v4, v[8:9], off
.LBB236_5:                              ;   in Loop: Header=BB236_3 Depth=1
	s_or_b64 exec, exec, s[12:13]
	s_waitcnt vmcnt(0)
	v_and_b32_e32 v7, 0xffffff, v4
	v_ashrrev_i32_e32 v4, 24, v4
	v_cmp_gt_i32_e64 s[12:13], s7, v4
	v_cmp_gt_i32_e64 s[10:11], s24, v7
	s_or_b64 s[12:13], vcc, s[12:13]
	s_and_b64 s[10:11], s[10:11], s[12:13]
	s_and_saveexec_b64 s[12:13], s[10:11]
	s_cbranch_execz .LBB236_2
; %bb.6:                                ;   in Loop: Header=BB236_3 Depth=1
	v_mad_u64_u32 v[8:9], s[10:11], v7, s7, v[4:5]
	v_cndmask_b32_e32 v4, v8, v7, vcc
	v_mad_u64_u32 v[8:9], s[10:11], v4, s23, v[0:1]
	buffer_load_dword v4, v8, s[28:31], 0 offen
	v_lshrrev_b32_e32 v7, 27, v3
	v_add_u32_e32 v7, v2, v7
	v_ashrrev_i32_e32 v8, 5, v7
	v_and_b32_e32 v7, 0xffe0, v7
	v_sub_u32_e32 v7, v2, v7
	v_lshrrev_b32_e32 v3, 28, v3
	v_lshrrev_b16_sdwa v9, v5, sext(v7) dst_sel:DWORD dst_unused:UNUSED_PAD src0_sel:DWORD src1_sel:BYTE_0
	v_add_u32_e32 v3, v2, v3
	v_and_b32_e32 v9, 15, v9
	v_and_b32_e32 v3, 0x3ffffff0, v3
	v_add_u16_e32 v7, v7, v9
	v_mul_lo_u32 v8, s25, v8
	v_sub_u32_e32 v3, v2, v3
	v_ashrrev_i16_sdwa v7, v6, sext(v7) dst_sel:DWORD dst_unused:UNUSED_PAD src0_sel:DWORD src1_sel:BYTE_0
	v_lshlrev_b32_e32 v3, 2, v3
	v_bfe_i32 v7, v7, 0, 16
	v_or_b32_e32 v8, v8, v1
	v_add3_u32 v3, v8, v3, v7
	v_ashrrev_i32_e32 v7, 31, v3
	s_and_saveexec_b64 s[14:15], s[0:1]
	s_cbranch_execnz .LBB236_10
; %bb.7:                                ;   in Loop: Header=BB236_3 Depth=1
	s_or_b64 exec, exec, s[14:15]
	s_and_saveexec_b64 s[14:15], s[2:3]
	s_cbranch_execnz .LBB236_11
.LBB236_8:                              ;   in Loop: Header=BB236_3 Depth=1
	s_or_b64 exec, exec, s[14:15]
	s_and_saveexec_b64 s[14:15], s[4:5]
	s_cbranch_execnz .LBB236_12
.LBB236_9:                              ;   in Loop: Header=BB236_3 Depth=1
	s_or_b64 exec, exec, s[14:15]
	s_and_b64 exec, exec, s[8:9]
	s_cbranch_execz .LBB236_2
	s_branch .LBB236_13
.LBB236_10:                             ;   in Loop: Header=BB236_3 Depth=1
	v_mov_b32_e32 v9, s17
	v_add_co_u32_e64 v8, s[10:11], s16, v3
	v_addc_co_u32_e64 v9, s[10:11], v9, v7, s[10:11]
	s_waitcnt vmcnt(0)
	global_store_byte v[8:9], v4, off
	s_or_b64 exec, exec, s[14:15]
	s_and_saveexec_b64 s[14:15], s[2:3]
	s_cbranch_execz .LBB236_8
.LBB236_11:                             ;   in Loop: Header=BB236_3 Depth=1
	v_mov_b32_e32 v9, s19
	v_add_co_u32_e64 v8, s[10:11], s18, v3
	s_waitcnt vmcnt(0)
	v_lshrrev_b32_e32 v10, 8, v4
	v_addc_co_u32_e64 v9, s[10:11], v9, v7, s[10:11]
	global_store_byte v[8:9], v10, off
	s_or_b64 exec, exec, s[14:15]
	s_and_saveexec_b64 s[14:15], s[4:5]
	s_cbranch_execz .LBB236_9
.LBB236_12:                             ;   in Loop: Header=BB236_3 Depth=1
	v_mov_b32_e32 v9, s34
	v_add_co_u32_e64 v8, s[10:11], s33, v3
	v_addc_co_u32_e64 v9, s[10:11], v9, v7, s[10:11]
	s_waitcnt vmcnt(0)
	global_store_byte_d16_hi v[8:9], v4, off
	s_or_b64 exec, exec, s[14:15]
	s_and_b64 exec, exec, s[8:9]
	s_cbranch_execz .LBB236_2
.LBB236_13:                             ;   in Loop: Header=BB236_3 Depth=1
	v_mov_b32_e32 v9, s36
	v_add_co_u32_e64 v8, s[10:11], s35, v3
	s_waitcnt vmcnt(0)
	v_lshrrev_b32_e32 v4, 24, v4
	v_addc_co_u32_e64 v9, s[10:11], v9, v7, s[10:11]
	global_store_byte v[8:9], v4, off
	s_branch .LBB236_2
.LBB236_14:
	s_endpgm
	.section	.rodata,"a",@progbits
	.p2align	6, 0x0
	.amdhsa_kernel _ZN5aiter21mxfp4_moe_sort_kernelILi256ELi128ELi4ELi32EEEvPhS1_PKiS3_iiiii
		.amdhsa_group_segment_fixed_size 0
		.amdhsa_private_segment_fixed_size 0
		.amdhsa_kernarg_size 52
		.amdhsa_user_sgpr_count 6
		.amdhsa_user_sgpr_private_segment_buffer 1
		.amdhsa_user_sgpr_dispatch_ptr 0
		.amdhsa_user_sgpr_queue_ptr 0
		.amdhsa_user_sgpr_kernarg_segment_ptr 1
		.amdhsa_user_sgpr_dispatch_id 0
		.amdhsa_user_sgpr_flat_scratch_init 0
		.amdhsa_user_sgpr_kernarg_preload_length 0
		.amdhsa_user_sgpr_kernarg_preload_offset 0
		.amdhsa_user_sgpr_private_segment_size 0
		.amdhsa_uses_dynamic_stack 0
		.amdhsa_system_sgpr_private_segment_wavefront_offset 0
		.amdhsa_system_sgpr_workgroup_id_x 1
		.amdhsa_system_sgpr_workgroup_id_y 0
		.amdhsa_system_sgpr_workgroup_id_z 0
		.amdhsa_system_sgpr_workgroup_info 0
		.amdhsa_system_vgpr_workitem_id 0
		.amdhsa_next_free_vgpr 11
		.amdhsa_next_free_sgpr 38
		.amdhsa_accum_offset 12
		.amdhsa_reserve_vcc 1
		.amdhsa_reserve_flat_scratch 0
		.amdhsa_float_round_mode_32 0
		.amdhsa_float_round_mode_16_64 0
		.amdhsa_float_denorm_mode_32 3
		.amdhsa_float_denorm_mode_16_64 3
		.amdhsa_dx10_clamp 1
		.amdhsa_ieee_mode 1
		.amdhsa_fp16_overflow 0
		.amdhsa_tg_split 0
		.amdhsa_exception_fp_ieee_invalid_op 0
		.amdhsa_exception_fp_denorm_src 0
		.amdhsa_exception_fp_ieee_div_zero 0
		.amdhsa_exception_fp_ieee_overflow 0
		.amdhsa_exception_fp_ieee_underflow 0
		.amdhsa_exception_fp_ieee_inexact 0
		.amdhsa_exception_int_div_zero 0
	.end_amdhsa_kernel
	.section	.text._ZN5aiter21mxfp4_moe_sort_kernelILi256ELi128ELi4ELi32EEEvPhS1_PKiS3_iiiii,"axG",@progbits,_ZN5aiter21mxfp4_moe_sort_kernelILi256ELi128ELi4ELi32EEEvPhS1_PKiS3_iiiii,comdat
.Lfunc_end236:
	.size	_ZN5aiter21mxfp4_moe_sort_kernelILi256ELi128ELi4ELi32EEEvPhS1_PKiS3_iiiii, .Lfunc_end236-_ZN5aiter21mxfp4_moe_sort_kernelILi256ELi128ELi4ELi32EEEvPhS1_PKiS3_iiiii
                                        ; -- End function
	.section	.AMDGPU.csdata,"",@progbits
; Kernel info:
; codeLenInByte = 744
; NumSgprs: 42
; NumVgprs: 11
; NumAgprs: 0
; TotalNumVgprs: 11
; ScratchSize: 0
; MemoryBound: 0
; FloatMode: 240
; IeeeMode: 1
; LDSByteSize: 0 bytes/workgroup (compile time only)
; SGPRBlocks: 5
; VGPRBlocks: 1
; NumSGPRsForWavesPerEU: 42
; NumVGPRsForWavesPerEU: 11
; AccumOffset: 12
; Occupancy: 8
; WaveLimiterHint : 0
; COMPUTE_PGM_RSRC2:SCRATCH_EN: 0
; COMPUTE_PGM_RSRC2:USER_SGPR: 6
; COMPUTE_PGM_RSRC2:TRAP_HANDLER: 0
; COMPUTE_PGM_RSRC2:TGID_X_EN: 1
; COMPUTE_PGM_RSRC2:TGID_Y_EN: 0
; COMPUTE_PGM_RSRC2:TGID_Z_EN: 0
; COMPUTE_PGM_RSRC2:TIDIG_COMP_CNT: 0
; COMPUTE_PGM_RSRC3_GFX90A:ACCUM_OFFSET: 2
; COMPUTE_PGM_RSRC3_GFX90A:TG_SPLIT: 0
	.section	.text._ZN5aiter21mxfp4_moe_sort_kernelILi256ELi64ELi4ELi32EEEvPhS1_PKiS3_iiiii,"axG",@progbits,_ZN5aiter21mxfp4_moe_sort_kernelILi256ELi64ELi4ELi32EEEvPhS1_PKiS3_iiiii,comdat
	.protected	_ZN5aiter21mxfp4_moe_sort_kernelILi256ELi64ELi4ELi32EEEvPhS1_PKiS3_iiiii ; -- Begin function _ZN5aiter21mxfp4_moe_sort_kernelILi256ELi64ELi4ELi32EEEvPhS1_PKiS3_iiiii
	.globl	_ZN5aiter21mxfp4_moe_sort_kernelILi256ELi64ELi4ELi32EEEvPhS1_PKiS3_iiiii
	.p2align	8
	.type	_ZN5aiter21mxfp4_moe_sort_kernelILi256ELi64ELi4ELi32EEEvPhS1_PKiS3_iiiii,@function
_ZN5aiter21mxfp4_moe_sort_kernelILi256ELi64ELi4ELi32EEEvPhS1_PKiS3_iiiii: ; @_ZN5aiter21mxfp4_moe_sort_kernelILi256ELi64ELi4ELi32EEEvPhS1_PKiS3_iiiii
; %bb.0:
	s_load_dwordx4 s[24:27], s[4:5], 0x20
	s_waitcnt lgkmcnt(0)
	s_cmp_ge_i32 s6, s26
	s_cbranch_scc1 .LBB237_14
; %bb.1:
	s_load_dwordx8 s[16:23], s[4:5], 0x0
	s_load_dword s7, s[4:5], 0x30
	s_add_i32 s0, s25, 31
	s_ashr_i32 s1, s0, 31
	s_lshr_b32 s1, s1, 27
	s_add_i32 s0, s0, s1
	s_waitcnt lgkmcnt(0)
	s_load_dword s22, s[22:23], 0x0
	s_ashr_i32 s23, s0, 5
	s_add_i32 s0, s23, 7
	s_lshr_b32 s1, s0, 29
	s_add_i32 s0, s0, s1
	s_lshl_b32 s0, s0, 5
	s_and_b32 s25, s0, 0xffffff00
	s_and_b32 s19, s19, 0xffff
	s_cmp_eq_u32 s7, 1
	v_lshlrev_b32_e32 v2, 2, v0
	s_mov_b64 s[28:29], s[18:19]
	s_cselect_b64 vcc, -1, 0
	v_lshlrev_b32_e32 v3, 7, v0
	s_add_u32 s18, s16, 64
	v_lshrrev_b32_e32 v1, 2, v0
	v_and_b32_e32 v2, 12, v2
	v_and_b32_e32 v3, 0x100, v3
	v_lshlrev_b32_e32 v0, 1, v0
	s_addc_u32 s19, s17, 0
	v_and_or_b32 v0, v0, 2, v3
	v_or_b32_e32 v3, 1, v2
	s_add_u32 s33, s16, 0x80
	v_cmp_gt_i32_e64 s[2:3], s23, v3
	v_or_b32_e32 v3, 2, v2
	s_addc_u32 s34, s17, 0
	s_mul_i32 s0, s23, s24
	v_cmp_gt_i32_e64 s[4:5], s23, v3
	v_or_b32_e32 v3, 3, v2
	s_add_u32 s35, s16, 0xc0
	s_mul_i32 s30, s0, s7
	s_mov_b32 s31, 0x20000
	v_cmp_gt_i32_e64 s[0:1], s23, v2
	v_cmp_gt_i32_e64 s[8:9], s23, v3
	s_addc_u32 s36, s17, 0
	v_lshl_add_u32 v4, s6, 6, v1
	s_lshl_b32 s37, s27, 6
	v_mov_b32_e32 v1, 11
	v_mov_b32_e32 v3, 4
	s_branch .LBB237_3
.LBB237_2:                              ;   in Loop: Header=BB237_3 Depth=1
	s_or_b64 exec, exec, s[12:13]
	s_add_i32 s6, s6, s27
	s_cmp_lt_i32 s6, s26
	v_add_u32_e32 v4, s37, v4
	s_cbranch_scc0 .LBB237_14
.LBB237_3:                              ; =>This Inner Loop Header: Depth=1
	s_waitcnt lgkmcnt(0)
	v_cmp_gt_i32_e64 s[10:11], s22, v4
	s_waitcnt vmcnt(0)
	v_mov_b32_e32 v6, s24
	v_ashrrev_i32_e32 v5, 31, v4
	s_and_saveexec_b64 s[12:13], s[10:11]
	s_cbranch_execz .LBB237_5
; %bb.4:                                ;   in Loop: Header=BB237_3 Depth=1
	v_lshlrev_b64 v[6:7], 2, v[4:5]
	v_mov_b32_e32 v8, s21
	v_add_co_u32_e64 v6, s[10:11], s20, v6
	v_addc_co_u32_e64 v7, s[10:11], v8, v7, s[10:11]
	global_load_dword v6, v[6:7], off
.LBB237_5:                              ;   in Loop: Header=BB237_3 Depth=1
	s_or_b64 exec, exec, s[12:13]
	s_waitcnt vmcnt(0)
	v_and_b32_e32 v7, 0xffffff, v6
	v_ashrrev_i32_e32 v6, 24, v6
	v_cmp_gt_i32_e64 s[12:13], s7, v6
	v_cmp_gt_i32_e64 s[10:11], s24, v7
	s_or_b64 s[12:13], vcc, s[12:13]
	s_and_b64 s[10:11], s[10:11], s[12:13]
	s_and_saveexec_b64 s[12:13], s[10:11]
	s_cbranch_execz .LBB237_2
; %bb.6:                                ;   in Loop: Header=BB237_3 Depth=1
	v_mad_u64_u32 v[8:9], s[10:11], v7, s7, v[6:7]
	v_cndmask_b32_e32 v6, v8, v7, vcc
	v_mad_u64_u32 v[6:7], s[10:11], v6, s23, v[2:3]
	buffer_load_dword v6, v6, s[28:31], 0 offen
	v_lshrrev_b32_e32 v7, 27, v5
	v_add_u32_e32 v7, v4, v7
	v_ashrrev_i32_e32 v8, 5, v7
	v_and_b32_e32 v7, 0xffe0, v7
	v_sub_u32_e32 v7, v4, v7
	v_lshrrev_b32_e32 v5, 28, v5
	v_lshrrev_b16_sdwa v9, v1, sext(v7) dst_sel:DWORD dst_unused:UNUSED_PAD src0_sel:DWORD src1_sel:BYTE_0
	v_add_u32_e32 v5, v4, v5
	v_and_b32_e32 v9, 15, v9
	v_and_b32_e32 v5, 0x3ffffff0, v5
	v_add_u16_e32 v7, v7, v9
	v_sub_u32_e32 v5, v4, v5
	v_ashrrev_i16_sdwa v7, v3, sext(v7) dst_sel:DWORD dst_unused:UNUSED_PAD src0_sel:DWORD src1_sel:BYTE_0
	v_lshlrev_b32_e32 v5, 2, v5
	v_bfe_i32 v7, v7, 0, 16
	v_mad_u64_u32 v[8:9], s[10:11], s25, v8, v[0:1]
	v_add3_u32 v5, v8, v5, v7
	v_ashrrev_i32_e32 v7, 31, v5
	s_and_saveexec_b64 s[14:15], s[0:1]
	s_cbranch_execnz .LBB237_10
; %bb.7:                                ;   in Loop: Header=BB237_3 Depth=1
	s_or_b64 exec, exec, s[14:15]
	s_and_saveexec_b64 s[14:15], s[2:3]
	s_cbranch_execnz .LBB237_11
.LBB237_8:                              ;   in Loop: Header=BB237_3 Depth=1
	s_or_b64 exec, exec, s[14:15]
	s_and_saveexec_b64 s[14:15], s[4:5]
	s_cbranch_execnz .LBB237_12
.LBB237_9:                              ;   in Loop: Header=BB237_3 Depth=1
	s_or_b64 exec, exec, s[14:15]
	s_and_b64 exec, exec, s[8:9]
	s_cbranch_execz .LBB237_2
	s_branch .LBB237_13
.LBB237_10:                             ;   in Loop: Header=BB237_3 Depth=1
	v_mov_b32_e32 v9, s17
	v_add_co_u32_e64 v8, s[10:11], s16, v5
	v_addc_co_u32_e64 v9, s[10:11], v9, v7, s[10:11]
	s_waitcnt vmcnt(0)
	global_store_byte v[8:9], v6, off
	s_or_b64 exec, exec, s[14:15]
	s_and_saveexec_b64 s[14:15], s[2:3]
	s_cbranch_execz .LBB237_8
.LBB237_11:                             ;   in Loop: Header=BB237_3 Depth=1
	v_mov_b32_e32 v9, s19
	v_add_co_u32_e64 v8, s[10:11], s18, v5
	s_waitcnt vmcnt(0)
	v_lshrrev_b32_e32 v10, 8, v6
	v_addc_co_u32_e64 v9, s[10:11], v9, v7, s[10:11]
	global_store_byte v[8:9], v10, off
	s_or_b64 exec, exec, s[14:15]
	s_and_saveexec_b64 s[14:15], s[4:5]
	s_cbranch_execz .LBB237_9
.LBB237_12:                             ;   in Loop: Header=BB237_3 Depth=1
	v_mov_b32_e32 v9, s34
	v_add_co_u32_e64 v8, s[10:11], s33, v5
	v_addc_co_u32_e64 v9, s[10:11], v9, v7, s[10:11]
	s_waitcnt vmcnt(0)
	global_store_byte_d16_hi v[8:9], v6, off
	s_or_b64 exec, exec, s[14:15]
	s_and_b64 exec, exec, s[8:9]
	s_cbranch_execz .LBB237_2
.LBB237_13:                             ;   in Loop: Header=BB237_3 Depth=1
	s_waitcnt vmcnt(0)
	v_lshrrev_b32_e32 v8, 24, v6
	v_mov_b32_e32 v9, s36
	v_add_co_u32_e64 v6, s[10:11], s35, v5
	v_addc_co_u32_e64 v7, s[10:11], v9, v7, s[10:11]
	global_store_byte v[6:7], v8, off
	s_branch .LBB237_2
.LBB237_14:
	s_endpgm
	.section	.rodata,"a",@progbits
	.p2align	6, 0x0
	.amdhsa_kernel _ZN5aiter21mxfp4_moe_sort_kernelILi256ELi64ELi4ELi32EEEvPhS1_PKiS3_iiiii
		.amdhsa_group_segment_fixed_size 0
		.amdhsa_private_segment_fixed_size 0
		.amdhsa_kernarg_size 52
		.amdhsa_user_sgpr_count 6
		.amdhsa_user_sgpr_private_segment_buffer 1
		.amdhsa_user_sgpr_dispatch_ptr 0
		.amdhsa_user_sgpr_queue_ptr 0
		.amdhsa_user_sgpr_kernarg_segment_ptr 1
		.amdhsa_user_sgpr_dispatch_id 0
		.amdhsa_user_sgpr_flat_scratch_init 0
		.amdhsa_user_sgpr_kernarg_preload_length 0
		.amdhsa_user_sgpr_kernarg_preload_offset 0
		.amdhsa_user_sgpr_private_segment_size 0
		.amdhsa_uses_dynamic_stack 0
		.amdhsa_system_sgpr_private_segment_wavefront_offset 0
		.amdhsa_system_sgpr_workgroup_id_x 1
		.amdhsa_system_sgpr_workgroup_id_y 0
		.amdhsa_system_sgpr_workgroup_id_z 0
		.amdhsa_system_sgpr_workgroup_info 0
		.amdhsa_system_vgpr_workitem_id 0
		.amdhsa_next_free_vgpr 11
		.amdhsa_next_free_sgpr 38
		.amdhsa_accum_offset 12
		.amdhsa_reserve_vcc 1
		.amdhsa_reserve_flat_scratch 0
		.amdhsa_float_round_mode_32 0
		.amdhsa_float_round_mode_16_64 0
		.amdhsa_float_denorm_mode_32 3
		.amdhsa_float_denorm_mode_16_64 3
		.amdhsa_dx10_clamp 1
		.amdhsa_ieee_mode 1
		.amdhsa_fp16_overflow 0
		.amdhsa_tg_split 0
		.amdhsa_exception_fp_ieee_invalid_op 0
		.amdhsa_exception_fp_denorm_src 0
		.amdhsa_exception_fp_ieee_div_zero 0
		.amdhsa_exception_fp_ieee_overflow 0
		.amdhsa_exception_fp_ieee_underflow 0
		.amdhsa_exception_fp_ieee_inexact 0
		.amdhsa_exception_int_div_zero 0
	.end_amdhsa_kernel
	.section	.text._ZN5aiter21mxfp4_moe_sort_kernelILi256ELi64ELi4ELi32EEEvPhS1_PKiS3_iiiii,"axG",@progbits,_ZN5aiter21mxfp4_moe_sort_kernelILi256ELi64ELi4ELi32EEEvPhS1_PKiS3_iiiii,comdat
.Lfunc_end237:
	.size	_ZN5aiter21mxfp4_moe_sort_kernelILi256ELi64ELi4ELi32EEEvPhS1_PKiS3_iiiii, .Lfunc_end237-_ZN5aiter21mxfp4_moe_sort_kernelILi256ELi64ELi4ELi32EEEvPhS1_PKiS3_iiiii
                                        ; -- End function
	.section	.AMDGPU.csdata,"",@progbits
; Kernel info:
; codeLenInByte = 760
; NumSgprs: 42
; NumVgprs: 11
; NumAgprs: 0
; TotalNumVgprs: 11
; ScratchSize: 0
; MemoryBound: 0
; FloatMode: 240
; IeeeMode: 1
; LDSByteSize: 0 bytes/workgroup (compile time only)
; SGPRBlocks: 5
; VGPRBlocks: 1
; NumSGPRsForWavesPerEU: 42
; NumVGPRsForWavesPerEU: 11
; AccumOffset: 12
; Occupancy: 8
; WaveLimiterHint : 0
; COMPUTE_PGM_RSRC2:SCRATCH_EN: 0
; COMPUTE_PGM_RSRC2:USER_SGPR: 6
; COMPUTE_PGM_RSRC2:TRAP_HANDLER: 0
; COMPUTE_PGM_RSRC2:TGID_X_EN: 1
; COMPUTE_PGM_RSRC2:TGID_Y_EN: 0
; COMPUTE_PGM_RSRC2:TGID_Z_EN: 0
; COMPUTE_PGM_RSRC2:TIDIG_COMP_CNT: 0
; COMPUTE_PGM_RSRC3_GFX90A:ACCUM_OFFSET: 2
; COMPUTE_PGM_RSRC3_GFX90A:TG_SPLIT: 0
	.section	.text._ZN5aiter21mxfp4_moe_sort_kernelILi256ELi32ELi4ELi32EEEvPhS1_PKiS3_iiiii,"axG",@progbits,_ZN5aiter21mxfp4_moe_sort_kernelILi256ELi32ELi4ELi32EEEvPhS1_PKiS3_iiiii,comdat
	.protected	_ZN5aiter21mxfp4_moe_sort_kernelILi256ELi32ELi4ELi32EEEvPhS1_PKiS3_iiiii ; -- Begin function _ZN5aiter21mxfp4_moe_sort_kernelILi256ELi32ELi4ELi32EEEvPhS1_PKiS3_iiiii
	.globl	_ZN5aiter21mxfp4_moe_sort_kernelILi256ELi32ELi4ELi32EEEvPhS1_PKiS3_iiiii
	.p2align	8
	.type	_ZN5aiter21mxfp4_moe_sort_kernelILi256ELi32ELi4ELi32EEEvPhS1_PKiS3_iiiii,@function
_ZN5aiter21mxfp4_moe_sort_kernelILi256ELi32ELi4ELi32EEEvPhS1_PKiS3_iiiii: ; @_ZN5aiter21mxfp4_moe_sort_kernelILi256ELi32ELi4ELi32EEEvPhS1_PKiS3_iiiii
; %bb.0:
	s_load_dwordx4 s[24:27], s[4:5], 0x20
	s_waitcnt lgkmcnt(0)
	s_cmp_ge_i32 s6, s26
	s_cbranch_scc1 .LBB238_14
; %bb.1:
	s_load_dwordx8 s[16:23], s[4:5], 0x0
	s_load_dword s7, s[4:5], 0x30
	s_add_i32 s0, s25, 31
	s_ashr_i32 s1, s0, 31
	s_lshr_b32 s1, s1, 27
	s_add_i32 s0, s0, s1
	s_waitcnt lgkmcnt(0)
	s_load_dword s22, s[22:23], 0x0
	s_ashr_i32 s23, s0, 5
	s_add_i32 s0, s23, 7
	s_lshr_b32 s1, s0, 29
	s_add_i32 s0, s0, s1
	s_lshl_b32 s0, s0, 5
	s_and_b32 s25, s0, 0xffffff00
	s_and_b32 s19, s19, 0xffff
	s_cmp_eq_u32 s7, 1
	v_lshlrev_b32_e32 v2, 2, v0
	s_mov_b64 s[28:29], s[18:19]
	s_cselect_b64 vcc, -1, 0
	v_lshlrev_b32_e32 v3, 7, v0
	s_add_u32 s18, s16, 64
	v_lshrrev_b32_e32 v1, 3, v0
	v_and_b32_e32 v2, 28, v2
	v_and_b32_e32 v3, 0x300, v3
	v_lshlrev_b32_e32 v0, 1, v0
	s_addc_u32 s19, s17, 0
	v_and_or_b32 v0, v0, 2, v3
	v_or_b32_e32 v3, 1, v2
	s_add_u32 s33, s16, 0x80
	v_cmp_gt_i32_e64 s[2:3], s23, v3
	v_or_b32_e32 v3, 2, v2
	s_addc_u32 s34, s17, 0
	s_mul_i32 s0, s23, s24
	v_cmp_gt_i32_e64 s[4:5], s23, v3
	v_or_b32_e32 v3, 3, v2
	s_add_u32 s35, s16, 0xc0
	s_mul_i32 s30, s0, s7
	s_mov_b32 s31, 0x20000
	v_cmp_gt_i32_e64 s[0:1], s23, v2
	v_cmp_gt_i32_e64 s[8:9], s23, v3
	s_addc_u32 s36, s17, 0
	v_lshl_add_u32 v4, s6, 5, v1
	s_lshl_b32 s37, s27, 5
	v_mov_b32_e32 v1, 11
	v_mov_b32_e32 v3, 4
	s_branch .LBB238_3
.LBB238_2:                              ;   in Loop: Header=BB238_3 Depth=1
	s_or_b64 exec, exec, s[12:13]
	s_add_i32 s6, s6, s27
	s_cmp_lt_i32 s6, s26
	v_add_u32_e32 v4, s37, v4
	s_cbranch_scc0 .LBB238_14
.LBB238_3:                              ; =>This Inner Loop Header: Depth=1
	s_waitcnt lgkmcnt(0)
	v_cmp_gt_i32_e64 s[10:11], s22, v4
	s_waitcnt vmcnt(0)
	v_mov_b32_e32 v6, s24
	v_ashrrev_i32_e32 v5, 31, v4
	s_and_saveexec_b64 s[12:13], s[10:11]
	s_cbranch_execz .LBB238_5
; %bb.4:                                ;   in Loop: Header=BB238_3 Depth=1
	v_lshlrev_b64 v[6:7], 2, v[4:5]
	v_mov_b32_e32 v8, s21
	v_add_co_u32_e64 v6, s[10:11], s20, v6
	v_addc_co_u32_e64 v7, s[10:11], v8, v7, s[10:11]
	global_load_dword v6, v[6:7], off
.LBB238_5:                              ;   in Loop: Header=BB238_3 Depth=1
	s_or_b64 exec, exec, s[12:13]
	s_waitcnt vmcnt(0)
	v_and_b32_e32 v7, 0xffffff, v6
	v_ashrrev_i32_e32 v6, 24, v6
	v_cmp_gt_i32_e64 s[12:13], s7, v6
	v_cmp_gt_i32_e64 s[10:11], s24, v7
	s_or_b64 s[12:13], vcc, s[12:13]
	s_and_b64 s[10:11], s[10:11], s[12:13]
	s_and_saveexec_b64 s[12:13], s[10:11]
	s_cbranch_execz .LBB238_2
; %bb.6:                                ;   in Loop: Header=BB238_3 Depth=1
	v_mad_u64_u32 v[8:9], s[10:11], v7, s7, v[6:7]
	v_cndmask_b32_e32 v6, v8, v7, vcc
	v_mad_u64_u32 v[6:7], s[10:11], v6, s23, v[2:3]
	buffer_load_dword v6, v6, s[28:31], 0 offen
	v_lshrrev_b32_e32 v7, 27, v5
	v_add_u32_e32 v7, v4, v7
	v_ashrrev_i32_e32 v8, 5, v7
	v_and_b32_e32 v7, 0xffe0, v7
	v_sub_u32_e32 v7, v4, v7
	v_lshrrev_b32_e32 v5, 28, v5
	v_lshrrev_b16_sdwa v9, v1, sext(v7) dst_sel:DWORD dst_unused:UNUSED_PAD src0_sel:DWORD src1_sel:BYTE_0
	v_add_u32_e32 v5, v4, v5
	v_and_b32_e32 v9, 15, v9
	v_and_b32_e32 v5, 0x3ffffff0, v5
	v_add_u16_e32 v7, v7, v9
	v_sub_u32_e32 v5, v4, v5
	v_ashrrev_i16_sdwa v7, v3, sext(v7) dst_sel:DWORD dst_unused:UNUSED_PAD src0_sel:DWORD src1_sel:BYTE_0
	v_lshlrev_b32_e32 v5, 2, v5
	v_bfe_i32 v7, v7, 0, 16
	v_mad_u64_u32 v[8:9], s[10:11], s25, v8, v[0:1]
	v_add3_u32 v5, v8, v5, v7
	v_ashrrev_i32_e32 v7, 31, v5
	s_and_saveexec_b64 s[14:15], s[0:1]
	s_cbranch_execnz .LBB238_10
; %bb.7:                                ;   in Loop: Header=BB238_3 Depth=1
	s_or_b64 exec, exec, s[14:15]
	s_and_saveexec_b64 s[14:15], s[2:3]
	s_cbranch_execnz .LBB238_11
.LBB238_8:                              ;   in Loop: Header=BB238_3 Depth=1
	s_or_b64 exec, exec, s[14:15]
	s_and_saveexec_b64 s[14:15], s[4:5]
	s_cbranch_execnz .LBB238_12
.LBB238_9:                              ;   in Loop: Header=BB238_3 Depth=1
	s_or_b64 exec, exec, s[14:15]
	s_and_b64 exec, exec, s[8:9]
	s_cbranch_execz .LBB238_2
	s_branch .LBB238_13
.LBB238_10:                             ;   in Loop: Header=BB238_3 Depth=1
	v_mov_b32_e32 v9, s17
	v_add_co_u32_e64 v8, s[10:11], s16, v5
	v_addc_co_u32_e64 v9, s[10:11], v9, v7, s[10:11]
	s_waitcnt vmcnt(0)
	global_store_byte v[8:9], v6, off
	s_or_b64 exec, exec, s[14:15]
	s_and_saveexec_b64 s[14:15], s[2:3]
	s_cbranch_execz .LBB238_8
.LBB238_11:                             ;   in Loop: Header=BB238_3 Depth=1
	v_mov_b32_e32 v9, s19
	v_add_co_u32_e64 v8, s[10:11], s18, v5
	s_waitcnt vmcnt(0)
	v_lshrrev_b32_e32 v10, 8, v6
	v_addc_co_u32_e64 v9, s[10:11], v9, v7, s[10:11]
	global_store_byte v[8:9], v10, off
	s_or_b64 exec, exec, s[14:15]
	s_and_saveexec_b64 s[14:15], s[4:5]
	s_cbranch_execz .LBB238_9
.LBB238_12:                             ;   in Loop: Header=BB238_3 Depth=1
	v_mov_b32_e32 v9, s34
	v_add_co_u32_e64 v8, s[10:11], s33, v5
	v_addc_co_u32_e64 v9, s[10:11], v9, v7, s[10:11]
	s_waitcnt vmcnt(0)
	global_store_byte_d16_hi v[8:9], v6, off
	s_or_b64 exec, exec, s[14:15]
	s_and_b64 exec, exec, s[8:9]
	s_cbranch_execz .LBB238_2
.LBB238_13:                             ;   in Loop: Header=BB238_3 Depth=1
	s_waitcnt vmcnt(0)
	v_lshrrev_b32_e32 v8, 24, v6
	v_mov_b32_e32 v9, s36
	v_add_co_u32_e64 v6, s[10:11], s35, v5
	v_addc_co_u32_e64 v7, s[10:11], v9, v7, s[10:11]
	global_store_byte v[6:7], v8, off
	s_branch .LBB238_2
.LBB238_14:
	s_endpgm
	.section	.rodata,"a",@progbits
	.p2align	6, 0x0
	.amdhsa_kernel _ZN5aiter21mxfp4_moe_sort_kernelILi256ELi32ELi4ELi32EEEvPhS1_PKiS3_iiiii
		.amdhsa_group_segment_fixed_size 0
		.amdhsa_private_segment_fixed_size 0
		.amdhsa_kernarg_size 52
		.amdhsa_user_sgpr_count 6
		.amdhsa_user_sgpr_private_segment_buffer 1
		.amdhsa_user_sgpr_dispatch_ptr 0
		.amdhsa_user_sgpr_queue_ptr 0
		.amdhsa_user_sgpr_kernarg_segment_ptr 1
		.amdhsa_user_sgpr_dispatch_id 0
		.amdhsa_user_sgpr_flat_scratch_init 0
		.amdhsa_user_sgpr_kernarg_preload_length 0
		.amdhsa_user_sgpr_kernarg_preload_offset 0
		.amdhsa_user_sgpr_private_segment_size 0
		.amdhsa_uses_dynamic_stack 0
		.amdhsa_system_sgpr_private_segment_wavefront_offset 0
		.amdhsa_system_sgpr_workgroup_id_x 1
		.amdhsa_system_sgpr_workgroup_id_y 0
		.amdhsa_system_sgpr_workgroup_id_z 0
		.amdhsa_system_sgpr_workgroup_info 0
		.amdhsa_system_vgpr_workitem_id 0
		.amdhsa_next_free_vgpr 11
		.amdhsa_next_free_sgpr 38
		.amdhsa_accum_offset 12
		.amdhsa_reserve_vcc 1
		.amdhsa_reserve_flat_scratch 0
		.amdhsa_float_round_mode_32 0
		.amdhsa_float_round_mode_16_64 0
		.amdhsa_float_denorm_mode_32 3
		.amdhsa_float_denorm_mode_16_64 3
		.amdhsa_dx10_clamp 1
		.amdhsa_ieee_mode 1
		.amdhsa_fp16_overflow 0
		.amdhsa_tg_split 0
		.amdhsa_exception_fp_ieee_invalid_op 0
		.amdhsa_exception_fp_denorm_src 0
		.amdhsa_exception_fp_ieee_div_zero 0
		.amdhsa_exception_fp_ieee_overflow 0
		.amdhsa_exception_fp_ieee_underflow 0
		.amdhsa_exception_fp_ieee_inexact 0
		.amdhsa_exception_int_div_zero 0
	.end_amdhsa_kernel
	.section	.text._ZN5aiter21mxfp4_moe_sort_kernelILi256ELi32ELi4ELi32EEEvPhS1_PKiS3_iiiii,"axG",@progbits,_ZN5aiter21mxfp4_moe_sort_kernelILi256ELi32ELi4ELi32EEEvPhS1_PKiS3_iiiii,comdat
.Lfunc_end238:
	.size	_ZN5aiter21mxfp4_moe_sort_kernelILi256ELi32ELi4ELi32EEEvPhS1_PKiS3_iiiii, .Lfunc_end238-_ZN5aiter21mxfp4_moe_sort_kernelILi256ELi32ELi4ELi32EEEvPhS1_PKiS3_iiiii
                                        ; -- End function
	.section	.AMDGPU.csdata,"",@progbits
; Kernel info:
; codeLenInByte = 760
; NumSgprs: 42
; NumVgprs: 11
; NumAgprs: 0
; TotalNumVgprs: 11
; ScratchSize: 0
; MemoryBound: 0
; FloatMode: 240
; IeeeMode: 1
; LDSByteSize: 0 bytes/workgroup (compile time only)
; SGPRBlocks: 5
; VGPRBlocks: 1
; NumSGPRsForWavesPerEU: 42
; NumVGPRsForWavesPerEU: 11
; AccumOffset: 12
; Occupancy: 8
; WaveLimiterHint : 0
; COMPUTE_PGM_RSRC2:SCRATCH_EN: 0
; COMPUTE_PGM_RSRC2:USER_SGPR: 6
; COMPUTE_PGM_RSRC2:TRAP_HANDLER: 0
; COMPUTE_PGM_RSRC2:TGID_X_EN: 1
; COMPUTE_PGM_RSRC2:TGID_Y_EN: 0
; COMPUTE_PGM_RSRC2:TGID_Z_EN: 0
; COMPUTE_PGM_RSRC2:TIDIG_COMP_CNT: 0
; COMPUTE_PGM_RSRC3_GFX90A:ACCUM_OFFSET: 2
; COMPUTE_PGM_RSRC3_GFX90A:TG_SPLIT: 0
	.section	.text._ZN5aiter21mxfp4_moe_sort_kernelILi256ELi32ELi8ELi32EEEvPhS1_PKiS3_iiiii,"axG",@progbits,_ZN5aiter21mxfp4_moe_sort_kernelILi256ELi32ELi8ELi32EEEvPhS1_PKiS3_iiiii,comdat
	.protected	_ZN5aiter21mxfp4_moe_sort_kernelILi256ELi32ELi8ELi32EEEvPhS1_PKiS3_iiiii ; -- Begin function _ZN5aiter21mxfp4_moe_sort_kernelILi256ELi32ELi8ELi32EEEvPhS1_PKiS3_iiiii
	.globl	_ZN5aiter21mxfp4_moe_sort_kernelILi256ELi32ELi8ELi32EEEvPhS1_PKiS3_iiiii
	.p2align	8
	.type	_ZN5aiter21mxfp4_moe_sort_kernelILi256ELi32ELi8ELi32EEEvPhS1_PKiS3_iiiii,@function
_ZN5aiter21mxfp4_moe_sort_kernelILi256ELi32ELi8ELi32EEEvPhS1_PKiS3_iiiii: ; @_ZN5aiter21mxfp4_moe_sort_kernelILi256ELi32ELi8ELi32EEEvPhS1_PKiS3_iiiii
; %bb.0:
	s_load_dwordx4 s[36:39], s[4:5], 0x20
	s_waitcnt lgkmcnt(0)
	s_cmp_ge_i32 s6, s38
	s_cbranch_scc1 .LBB239_22
; %bb.1:
	s_load_dwordx8 s[24:31], s[4:5], 0x0
	s_load_dword s7, s[4:5], 0x30
	s_add_i32 s0, s37, 31
	s_ashr_i32 s1, s0, 31
	s_lshr_b32 s1, s1, 27
	s_add_i32 s0, s0, s1
	s_waitcnt lgkmcnt(0)
	s_load_dword s30, s[30:31], 0x0
	s_ashr_i32 s31, s0, 5
	s_add_i32 s0, s31, 7
	s_lshr_b32 s1, s0, 29
	s_add_i32 s0, s0, s1
	s_lshl_b32 s0, s0, 5
	s_and_b32 s33, s0, 0xffffff00
	s_and_b32 s27, s27, 0xffff
	s_cmp_eq_u32 s7, 1
	s_mov_b64 s[40:41], s[26:27]
	s_cselect_b64 vcc, -1, 0
	s_add_u32 s26, s24, 64
	s_addc_u32 s27, s25, 0
	s_add_u32 s34, s24, 0x80
	s_addc_u32 s35, s25, 0
	v_lshrrev_b32_e32 v1, 3, v0
	v_lshlrev_b32_e32 v0, 3, v0
	s_add_u32 s37, s24, 0xc0
	v_and_b32_e32 v0, 56, v0
	s_addc_u32 s44, s25, 0
	v_or_b32_e32 v3, 1, v0
	s_add_u32 s45, s24, 2
	v_cmp_gt_i32_e64 s[2:3], s31, v3
	v_or_b32_e32 v3, 2, v0
	s_addc_u32 s46, s25, 0
	v_cmp_gt_i32_e64 s[4:5], s31, v3
	v_or_b32_e32 v3, 3, v0
	s_add_u32 s47, s24, 0x42
	v_cmp_gt_i32_e64 s[16:17], s31, v3
	v_or_b32_e32 v3, 4, v0
	s_addc_u32 s48, s25, 0
	v_cmp_gt_i32_e64 s[8:9], s31, v3
	v_or_b32_e32 v3, 5, v0
	s_add_u32 s49, s24, 0x82
	v_cmp_gt_i32_e64 s[10:11], s31, v3
	v_or_b32_e32 v3, 6, v0
	s_addc_u32 s50, s25, 0
	s_mul_i32 s0, s31, s36
	v_cmp_gt_i32_e64 s[12:13], s31, v3
	v_or_b32_e32 v3, 7, v0
	s_add_u32 s51, s24, 0xc2
	s_mul_i32 s42, s0, s7
	s_mov_b32 s43, 0x20000
	v_lshlrev_b32_e32 v2, 5, v0
	v_cmp_gt_i32_e64 s[0:1], s31, v0
	v_cmp_gt_i32_e64 s[14:15], s31, v3
	s_addc_u32 s52, s25, 0
	v_lshl_add_u32 v4, s6, 5, v1
	s_lshl_b32 s53, s39, 5
	v_mov_b32_e32 v1, 11
	v_mov_b32_e32 v3, 4
	s_branch .LBB239_3
.LBB239_2:                              ;   in Loop: Header=BB239_3 Depth=1
	s_or_b64 exec, exec, s[20:21]
	s_add_i32 s6, s6, s39
	s_cmp_lt_i32 s6, s38
	v_add_u32_e32 v4, s53, v4
	s_cbranch_scc0 .LBB239_22
.LBB239_3:                              ; =>This Inner Loop Header: Depth=1
	s_waitcnt lgkmcnt(0)
	v_cmp_gt_i32_e64 s[18:19], s30, v4
	s_waitcnt vmcnt(0)
	v_mov_b32_e32 v6, s36
	v_ashrrev_i32_e32 v5, 31, v4
	s_and_saveexec_b64 s[20:21], s[18:19]
	s_cbranch_execz .LBB239_5
; %bb.4:                                ;   in Loop: Header=BB239_3 Depth=1
	v_lshlrev_b64 v[6:7], 2, v[4:5]
	v_mov_b32_e32 v8, s29
	v_add_co_u32_e64 v6, s[18:19], s28, v6
	v_addc_co_u32_e64 v7, s[18:19], v8, v7, s[18:19]
	global_load_dword v6, v[6:7], off
.LBB239_5:                              ;   in Loop: Header=BB239_3 Depth=1
	s_or_b64 exec, exec, s[20:21]
	s_waitcnt vmcnt(0)
	v_and_b32_e32 v7, 0xffffff, v6
	v_ashrrev_i32_e32 v6, 24, v6
	v_cmp_gt_i32_e64 s[20:21], s7, v6
	v_cmp_gt_i32_e64 s[18:19], s36, v7
	s_or_b64 s[20:21], vcc, s[20:21]
	s_and_b64 s[18:19], s[18:19], s[20:21]
	s_and_saveexec_b64 s[20:21], s[18:19]
	s_cbranch_execz .LBB239_2
; %bb.6:                                ;   in Loop: Header=BB239_3 Depth=1
	v_mad_u64_u32 v[8:9], s[18:19], v7, s7, v[6:7]
	v_cndmask_b32_e32 v6, v8, v7, vcc
	v_mad_u64_u32 v[6:7], s[18:19], v6, s31, v[0:1]
	buffer_load_dwordx2 v[6:7], v6, s[40:43], 0 offen
	v_lshrrev_b32_e32 v8, 27, v5
	v_add_u32_e32 v8, v4, v8
	v_ashrrev_i32_e32 v9, 5, v8
	v_and_b32_e32 v8, 0xffe0, v8
	v_sub_u32_e32 v8, v4, v8
	v_lshrrev_b32_e32 v5, 28, v5
	v_lshrrev_b16_sdwa v10, v1, sext(v8) dst_sel:DWORD dst_unused:UNUSED_PAD src0_sel:DWORD src1_sel:BYTE_0
	v_add_u32_e32 v5, v4, v5
	v_and_b32_e32 v10, 15, v10
	v_and_b32_e32 v5, 0x3ffffff0, v5
	v_add_u16_e32 v8, v8, v10
	v_sub_u32_e32 v5, v4, v5
	v_ashrrev_i16_sdwa v8, v3, sext(v8) dst_sel:DWORD dst_unused:UNUSED_PAD src0_sel:DWORD src1_sel:BYTE_0
	v_lshlrev_b32_e32 v5, 2, v5
	v_bfe_i32 v10, v8, 0, 16
	v_mad_u64_u32 v[8:9], s[18:19], s33, v9, v[2:3]
	v_add3_u32 v5, v8, v5, v10
	v_ashrrev_i32_e32 v8, 31, v5
	s_and_saveexec_b64 s[22:23], s[0:1]
	s_cbranch_execnz .LBB239_14
; %bb.7:                                ;   in Loop: Header=BB239_3 Depth=1
	s_or_b64 exec, exec, s[22:23]
	s_and_saveexec_b64 s[22:23], s[2:3]
	s_cbranch_execnz .LBB239_15
.LBB239_8:                              ;   in Loop: Header=BB239_3 Depth=1
	s_or_b64 exec, exec, s[22:23]
	s_and_saveexec_b64 s[22:23], s[4:5]
	s_cbranch_execnz .LBB239_16
.LBB239_9:                              ;   in Loop: Header=BB239_3 Depth=1
	s_or_b64 exec, exec, s[22:23]
	s_and_saveexec_b64 s[22:23], s[16:17]
	s_cbranch_execnz .LBB239_17
.LBB239_10:                             ;   in Loop: Header=BB239_3 Depth=1
	s_or_b64 exec, exec, s[22:23]
	s_and_saveexec_b64 s[22:23], s[8:9]
	s_cbranch_execnz .LBB239_18
.LBB239_11:                             ;   in Loop: Header=BB239_3 Depth=1
	s_or_b64 exec, exec, s[22:23]
	s_and_saveexec_b64 s[22:23], s[10:11]
	s_cbranch_execnz .LBB239_19
.LBB239_12:                             ;   in Loop: Header=BB239_3 Depth=1
	s_or_b64 exec, exec, s[22:23]
	s_and_saveexec_b64 s[22:23], s[12:13]
	s_cbranch_execnz .LBB239_20
.LBB239_13:                             ;   in Loop: Header=BB239_3 Depth=1
	s_or_b64 exec, exec, s[22:23]
	s_and_b64 exec, exec, s[14:15]
	s_cbranch_execz .LBB239_2
	s_branch .LBB239_21
.LBB239_14:                             ;   in Loop: Header=BB239_3 Depth=1
	v_mov_b32_e32 v9, s25
	v_add_co_u32_e64 v10, s[18:19], s24, v5
	v_addc_co_u32_e64 v11, s[18:19], v9, v8, s[18:19]
	s_waitcnt vmcnt(0)
	global_store_byte v[10:11], v6, off
	s_or_b64 exec, exec, s[22:23]
	s_and_saveexec_b64 s[22:23], s[2:3]
	s_cbranch_execz .LBB239_8
.LBB239_15:                             ;   in Loop: Header=BB239_3 Depth=1
	v_mov_b32_e32 v11, s27
	v_add_co_u32_e64 v10, s[18:19], s26, v5
	s_waitcnt vmcnt(0)
	v_lshrrev_b32_e32 v9, 8, v6
	v_addc_co_u32_e64 v11, s[18:19], v11, v8, s[18:19]
	global_store_byte v[10:11], v9, off
	s_or_b64 exec, exec, s[22:23]
	s_and_saveexec_b64 s[22:23], s[4:5]
	s_cbranch_execz .LBB239_9
.LBB239_16:                             ;   in Loop: Header=BB239_3 Depth=1
	v_mov_b32_e32 v9, s35
	v_add_co_u32_e64 v10, s[18:19], s34, v5
	v_addc_co_u32_e64 v11, s[18:19], v9, v8, s[18:19]
	s_waitcnt vmcnt(0)
	global_store_byte_d16_hi v[10:11], v6, off
	s_or_b64 exec, exec, s[22:23]
	s_and_saveexec_b64 s[22:23], s[16:17]
	s_cbranch_execz .LBB239_10
.LBB239_17:                             ;   in Loop: Header=BB239_3 Depth=1
	v_mov_b32_e32 v9, s44
	v_add_co_u32_e64 v10, s[18:19], s37, v5
	s_waitcnt vmcnt(0)
	v_lshrrev_b32_e32 v6, 24, v6
	v_addc_co_u32_e64 v11, s[18:19], v9, v8, s[18:19]
	global_store_byte v[10:11], v6, off
	s_or_b64 exec, exec, s[22:23]
	s_and_saveexec_b64 s[22:23], s[8:9]
	s_cbranch_execz .LBB239_11
.LBB239_18:                             ;   in Loop: Header=BB239_3 Depth=1
	s_waitcnt vmcnt(0)
	v_mov_b32_e32 v6, s46
	v_add_co_u32_e64 v10, s[18:19], s45, v5
	v_addc_co_u32_e64 v11, s[18:19], v6, v8, s[18:19]
	global_store_byte v[10:11], v7, off
	s_or_b64 exec, exec, s[22:23]
	s_and_saveexec_b64 s[22:23], s[10:11]
	s_cbranch_execz .LBB239_12
.LBB239_19:                             ;   in Loop: Header=BB239_3 Depth=1
	v_mov_b32_e32 v9, s48
	v_add_co_u32_e64 v10, s[18:19], s47, v5
	s_waitcnt vmcnt(0)
	v_lshrrev_b32_e32 v6, 8, v7
	v_addc_co_u32_e64 v11, s[18:19], v9, v8, s[18:19]
	global_store_byte v[10:11], v6, off
	s_or_b64 exec, exec, s[22:23]
	s_and_saveexec_b64 s[22:23], s[12:13]
	s_cbranch_execz .LBB239_13
.LBB239_20:                             ;   in Loop: Header=BB239_3 Depth=1
	s_waitcnt vmcnt(0)
	v_mov_b32_e32 v6, s50
	v_add_co_u32_e64 v10, s[18:19], s49, v5
	v_addc_co_u32_e64 v11, s[18:19], v6, v8, s[18:19]
	global_store_byte_d16_hi v[10:11], v7, off
	s_or_b64 exec, exec, s[22:23]
	s_and_b64 exec, exec, s[14:15]
	s_cbranch_execz .LBB239_2
.LBB239_21:                             ;   in Loop: Header=BB239_3 Depth=1
	s_waitcnt vmcnt(0)
	v_lshrrev_b32_e32 v9, 24, v7
	v_mov_b32_e32 v7, s52
	v_add_co_u32_e64 v6, s[18:19], s51, v5
	v_addc_co_u32_e64 v7, s[18:19], v7, v8, s[18:19]
	global_store_byte v[6:7], v9, off
	s_branch .LBB239_2
.LBB239_22:
	s_endpgm
	.section	.rodata,"a",@progbits
	.p2align	6, 0x0
	.amdhsa_kernel _ZN5aiter21mxfp4_moe_sort_kernelILi256ELi32ELi8ELi32EEEvPhS1_PKiS3_iiiii
		.amdhsa_group_segment_fixed_size 0
		.amdhsa_private_segment_fixed_size 0
		.amdhsa_kernarg_size 52
		.amdhsa_user_sgpr_count 6
		.amdhsa_user_sgpr_private_segment_buffer 1
		.amdhsa_user_sgpr_dispatch_ptr 0
		.amdhsa_user_sgpr_queue_ptr 0
		.amdhsa_user_sgpr_kernarg_segment_ptr 1
		.amdhsa_user_sgpr_dispatch_id 0
		.amdhsa_user_sgpr_flat_scratch_init 0
		.amdhsa_user_sgpr_kernarg_preload_length 0
		.amdhsa_user_sgpr_kernarg_preload_offset 0
		.amdhsa_user_sgpr_private_segment_size 0
		.amdhsa_uses_dynamic_stack 0
		.amdhsa_system_sgpr_private_segment_wavefront_offset 0
		.amdhsa_system_sgpr_workgroup_id_x 1
		.amdhsa_system_sgpr_workgroup_id_y 0
		.amdhsa_system_sgpr_workgroup_id_z 0
		.amdhsa_system_sgpr_workgroup_info 0
		.amdhsa_system_vgpr_workitem_id 0
		.amdhsa_next_free_vgpr 12
		.amdhsa_next_free_sgpr 54
		.amdhsa_accum_offset 12
		.amdhsa_reserve_vcc 1
		.amdhsa_reserve_flat_scratch 0
		.amdhsa_float_round_mode_32 0
		.amdhsa_float_round_mode_16_64 0
		.amdhsa_float_denorm_mode_32 3
		.amdhsa_float_denorm_mode_16_64 3
		.amdhsa_dx10_clamp 1
		.amdhsa_ieee_mode 1
		.amdhsa_fp16_overflow 0
		.amdhsa_tg_split 0
		.amdhsa_exception_fp_ieee_invalid_op 0
		.amdhsa_exception_fp_denorm_src 0
		.amdhsa_exception_fp_ieee_div_zero 0
		.amdhsa_exception_fp_ieee_overflow 0
		.amdhsa_exception_fp_ieee_underflow 0
		.amdhsa_exception_fp_ieee_inexact 0
		.amdhsa_exception_int_div_zero 0
	.end_amdhsa_kernel
	.section	.text._ZN5aiter21mxfp4_moe_sort_kernelILi256ELi32ELi8ELi32EEEvPhS1_PKiS3_iiiii,"axG",@progbits,_ZN5aiter21mxfp4_moe_sort_kernelILi256ELi32ELi8ELi32EEEvPhS1_PKiS3_iiiii,comdat
.Lfunc_end239:
	.size	_ZN5aiter21mxfp4_moe_sort_kernelILi256ELi32ELi8ELi32EEEvPhS1_PKiS3_iiiii, .Lfunc_end239-_ZN5aiter21mxfp4_moe_sort_kernelILi256ELi32ELi8ELi32EEEvPhS1_PKiS3_iiiii
                                        ; -- End function
	.section	.AMDGPU.csdata,"",@progbits
; Kernel info:
; codeLenInByte = 1064
; NumSgprs: 58
; NumVgprs: 12
; NumAgprs: 0
; TotalNumVgprs: 12
; ScratchSize: 0
; MemoryBound: 0
; FloatMode: 240
; IeeeMode: 1
; LDSByteSize: 0 bytes/workgroup (compile time only)
; SGPRBlocks: 7
; VGPRBlocks: 1
; NumSGPRsForWavesPerEU: 58
; NumVGPRsForWavesPerEU: 12
; AccumOffset: 12
; Occupancy: 8
; WaveLimiterHint : 0
; COMPUTE_PGM_RSRC2:SCRATCH_EN: 0
; COMPUTE_PGM_RSRC2:USER_SGPR: 6
; COMPUTE_PGM_RSRC2:TRAP_HANDLER: 0
; COMPUTE_PGM_RSRC2:TGID_X_EN: 1
; COMPUTE_PGM_RSRC2:TGID_Y_EN: 0
; COMPUTE_PGM_RSRC2:TGID_Z_EN: 0
; COMPUTE_PGM_RSRC2:TIDIG_COMP_CNT: 0
; COMPUTE_PGM_RSRC3_GFX90A:ACCUM_OFFSET: 2
; COMPUTE_PGM_RSRC3_GFX90A:TG_SPLIT: 0
	.section	.text._ZN5aiter21mxfp4_moe_sort_kernelILi256ELi32ELi16ELi32EEEvPhS1_PKiS3_iiiii,"axG",@progbits,_ZN5aiter21mxfp4_moe_sort_kernelILi256ELi32ELi16ELi32EEEvPhS1_PKiS3_iiiii,comdat
	.protected	_ZN5aiter21mxfp4_moe_sort_kernelILi256ELi32ELi16ELi32EEEvPhS1_PKiS3_iiiii ; -- Begin function _ZN5aiter21mxfp4_moe_sort_kernelILi256ELi32ELi16ELi32EEEvPhS1_PKiS3_iiiii
	.globl	_ZN5aiter21mxfp4_moe_sort_kernelILi256ELi32ELi16ELi32EEEvPhS1_PKiS3_iiiii
	.p2align	8
	.type	_ZN5aiter21mxfp4_moe_sort_kernelILi256ELi32ELi16ELi32EEEvPhS1_PKiS3_iiiii,@function
_ZN5aiter21mxfp4_moe_sort_kernelILi256ELi32ELi16ELi32EEEvPhS1_PKiS3_iiiii: ; @_ZN5aiter21mxfp4_moe_sort_kernelILi256ELi32ELi16ELi32EEEvPhS1_PKiS3_iiiii
; %bb.0:
	s_load_dwordx4 s[48:51], s[4:5], 0x20
	s_waitcnt lgkmcnt(0)
	s_cmp_ge_i32 s6, s50
	s_cbranch_scc1 .LBB240_38
; %bb.1:
	s_load_dwordx8 s[40:47], s[4:5], 0x0
	s_load_dword s7, s[4:5], 0x30
	s_add_i32 s0, s49, 31
	s_ashr_i32 s1, s0, 31
	v_lshlrev_b32_e32 v2, 4, v0
	s_lshr_b32 s1, s1, 27
	v_lshrrev_b32_e32 v1, 3, v0
	v_and_b32_e32 v4, 0x70, v2
	s_add_i32 s0, s0, s1
	v_lshlrev_b32_e32 v0, 9, v0
	s_waitcnt lgkmcnt(0)
	s_load_dword s33, s[46:47], 0x0
	s_ashr_i32 s46, s0, 5
	v_and_b32_e32 v5, 0xe00, v0
	v_or_b32_e32 v0, 1, v4
	v_cmp_gt_i32_e64 s[2:3], s46, v0
	v_or_b32_e32 v0, 2, v4
	v_cmp_gt_i32_e64 s[4:5], s46, v0
	;; [unrolled: 2-line block ×8, first 2 shown]
	v_lshlrev_b32_e32 v8, 5, v0
	v_or_b32_e32 v0, 9, v4
	v_cmp_gt_i32_e64 s[18:19], s46, v0
	v_lshlrev_b32_e32 v0, 5, v0
	v_and_b32_e32 v9, 0xf00, v0
	v_or_b32_e32 v0, 10, v4
	v_cmp_gt_i32_e64 s[20:21], s46, v0
	v_lshlrev_b32_e32 v0, 5, v0
	v_and_b32_e32 v10, 0xf00, v0
	;; [unrolled: 4-line block ×3, first 2 shown]
	v_or_b32_e32 v0, 12, v4
	v_cmp_gt_i32_e64 s[24:25], s46, v0
	v_lshlrev_b32_e32 v0, 5, v0
	s_add_i32 s0, s46, 7
	v_and_b32_e32 v12, 0xf00, v0
	v_or_b32_e32 v0, 13, v4
	s_lshr_b32 s1, s0, 29
	v_cmp_gt_i32_e64 s[26:27], s46, v0
	v_lshlrev_b32_e32 v0, 5, v0
	s_add_i32 s0, s0, s1
	v_and_b32_e32 v13, 0xf00, v0
	v_or_b32_e32 v0, 14, v4
	s_lshl_b32 s0, s0, 5
	v_cmp_gt_i32_e64 s[28:29], s46, v0
	v_lshlrev_b32_e32 v0, 5, v0
	s_and_b32 s47, s0, 0xffffff00
	s_and_b32 s43, s43, 0xffff
	v_and_b32_e32 v14, 0xf00, v0
	v_or_b32_e32 v0, 15, v4
	s_mul_i32 s0, s46, s48
	s_cmp_eq_u32 s7, 1
	v_cmp_gt_i32_e64 s[30:31], s46, v0
	v_lshlrev_b32_e32 v0, 5, v0
	s_mul_i32 s54, s0, s7
	s_mov_b32 s55, 0x20000
	s_mov_b64 s[52:53], s[42:43]
	s_cselect_b64 vcc, -1, 0
	v_cmp_gt_i32_e64 s[0:1], s46, v4
	v_and_b32_e32 v15, 0xf00, v0
	v_lshl_add_u32 v6, s6, 5, v1
	s_lshl_b32 s49, s51, 5
	s_movk_i32 s56, 0x80
	s_movk_i32 s57, 0xc0
	;; [unrolled: 1-line block ×5, first 2 shown]
	v_mov_b32_e32 v16, 11
	v_mov_b32_e32 v17, 4
	s_branch .LBB240_3
.LBB240_2:                              ;   in Loop: Header=BB240_3 Depth=1
	s_or_b64 exec, exec, s[38:39]
	s_add_i32 s6, s6, s51
	s_cmp_lt_i32 s6, s50
	v_add_u32_e32 v6, s49, v6
	s_cbranch_scc0 .LBB240_38
.LBB240_3:                              ; =>This Inner Loop Header: Depth=1
	s_waitcnt lgkmcnt(0)
	v_cmp_gt_i32_e64 s[36:37], s33, v6
	s_waitcnt vmcnt(0)
	v_mov_b32_e32 v0, s48
	v_ashrrev_i32_e32 v7, 31, v6
	s_and_saveexec_b64 s[38:39], s[36:37]
	s_cbranch_execz .LBB240_5
; %bb.4:                                ;   in Loop: Header=BB240_3 Depth=1
	v_lshlrev_b64 v[0:1], 2, v[6:7]
	v_mov_b32_e32 v2, s45
	v_add_co_u32_e64 v0, s[36:37], s44, v0
	v_addc_co_u32_e64 v1, s[36:37], v2, v1, s[36:37]
	global_load_dword v0, v[0:1], off
.LBB240_5:                              ;   in Loop: Header=BB240_3 Depth=1
	s_or_b64 exec, exec, s[38:39]
	s_waitcnt vmcnt(0)
	v_and_b32_e32 v1, 0xffffff, v0
	v_ashrrev_i32_e32 v0, 24, v0
	v_cmp_gt_i32_e64 s[38:39], s7, v0
	v_cmp_gt_i32_e64 s[36:37], s48, v1
	s_or_b64 s[38:39], vcc, s[38:39]
	s_and_b64 s[36:37], s[36:37], s[38:39]
	s_and_saveexec_b64 s[38:39], s[36:37]
	s_cbranch_execz .LBB240_2
; %bb.6:                                ;   in Loop: Header=BB240_3 Depth=1
	v_mad_u64_u32 v[2:3], s[36:37], v1, s7, v[0:1]
	v_cndmask_b32_e32 v0, v2, v1, vcc
	v_mad_u64_u32 v[0:1], s[36:37], v0, s46, v[4:5]
	buffer_load_dwordx4 v[0:3], v0, s[52:55], 0 offen
	v_lshrrev_b32_e32 v18, 27, v7
	v_add_u32_e32 v18, v6, v18
	v_ashrrev_i32_e32 v19, 5, v18
	v_and_b32_e32 v18, 0xffe0, v18
	v_sub_u32_e32 v18, v6, v18
	v_lshrrev_b32_e32 v7, 28, v7
	v_lshrrev_b16_sdwa v20, v16, sext(v18) dst_sel:DWORD dst_unused:UNUSED_PAD src0_sel:DWORD src1_sel:BYTE_0
	v_add_u32_e32 v7, v6, v7
	v_and_b32_e32 v20, 15, v20
	v_and_b32_e32 v7, 0x3ffffff0, v7
	v_add_u16_e32 v18, v18, v20
	v_sub_u32_e32 v7, v6, v7
	v_ashrrev_i16_sdwa v18, v17, sext(v18) dst_sel:DWORD dst_unused:UNUSED_PAD src0_sel:DWORD src1_sel:BYTE_0
	v_mul_lo_u32 v19, s47, v19
	v_lshlrev_b32_e32 v7, 2, v7
	v_bfe_i32 v18, v18, 0, 16
	v_add3_u32 v7, v7, v19, v18
	s_and_saveexec_b64 s[42:43], s[0:1]
	s_cbranch_execnz .LBB240_22
; %bb.7:                                ;   in Loop: Header=BB240_3 Depth=1
	s_or_b64 exec, exec, s[42:43]
	s_and_saveexec_b64 s[42:43], s[2:3]
	s_cbranch_execnz .LBB240_23
.LBB240_8:                              ;   in Loop: Header=BB240_3 Depth=1
	s_or_b64 exec, exec, s[42:43]
	s_and_saveexec_b64 s[42:43], s[4:5]
	s_cbranch_execnz .LBB240_24
.LBB240_9:                              ;   in Loop: Header=BB240_3 Depth=1
	s_or_b64 exec, exec, s[42:43]
	s_and_saveexec_b64 s[42:43], s[34:35]
	s_cbranch_execnz .LBB240_25
.LBB240_10:                             ;   in Loop: Header=BB240_3 Depth=1
	s_or_b64 exec, exec, s[42:43]
	s_and_saveexec_b64 s[42:43], s[8:9]
	s_cbranch_execnz .LBB240_26
.LBB240_11:                             ;   in Loop: Header=BB240_3 Depth=1
	s_or_b64 exec, exec, s[42:43]
	s_and_saveexec_b64 s[42:43], s[10:11]
	s_cbranch_execnz .LBB240_27
.LBB240_12:                             ;   in Loop: Header=BB240_3 Depth=1
	s_or_b64 exec, exec, s[42:43]
	s_and_saveexec_b64 s[42:43], s[12:13]
	s_cbranch_execnz .LBB240_28
.LBB240_13:                             ;   in Loop: Header=BB240_3 Depth=1
	s_or_b64 exec, exec, s[42:43]
	s_and_saveexec_b64 s[42:43], s[14:15]
	s_cbranch_execnz .LBB240_29
.LBB240_14:                             ;   in Loop: Header=BB240_3 Depth=1
	s_or_b64 exec, exec, s[42:43]
	s_and_saveexec_b64 s[42:43], s[16:17]
	s_cbranch_execnz .LBB240_30
.LBB240_15:                             ;   in Loop: Header=BB240_3 Depth=1
	s_or_b64 exec, exec, s[42:43]
	s_and_saveexec_b64 s[42:43], s[18:19]
	s_cbranch_execnz .LBB240_31
.LBB240_16:                             ;   in Loop: Header=BB240_3 Depth=1
	s_or_b64 exec, exec, s[42:43]
	s_and_saveexec_b64 s[42:43], s[20:21]
	s_cbranch_execnz .LBB240_32
.LBB240_17:                             ;   in Loop: Header=BB240_3 Depth=1
	s_or_b64 exec, exec, s[42:43]
	s_and_saveexec_b64 s[42:43], s[22:23]
	s_cbranch_execnz .LBB240_33
.LBB240_18:                             ;   in Loop: Header=BB240_3 Depth=1
	s_or_b64 exec, exec, s[42:43]
	s_and_saveexec_b64 s[42:43], s[24:25]
	s_cbranch_execnz .LBB240_34
.LBB240_19:                             ;   in Loop: Header=BB240_3 Depth=1
	s_or_b64 exec, exec, s[42:43]
	s_and_saveexec_b64 s[42:43], s[26:27]
	s_cbranch_execnz .LBB240_35
.LBB240_20:                             ;   in Loop: Header=BB240_3 Depth=1
	s_or_b64 exec, exec, s[42:43]
	s_and_saveexec_b64 s[42:43], s[28:29]
	s_cbranch_execnz .LBB240_36
.LBB240_21:                             ;   in Loop: Header=BB240_3 Depth=1
	s_or_b64 exec, exec, s[42:43]
	s_and_b64 exec, exec, s[30:31]
	s_cbranch_execz .LBB240_2
	s_branch .LBB240_37
.LBB240_22:                             ;   in Loop: Header=BB240_3 Depth=1
	v_add_u32_e32 v18, v7, v5
	v_ashrrev_i32_e32 v19, 31, v18
	v_mov_b32_e32 v20, s41
	v_add_co_u32_e64 v18, s[36:37], s40, v18
	v_addc_co_u32_e64 v19, s[36:37], v20, v19, s[36:37]
	s_waitcnt vmcnt(0)
	global_store_byte v[18:19], v0, off
	s_or_b64 exec, exec, s[42:43]
	s_and_saveexec_b64 s[42:43], s[2:3]
	s_cbranch_execz .LBB240_8
.LBB240_23:                             ;   in Loop: Header=BB240_3 Depth=1
	v_add3_u32 v18, v7, v5, 64
	v_ashrrev_i32_e32 v19, 31, v18
	v_mov_b32_e32 v21, s41
	v_add_co_u32_e64 v18, s[36:37], s40, v18
	s_waitcnt vmcnt(0)
	v_lshrrev_b32_e32 v20, 8, v0
	v_addc_co_u32_e64 v19, s[36:37], v21, v19, s[36:37]
	global_store_byte v[18:19], v20, off
	s_or_b64 exec, exec, s[42:43]
	s_and_saveexec_b64 s[42:43], s[4:5]
	s_cbranch_execz .LBB240_9
.LBB240_24:                             ;   in Loop: Header=BB240_3 Depth=1
	v_add3_u32 v18, v7, v5, s56
	v_ashrrev_i32_e32 v19, 31, v18
	v_mov_b32_e32 v20, s41
	v_add_co_u32_e64 v18, s[36:37], s40, v18
	v_addc_co_u32_e64 v19, s[36:37], v20, v19, s[36:37]
	s_waitcnt vmcnt(0)
	global_store_byte_d16_hi v[18:19], v0, off
	s_or_b64 exec, exec, s[42:43]
	s_and_saveexec_b64 s[42:43], s[34:35]
	s_cbranch_execz .LBB240_10
.LBB240_25:                             ;   in Loop: Header=BB240_3 Depth=1
	v_add3_u32 v18, v7, v5, s57
	v_ashrrev_i32_e32 v19, 31, v18
	v_mov_b32_e32 v20, s41
	v_add_co_u32_e64 v18, s[36:37], s40, v18
	s_waitcnt vmcnt(0)
	v_lshrrev_b32_e32 v0, 24, v0
	v_addc_co_u32_e64 v19, s[36:37], v20, v19, s[36:37]
	global_store_byte v[18:19], v0, off
	s_or_b64 exec, exec, s[42:43]
	s_and_saveexec_b64 s[42:43], s[8:9]
	s_cbranch_execz .LBB240_11
.LBB240_26:                             ;   in Loop: Header=BB240_3 Depth=1
	s_waitcnt vmcnt(0)
	v_add3_u32 v0, v7, v5, 2
	v_ashrrev_i32_e32 v19, 31, v0
	v_mov_b32_e32 v20, s41
	v_add_co_u32_e64 v18, s[36:37], s40, v0
	v_addc_co_u32_e64 v19, s[36:37], v20, v19, s[36:37]
	global_store_byte v[18:19], v1, off
	s_or_b64 exec, exec, s[42:43]
	s_and_saveexec_b64 s[42:43], s[10:11]
	s_cbranch_execz .LBB240_12
.LBB240_27:                             ;   in Loop: Header=BB240_3 Depth=1
	s_waitcnt vmcnt(0)
	v_add3_u32 v0, v7, v5, s58
	v_ashrrev_i32_e32 v19, 31, v0
	v_mov_b32_e32 v21, s41
	v_add_co_u32_e64 v18, s[36:37], s40, v0
	v_lshrrev_b32_e32 v20, 8, v1
	v_addc_co_u32_e64 v19, s[36:37], v21, v19, s[36:37]
	global_store_byte v[18:19], v20, off
	s_or_b64 exec, exec, s[42:43]
	s_and_saveexec_b64 s[42:43], s[12:13]
	s_cbranch_execz .LBB240_13
.LBB240_28:                             ;   in Loop: Header=BB240_3 Depth=1
	s_waitcnt vmcnt(0)
	v_add3_u32 v0, v7, v5, s59
	v_ashrrev_i32_e32 v19, 31, v0
	v_mov_b32_e32 v20, s41
	v_add_co_u32_e64 v18, s[36:37], s40, v0
	v_addc_co_u32_e64 v19, s[36:37], v20, v19, s[36:37]
	global_store_byte_d16_hi v[18:19], v1, off
	s_or_b64 exec, exec, s[42:43]
	s_and_saveexec_b64 s[42:43], s[14:15]
	s_cbranch_execz .LBB240_14
.LBB240_29:                             ;   in Loop: Header=BB240_3 Depth=1
	s_waitcnt vmcnt(0)
	v_add3_u32 v0, v7, v5, s60
	v_lshrrev_b32_e32 v18, 24, v1
	v_ashrrev_i32_e32 v1, 31, v0
	v_mov_b32_e32 v19, s41
	v_add_co_u32_e64 v0, s[36:37], s40, v0
	v_addc_co_u32_e64 v1, s[36:37], v19, v1, s[36:37]
	global_store_byte v[0:1], v18, off
	s_or_b64 exec, exec, s[42:43]
	s_and_saveexec_b64 s[42:43], s[16:17]
	s_cbranch_execz .LBB240_15
.LBB240_30:                             ;   in Loop: Header=BB240_3 Depth=1
	s_waitcnt vmcnt(0)
	v_add_u32_e32 v0, v7, v8
	v_ashrrev_i32_e32 v1, 31, v0
	v_mov_b32_e32 v18, s41
	v_add_co_u32_e64 v0, s[36:37], s40, v0
	v_addc_co_u32_e64 v1, s[36:37], v18, v1, s[36:37]
	global_store_byte v[0:1], v2, off
	s_or_b64 exec, exec, s[42:43]
	s_and_saveexec_b64 s[42:43], s[18:19]
	s_cbranch_execz .LBB240_16
.LBB240_31:                             ;   in Loop: Header=BB240_3 Depth=1
	s_waitcnt vmcnt(0)
	v_add3_u32 v0, v7, v9, 64
	v_ashrrev_i32_e32 v1, 31, v0
	v_mov_b32_e32 v19, s41
	v_add_co_u32_e64 v0, s[36:37], s40, v0
	v_lshrrev_b32_e32 v18, 8, v2
	v_addc_co_u32_e64 v1, s[36:37], v19, v1, s[36:37]
	global_store_byte v[0:1], v18, off
	s_or_b64 exec, exec, s[42:43]
	s_and_saveexec_b64 s[42:43], s[20:21]
	s_cbranch_execz .LBB240_17
.LBB240_32:                             ;   in Loop: Header=BB240_3 Depth=1
	s_waitcnt vmcnt(0)
	v_add3_u32 v0, v7, v10, s56
	v_ashrrev_i32_e32 v1, 31, v0
	v_mov_b32_e32 v18, s41
	v_add_co_u32_e64 v0, s[36:37], s40, v0
	v_addc_co_u32_e64 v1, s[36:37], v18, v1, s[36:37]
	global_store_byte_d16_hi v[0:1], v2, off
	s_or_b64 exec, exec, s[42:43]
	s_and_saveexec_b64 s[42:43], s[22:23]
	s_cbranch_execz .LBB240_18
.LBB240_33:                             ;   in Loop: Header=BB240_3 Depth=1
	s_waitcnt vmcnt(0)
	v_add3_u32 v0, v7, v11, s57
	v_ashrrev_i32_e32 v1, 31, v0
	v_mov_b32_e32 v18, s41
	v_add_co_u32_e64 v0, s[36:37], s40, v0
	v_lshrrev_b32_e32 v2, 24, v2
	v_addc_co_u32_e64 v1, s[36:37], v18, v1, s[36:37]
	global_store_byte v[0:1], v2, off
	s_or_b64 exec, exec, s[42:43]
	s_and_saveexec_b64 s[42:43], s[24:25]
	s_cbranch_execz .LBB240_19
.LBB240_34:                             ;   in Loop: Header=BB240_3 Depth=1
	s_waitcnt vmcnt(0)
	v_add3_u32 v0, v7, v12, 2
	v_ashrrev_i32_e32 v1, 31, v0
	v_mov_b32_e32 v2, s41
	v_add_co_u32_e64 v0, s[36:37], s40, v0
	v_addc_co_u32_e64 v1, s[36:37], v2, v1, s[36:37]
	global_store_byte v[0:1], v3, off
	s_or_b64 exec, exec, s[42:43]
	s_and_saveexec_b64 s[42:43], s[26:27]
	s_cbranch_execz .LBB240_20
.LBB240_35:                             ;   in Loop: Header=BB240_3 Depth=1
	s_waitcnt vmcnt(0)
	v_add3_u32 v0, v7, v13, s58
	v_ashrrev_i32_e32 v1, 31, v0
	v_mov_b32_e32 v18, s41
	v_add_co_u32_e64 v0, s[36:37], s40, v0
	v_lshrrev_b32_e32 v2, 8, v3
	v_addc_co_u32_e64 v1, s[36:37], v18, v1, s[36:37]
	global_store_byte v[0:1], v2, off
	s_or_b64 exec, exec, s[42:43]
	s_and_saveexec_b64 s[42:43], s[28:29]
	s_cbranch_execz .LBB240_21
.LBB240_36:                             ;   in Loop: Header=BB240_3 Depth=1
	s_waitcnt vmcnt(0)
	v_add3_u32 v0, v7, v14, s59
	v_ashrrev_i32_e32 v1, 31, v0
	v_mov_b32_e32 v2, s41
	v_add_co_u32_e64 v0, s[36:37], s40, v0
	v_addc_co_u32_e64 v1, s[36:37], v2, v1, s[36:37]
	global_store_byte_d16_hi v[0:1], v3, off
	s_or_b64 exec, exec, s[42:43]
	s_and_b64 exec, exec, s[30:31]
	s_cbranch_execz .LBB240_2
.LBB240_37:                             ;   in Loop: Header=BB240_3 Depth=1
	s_waitcnt vmcnt(0)
	v_add3_u32 v0, v7, v15, s60
	v_lshrrev_b32_e32 v2, 24, v3
	v_ashrrev_i32_e32 v1, 31, v0
	v_mov_b32_e32 v3, s41
	v_add_co_u32_e64 v0, s[36:37], s40, v0
	v_addc_co_u32_e64 v1, s[36:37], v3, v1, s[36:37]
	global_store_byte v[0:1], v2, off
	s_branch .LBB240_2
.LBB240_38:
	s_endpgm
	.section	.rodata,"a",@progbits
	.p2align	6, 0x0
	.amdhsa_kernel _ZN5aiter21mxfp4_moe_sort_kernelILi256ELi32ELi16ELi32EEEvPhS1_PKiS3_iiiii
		.amdhsa_group_segment_fixed_size 0
		.amdhsa_private_segment_fixed_size 0
		.amdhsa_kernarg_size 52
		.amdhsa_user_sgpr_count 6
		.amdhsa_user_sgpr_private_segment_buffer 1
		.amdhsa_user_sgpr_dispatch_ptr 0
		.amdhsa_user_sgpr_queue_ptr 0
		.amdhsa_user_sgpr_kernarg_segment_ptr 1
		.amdhsa_user_sgpr_dispatch_id 0
		.amdhsa_user_sgpr_flat_scratch_init 0
		.amdhsa_user_sgpr_kernarg_preload_length 0
		.amdhsa_user_sgpr_kernarg_preload_offset 0
		.amdhsa_user_sgpr_private_segment_size 0
		.amdhsa_uses_dynamic_stack 0
		.amdhsa_system_sgpr_private_segment_wavefront_offset 0
		.amdhsa_system_sgpr_workgroup_id_x 1
		.amdhsa_system_sgpr_workgroup_id_y 0
		.amdhsa_system_sgpr_workgroup_id_z 0
		.amdhsa_system_sgpr_workgroup_info 0
		.amdhsa_system_vgpr_workitem_id 0
		.amdhsa_next_free_vgpr 22
		.amdhsa_next_free_sgpr 61
		.amdhsa_accum_offset 24
		.amdhsa_reserve_vcc 1
		.amdhsa_reserve_flat_scratch 0
		.amdhsa_float_round_mode_32 0
		.amdhsa_float_round_mode_16_64 0
		.amdhsa_float_denorm_mode_32 3
		.amdhsa_float_denorm_mode_16_64 3
		.amdhsa_dx10_clamp 1
		.amdhsa_ieee_mode 1
		.amdhsa_fp16_overflow 0
		.amdhsa_tg_split 0
		.amdhsa_exception_fp_ieee_invalid_op 0
		.amdhsa_exception_fp_denorm_src 0
		.amdhsa_exception_fp_ieee_div_zero 0
		.amdhsa_exception_fp_ieee_overflow 0
		.amdhsa_exception_fp_ieee_underflow 0
		.amdhsa_exception_fp_ieee_inexact 0
		.amdhsa_exception_int_div_zero 0
	.end_amdhsa_kernel
	.section	.text._ZN5aiter21mxfp4_moe_sort_kernelILi256ELi32ELi16ELi32EEEvPhS1_PKiS3_iiiii,"axG",@progbits,_ZN5aiter21mxfp4_moe_sort_kernelILi256ELi32ELi16ELi32EEEvPhS1_PKiS3_iiiii,comdat
.Lfunc_end240:
	.size	_ZN5aiter21mxfp4_moe_sort_kernelILi256ELi32ELi16ELi32EEEvPhS1_PKiS3_iiiii, .Lfunc_end240-_ZN5aiter21mxfp4_moe_sort_kernelILi256ELi32ELi16ELi32EEEvPhS1_PKiS3_iiiii
                                        ; -- End function
	.section	.AMDGPU.csdata,"",@progbits
; Kernel info:
; codeLenInByte = 1848
; NumSgprs: 65
; NumVgprs: 22
; NumAgprs: 0
; TotalNumVgprs: 22
; ScratchSize: 0
; MemoryBound: 0
; FloatMode: 240
; IeeeMode: 1
; LDSByteSize: 0 bytes/workgroup (compile time only)
; SGPRBlocks: 8
; VGPRBlocks: 2
; NumSGPRsForWavesPerEU: 65
; NumVGPRsForWavesPerEU: 22
; AccumOffset: 24
; Occupancy: 8
; WaveLimiterHint : 0
; COMPUTE_PGM_RSRC2:SCRATCH_EN: 0
; COMPUTE_PGM_RSRC2:USER_SGPR: 6
; COMPUTE_PGM_RSRC2:TRAP_HANDLER: 0
; COMPUTE_PGM_RSRC2:TGID_X_EN: 1
; COMPUTE_PGM_RSRC2:TGID_Y_EN: 0
; COMPUTE_PGM_RSRC2:TGID_Z_EN: 0
; COMPUTE_PGM_RSRC2:TIDIG_COMP_CNT: 0
; COMPUTE_PGM_RSRC3_GFX90A:ACCUM_OFFSET: 5
; COMPUTE_PGM_RSRC3_GFX90A:TG_SPLIT: 0
	.section	.text._ZN5aiter21mxfp4_moe_sort_kernelILi256ELi32ELi24ELi32EEEvPhS1_PKiS3_iiiii,"axG",@progbits,_ZN5aiter21mxfp4_moe_sort_kernelILi256ELi32ELi24ELi32EEEvPhS1_PKiS3_iiiii,comdat
	.protected	_ZN5aiter21mxfp4_moe_sort_kernelILi256ELi32ELi24ELi32EEEvPhS1_PKiS3_iiiii ; -- Begin function _ZN5aiter21mxfp4_moe_sort_kernelILi256ELi32ELi24ELi32EEEvPhS1_PKiS3_iiiii
	.globl	_ZN5aiter21mxfp4_moe_sort_kernelILi256ELi32ELi24ELi32EEEvPhS1_PKiS3_iiiii
	.p2align	8
	.type	_ZN5aiter21mxfp4_moe_sort_kernelILi256ELi32ELi24ELi32EEEvPhS1_PKiS3_iiiii,@function
_ZN5aiter21mxfp4_moe_sort_kernelILi256ELi32ELi24ELi32EEEvPhS1_PKiS3_iiiii: ; @_ZN5aiter21mxfp4_moe_sort_kernelILi256ELi32ELi24ELi32EEEvPhS1_PKiS3_iiiii
; %bb.0:
	s_load_dwordx4 s[64:67], s[4:5], 0x20
	s_waitcnt lgkmcnt(0)
	s_cmp_ge_i32 s6, s66
	s_cbranch_scc1 .LBB241_54
; %bb.1:
	s_load_dwordx8 s[56:63], s[4:5], 0x0
	s_load_dword s7, s[4:5], 0x30
	s_add_i32 s0, s65, 31
	s_ashr_i32 s1, s0, 31
	v_and_b32_e32 v3, 7, v0
	s_lshr_b32 s1, s1, 27
	v_lshrrev_b32_e32 v2, 3, v0
	v_mul_u32_u24_e32 v0, 24, v3
	s_add_i32 s0, s0, s1
	s_waitcnt lgkmcnt(0)
	s_load_dword s33, s[62:63], 0x0
	s_ashr_i32 s62, s0, 5
	v_or_b32_e32 v4, 1, v0
	v_cmp_gt_i32_e64 s[2:3], s62, v4
	v_or_b32_e32 v4, 2, v0
	v_cmp_gt_i32_e64 s[4:5], s62, v4
	;; [unrolled: 2-line block ×7, first 2 shown]
	v_mad_u32_u24 v4, v3, 24, 8
	v_cmp_gt_i32_e64 s[16:17], s62, v4
	v_lshlrev_b32_e32 v10, 5, v4
	v_mad_u32_u24 v4, v3, 24, 9
	v_cmp_gt_i32_e64 s[18:19], s62, v4
	v_lshlrev_b32_e32 v4, 5, v4
	v_and_b32_e32 v11, 0x3f00, v4
	v_mad_u32_u24 v4, v3, 24, 10
	v_cmp_gt_i32_e64 s[20:21], s62, v4
	v_lshlrev_b32_e32 v4, 5, v4
	v_and_b32_e32 v12, 0x3f00, v4
	;; [unrolled: 4-line block ×7, first 2 shown]
	v_mad_u32_u24 v4, v3, 24, 16
	v_cmp_gt_i32_e64 s[34:35], s62, v4
	v_lshlrev_b32_e32 v18, 5, v4
	v_mad_u32_u24 v4, v3, 24, 17
	v_cmp_gt_i32_e64 s[36:37], s62, v4
	v_lshlrev_b32_e32 v4, 5, v4
	v_and_b32_e32 v19, 0x3f00, v4
	v_mad_u32_u24 v4, v3, 24, 18
	v_cmp_gt_i32_e64 s[38:39], s62, v4
	v_lshlrev_b32_e32 v4, 5, v4
	v_and_b32_e32 v20, 0x3f00, v4
	v_mad_u32_u24 v4, v3, 24, 19
	v_cmp_gt_i32_e64 s[40:41], s62, v4
	v_lshlrev_b32_e32 v4, 5, v4
	s_add_i32 s0, s62, 7
	v_and_b32_e32 v21, 0x3f00, v4
	v_mad_u32_u24 v4, v3, 24, 20
	s_lshr_b32 s1, s0, 29
	v_cmp_gt_i32_e64 s[42:43], s62, v4
	v_lshlrev_b32_e32 v4, 5, v4
	s_add_i32 s0, s0, s1
	v_and_b32_e32 v22, 0x3f00, v4
	v_mad_u32_u24 v4, v3, 24, 21
	s_lshl_b32 s0, s0, 5
	v_cmp_gt_i32_e64 s[44:45], s62, v4
	v_lshlrev_b32_e32 v4, 5, v4
	s_and_b32 s63, s0, 0xffffff00
	s_and_b32 s59, s59, 0xffff
	v_mul_u32_u24_e32 v1, 0x300, v3
	v_and_b32_e32 v23, 0x3f00, v4
	v_mad_u32_u24 v4, v3, 24, 22
	v_mad_u32_u24 v3, v3, 24, 23
	s_mul_i32 s0, s62, s64
	s_cmp_eq_u32 s7, 1
	v_cmp_gt_i32_e64 s[46:47], s62, v4
	v_lshlrev_b32_e32 v4, 5, v4
	v_cmp_gt_i32_e64 s[48:49], s62, v3
	v_lshlrev_b32_e32 v3, 5, v3
	s_mul_i32 s70, s0, s7
	s_mov_b32 s71, 0x20000
	s_mov_b64 s[68:69], s[58:59]
	s_cselect_b64 vcc, -1, 0
	v_cmp_gt_i32_e64 s[0:1], s62, v0
	v_and_b32_e32 v24, 0x3f00, v4
	v_and_b32_e32 v25, 0x3f00, v3
	v_lshl_add_u32 v2, s6, 5, v2
	s_lshl_b32 s65, s67, 5
	s_movk_i32 s72, 0x80
	s_movk_i32 s73, 0xc0
	;; [unrolled: 1-line block ×4, first 2 shown]
	v_mov_b32_e32 v26, 11
	v_mov_b32_e32 v27, 4
	s_movk_i32 s76, 0xc2
	s_branch .LBB241_3
.LBB241_2:                              ;   in Loop: Header=BB241_3 Depth=1
	s_or_b64 exec, exec, s[54:55]
	s_add_i32 s6, s6, s67
	s_cmp_lt_i32 s6, s66
	v_add_u32_e32 v2, s65, v2
	s_cbranch_scc0 .LBB241_54
.LBB241_3:                              ; =>This Inner Loop Header: Depth=1
	s_waitcnt lgkmcnt(0)
	v_cmp_gt_i32_e64 s[52:53], s33, v2
	s_waitcnt vmcnt(0)
	v_mov_b32_e32 v4, s64
	v_ashrrev_i32_e32 v3, 31, v2
	s_and_saveexec_b64 s[54:55], s[52:53]
	s_cbranch_execz .LBB241_5
; %bb.4:                                ;   in Loop: Header=BB241_3 Depth=1
	v_lshlrev_b64 v[4:5], 2, v[2:3]
	v_mov_b32_e32 v6, s61
	v_add_co_u32_e64 v4, s[52:53], s60, v4
	v_addc_co_u32_e64 v5, s[52:53], v6, v5, s[52:53]
	global_load_dword v4, v[4:5], off
.LBB241_5:                              ;   in Loop: Header=BB241_3 Depth=1
	s_or_b64 exec, exec, s[54:55]
	s_waitcnt vmcnt(0)
	v_and_b32_e32 v5, 0xffffff, v4
	v_ashrrev_i32_e32 v4, 24, v4
	v_cmp_gt_i32_e64 s[54:55], s7, v4
	v_cmp_gt_i32_e64 s[52:53], s64, v5
	s_or_b64 s[54:55], vcc, s[54:55]
	s_and_b64 s[52:53], s[52:53], s[54:55]
	s_and_saveexec_b64 s[54:55], s[52:53]
	s_cbranch_execz .LBB241_2
; %bb.6:                                ;   in Loop: Header=BB241_3 Depth=1
	v_mad_u64_u32 v[6:7], s[52:53], v5, s7, v[4:5]
	v_cndmask_b32_e32 v4, v6, v5, vcc
	v_mad_u64_u32 v[4:5], s[52:53], v4, s62, v[0:1]
	buffer_load_dwordx2 v[8:9], v4, s[68:71], 0 offen
	buffer_load_dwordx2 v[6:7], v4, s[68:71], 8 offen
	s_nop 0
	buffer_load_dwordx2 v[4:5], v4, s[68:71], 16 offen
	v_lshrrev_b32_e32 v28, 27, v3
	v_add_u32_e32 v28, v2, v28
	v_ashrrev_i32_e32 v29, 5, v28
	v_and_b32_e32 v28, 0xffe0, v28
	v_sub_u32_e32 v28, v2, v28
	v_lshrrev_b32_e32 v3, 28, v3
	v_lshrrev_b16_sdwa v30, v26, sext(v28) dst_sel:DWORD dst_unused:UNUSED_PAD src0_sel:DWORD src1_sel:BYTE_0
	v_add_u32_e32 v3, v2, v3
	v_and_b32_e32 v30, 15, v30
	v_and_b32_e32 v3, 0x3ffffff0, v3
	v_add_u16_e32 v28, v28, v30
	v_sub_u32_e32 v3, v2, v3
	v_ashrrev_i16_sdwa v28, v27, sext(v28) dst_sel:DWORD dst_unused:UNUSED_PAD src0_sel:DWORD src1_sel:BYTE_0
	v_mul_lo_u32 v29, s63, v29
	v_lshlrev_b32_e32 v3, 2, v3
	v_bfe_i32 v28, v28, 0, 16
	v_add3_u32 v3, v3, v29, v28
	s_and_saveexec_b64 s[58:59], s[0:1]
	s_cbranch_execnz .LBB241_30
; %bb.7:                                ;   in Loop: Header=BB241_3 Depth=1
	s_or_b64 exec, exec, s[58:59]
	s_and_saveexec_b64 s[58:59], s[2:3]
	s_cbranch_execnz .LBB241_31
.LBB241_8:                              ;   in Loop: Header=BB241_3 Depth=1
	s_or_b64 exec, exec, s[58:59]
	s_and_saveexec_b64 s[58:59], s[4:5]
	s_cbranch_execnz .LBB241_32
.LBB241_9:                              ;   in Loop: Header=BB241_3 Depth=1
	s_or_b64 exec, exec, s[58:59]
	s_and_saveexec_b64 s[58:59], s[50:51]
	s_cbranch_execnz .LBB241_33
.LBB241_10:                             ;   in Loop: Header=BB241_3 Depth=1
	s_or_b64 exec, exec, s[58:59]
	s_and_saveexec_b64 s[58:59], s[8:9]
	s_cbranch_execnz .LBB241_34
.LBB241_11:                             ;   in Loop: Header=BB241_3 Depth=1
	s_or_b64 exec, exec, s[58:59]
	s_and_saveexec_b64 s[58:59], s[10:11]
	s_cbranch_execnz .LBB241_35
.LBB241_12:                             ;   in Loop: Header=BB241_3 Depth=1
	s_or_b64 exec, exec, s[58:59]
	s_and_saveexec_b64 s[58:59], s[12:13]
	s_cbranch_execnz .LBB241_36
.LBB241_13:                             ;   in Loop: Header=BB241_3 Depth=1
	s_or_b64 exec, exec, s[58:59]
	s_and_saveexec_b64 s[58:59], s[14:15]
	s_cbranch_execnz .LBB241_37
.LBB241_14:                             ;   in Loop: Header=BB241_3 Depth=1
	s_or_b64 exec, exec, s[58:59]
	s_and_saveexec_b64 s[58:59], s[16:17]
	s_cbranch_execnz .LBB241_38
.LBB241_15:                             ;   in Loop: Header=BB241_3 Depth=1
	s_or_b64 exec, exec, s[58:59]
	s_and_saveexec_b64 s[58:59], s[18:19]
	s_cbranch_execnz .LBB241_39
.LBB241_16:                             ;   in Loop: Header=BB241_3 Depth=1
	s_or_b64 exec, exec, s[58:59]
	s_and_saveexec_b64 s[58:59], s[20:21]
	s_cbranch_execnz .LBB241_40
.LBB241_17:                             ;   in Loop: Header=BB241_3 Depth=1
	s_or_b64 exec, exec, s[58:59]
	s_and_saveexec_b64 s[58:59], s[22:23]
	s_cbranch_execnz .LBB241_41
.LBB241_18:                             ;   in Loop: Header=BB241_3 Depth=1
	s_or_b64 exec, exec, s[58:59]
	s_and_saveexec_b64 s[58:59], s[24:25]
	s_cbranch_execnz .LBB241_42
.LBB241_19:                             ;   in Loop: Header=BB241_3 Depth=1
	s_or_b64 exec, exec, s[58:59]
	s_and_saveexec_b64 s[58:59], s[26:27]
	s_cbranch_execnz .LBB241_43
.LBB241_20:                             ;   in Loop: Header=BB241_3 Depth=1
	s_or_b64 exec, exec, s[58:59]
	s_and_saveexec_b64 s[58:59], s[28:29]
	s_cbranch_execnz .LBB241_44
.LBB241_21:                             ;   in Loop: Header=BB241_3 Depth=1
	s_or_b64 exec, exec, s[58:59]
	s_and_saveexec_b64 s[58:59], s[30:31]
	s_cbranch_execnz .LBB241_45
.LBB241_22:                             ;   in Loop: Header=BB241_3 Depth=1
	s_or_b64 exec, exec, s[58:59]
	s_and_saveexec_b64 s[58:59], s[34:35]
	s_cbranch_execnz .LBB241_46
.LBB241_23:                             ;   in Loop: Header=BB241_3 Depth=1
	s_or_b64 exec, exec, s[58:59]
	s_and_saveexec_b64 s[58:59], s[36:37]
	s_cbranch_execnz .LBB241_47
.LBB241_24:                             ;   in Loop: Header=BB241_3 Depth=1
	s_or_b64 exec, exec, s[58:59]
	s_and_saveexec_b64 s[58:59], s[38:39]
	s_cbranch_execnz .LBB241_48
.LBB241_25:                             ;   in Loop: Header=BB241_3 Depth=1
	s_or_b64 exec, exec, s[58:59]
	s_and_saveexec_b64 s[58:59], s[40:41]
	s_cbranch_execnz .LBB241_49
.LBB241_26:                             ;   in Loop: Header=BB241_3 Depth=1
	s_or_b64 exec, exec, s[58:59]
	s_and_saveexec_b64 s[58:59], s[42:43]
	s_cbranch_execnz .LBB241_50
.LBB241_27:                             ;   in Loop: Header=BB241_3 Depth=1
	s_or_b64 exec, exec, s[58:59]
	s_and_saveexec_b64 s[58:59], s[44:45]
	s_cbranch_execnz .LBB241_51
.LBB241_28:                             ;   in Loop: Header=BB241_3 Depth=1
	s_or_b64 exec, exec, s[58:59]
	s_and_saveexec_b64 s[58:59], s[46:47]
	s_cbranch_execnz .LBB241_52
.LBB241_29:                             ;   in Loop: Header=BB241_3 Depth=1
	s_or_b64 exec, exec, s[58:59]
	s_and_b64 exec, exec, s[48:49]
	s_cbranch_execz .LBB241_2
	s_branch .LBB241_53
.LBB241_30:                             ;   in Loop: Header=BB241_3 Depth=1
	v_add_u32_e32 v28, v3, v1
	v_ashrrev_i32_e32 v29, 31, v28
	v_mov_b32_e32 v30, s57
	v_add_co_u32_e64 v28, s[52:53], s56, v28
	v_addc_co_u32_e64 v29, s[52:53], v30, v29, s[52:53]
	s_waitcnt vmcnt(2)
	global_store_byte v[28:29], v8, off
	s_or_b64 exec, exec, s[58:59]
	s_and_saveexec_b64 s[58:59], s[2:3]
	s_cbranch_execz .LBB241_8
.LBB241_31:                             ;   in Loop: Header=BB241_3 Depth=1
	v_add3_u32 v28, v3, v1, 64
	v_ashrrev_i32_e32 v29, 31, v28
	v_mov_b32_e32 v31, s57
	v_add_co_u32_e64 v28, s[52:53], s56, v28
	s_waitcnt vmcnt(2)
	v_lshrrev_b32_e32 v30, 8, v8
	v_addc_co_u32_e64 v29, s[52:53], v31, v29, s[52:53]
	global_store_byte v[28:29], v30, off
	s_or_b64 exec, exec, s[58:59]
	s_and_saveexec_b64 s[58:59], s[4:5]
	s_cbranch_execz .LBB241_9
.LBB241_32:                             ;   in Loop: Header=BB241_3 Depth=1
	v_add3_u32 v28, v3, v1, s72
	v_ashrrev_i32_e32 v29, 31, v28
	v_mov_b32_e32 v30, s57
	v_add_co_u32_e64 v28, s[52:53], s56, v28
	v_addc_co_u32_e64 v29, s[52:53], v30, v29, s[52:53]
	s_waitcnt vmcnt(2)
	global_store_byte_d16_hi v[28:29], v8, off
	s_or_b64 exec, exec, s[58:59]
	s_and_saveexec_b64 s[58:59], s[50:51]
	s_cbranch_execz .LBB241_10
.LBB241_33:                             ;   in Loop: Header=BB241_3 Depth=1
	v_add3_u32 v28, v3, v1, s73
	v_ashrrev_i32_e32 v29, 31, v28
	v_mov_b32_e32 v30, s57
	v_add_co_u32_e64 v28, s[52:53], s56, v28
	s_waitcnt vmcnt(2)
	v_lshrrev_b32_e32 v8, 24, v8
	v_addc_co_u32_e64 v29, s[52:53], v30, v29, s[52:53]
	global_store_byte v[28:29], v8, off
	s_or_b64 exec, exec, s[58:59]
	s_and_saveexec_b64 s[58:59], s[8:9]
	s_cbranch_execz .LBB241_11
.LBB241_34:                             ;   in Loop: Header=BB241_3 Depth=1
	s_waitcnt vmcnt(2)
	v_add3_u32 v8, v3, v1, 2
	v_ashrrev_i32_e32 v29, 31, v8
	v_mov_b32_e32 v30, s57
	v_add_co_u32_e64 v28, s[52:53], s56, v8
	v_addc_co_u32_e64 v29, s[52:53], v30, v29, s[52:53]
	global_store_byte v[28:29], v9, off
	s_or_b64 exec, exec, s[58:59]
	s_and_saveexec_b64 s[58:59], s[10:11]
	s_cbranch_execz .LBB241_12
.LBB241_35:                             ;   in Loop: Header=BB241_3 Depth=1
	s_waitcnt vmcnt(2)
	v_add3_u32 v8, v3, v1, s74
	v_ashrrev_i32_e32 v29, 31, v8
	v_mov_b32_e32 v31, s57
	v_add_co_u32_e64 v28, s[52:53], s56, v8
	v_lshrrev_b32_e32 v30, 8, v9
	v_addc_co_u32_e64 v29, s[52:53], v31, v29, s[52:53]
	global_store_byte v[28:29], v30, off
	s_or_b64 exec, exec, s[58:59]
	s_and_saveexec_b64 s[58:59], s[12:13]
	s_cbranch_execz .LBB241_13
.LBB241_36:                             ;   in Loop: Header=BB241_3 Depth=1
	s_waitcnt vmcnt(2)
	v_add3_u32 v8, v3, v1, s75
	v_ashrrev_i32_e32 v29, 31, v8
	v_mov_b32_e32 v30, s57
	v_add_co_u32_e64 v28, s[52:53], s56, v8
	v_addc_co_u32_e64 v29, s[52:53], v30, v29, s[52:53]
	global_store_byte_d16_hi v[28:29], v9, off
	s_or_b64 exec, exec, s[58:59]
	s_and_saveexec_b64 s[58:59], s[14:15]
	s_cbranch_execz .LBB241_14
.LBB241_37:                             ;   in Loop: Header=BB241_3 Depth=1
	s_waitcnt vmcnt(2)
	v_add3_u32 v8, v3, v1, s76
	v_lshrrev_b32_e32 v28, 24, v9
	v_ashrrev_i32_e32 v9, 31, v8
	v_mov_b32_e32 v29, s57
	v_add_co_u32_e64 v8, s[52:53], s56, v8
	v_addc_co_u32_e64 v9, s[52:53], v29, v9, s[52:53]
	global_store_byte v[8:9], v28, off
	s_or_b64 exec, exec, s[58:59]
	s_and_saveexec_b64 s[58:59], s[16:17]
	s_cbranch_execz .LBB241_15
.LBB241_38:                             ;   in Loop: Header=BB241_3 Depth=1
	s_waitcnt vmcnt(2)
	v_add_u32_e32 v8, v3, v10
	v_ashrrev_i32_e32 v9, 31, v8
	v_mov_b32_e32 v28, s57
	v_add_co_u32_e64 v8, s[52:53], s56, v8
	v_addc_co_u32_e64 v9, s[52:53], v28, v9, s[52:53]
	s_waitcnt vmcnt(1)
	global_store_byte v[8:9], v6, off
	s_or_b64 exec, exec, s[58:59]
	s_and_saveexec_b64 s[58:59], s[18:19]
	s_cbranch_execz .LBB241_16
.LBB241_39:                             ;   in Loop: Header=BB241_3 Depth=1
	s_waitcnt vmcnt(2)
	v_add3_u32 v8, v3, v11, 64
	v_ashrrev_i32_e32 v9, 31, v8
	v_mov_b32_e32 v29, s57
	v_add_co_u32_e64 v8, s[52:53], s56, v8
	s_waitcnt vmcnt(1)
	v_lshrrev_b32_e32 v28, 8, v6
	v_addc_co_u32_e64 v9, s[52:53], v29, v9, s[52:53]
	global_store_byte v[8:9], v28, off
	s_or_b64 exec, exec, s[58:59]
	s_and_saveexec_b64 s[58:59], s[20:21]
	s_cbranch_execz .LBB241_17
.LBB241_40:                             ;   in Loop: Header=BB241_3 Depth=1
	s_waitcnt vmcnt(2)
	v_add3_u32 v8, v3, v12, s72
	v_ashrrev_i32_e32 v9, 31, v8
	v_mov_b32_e32 v28, s57
	v_add_co_u32_e64 v8, s[52:53], s56, v8
	v_addc_co_u32_e64 v9, s[52:53], v28, v9, s[52:53]
	s_waitcnt vmcnt(1)
	global_store_byte_d16_hi v[8:9], v6, off
	s_or_b64 exec, exec, s[58:59]
	s_and_saveexec_b64 s[58:59], s[22:23]
	s_cbranch_execz .LBB241_18
.LBB241_41:                             ;   in Loop: Header=BB241_3 Depth=1
	s_waitcnt vmcnt(2)
	v_add3_u32 v8, v3, v13, s73
	v_ashrrev_i32_e32 v9, 31, v8
	v_mov_b32_e32 v28, s57
	v_add_co_u32_e64 v8, s[52:53], s56, v8
	s_waitcnt vmcnt(1)
	v_lshrrev_b32_e32 v6, 24, v6
	v_addc_co_u32_e64 v9, s[52:53], v28, v9, s[52:53]
	global_store_byte v[8:9], v6, off
	s_or_b64 exec, exec, s[58:59]
	s_and_saveexec_b64 s[58:59], s[24:25]
	s_cbranch_execz .LBB241_19
.LBB241_42:                             ;   in Loop: Header=BB241_3 Depth=1
	s_waitcnt vmcnt(1)
	v_add3_u32 v6, v3, v14, 2
	v_ashrrev_i32_e32 v9, 31, v6
	v_mov_b32_e32 v28, s57
	v_add_co_u32_e64 v8, s[52:53], s56, v6
	v_addc_co_u32_e64 v9, s[52:53], v28, v9, s[52:53]
	global_store_byte v[8:9], v7, off
	s_or_b64 exec, exec, s[58:59]
	s_and_saveexec_b64 s[58:59], s[26:27]
	s_cbranch_execz .LBB241_20
.LBB241_43:                             ;   in Loop: Header=BB241_3 Depth=1
	s_waitcnt vmcnt(1)
	v_add3_u32 v6, v3, v15, s74
	v_ashrrev_i32_e32 v9, 31, v6
	v_mov_b32_e32 v29, s57
	v_add_co_u32_e64 v8, s[52:53], s56, v6
	v_lshrrev_b32_e32 v28, 8, v7
	v_addc_co_u32_e64 v9, s[52:53], v29, v9, s[52:53]
	global_store_byte v[8:9], v28, off
	s_or_b64 exec, exec, s[58:59]
	s_and_saveexec_b64 s[58:59], s[28:29]
	s_cbranch_execz .LBB241_21
.LBB241_44:                             ;   in Loop: Header=BB241_3 Depth=1
	s_waitcnt vmcnt(1)
	v_add3_u32 v6, v3, v16, s75
	v_ashrrev_i32_e32 v9, 31, v6
	v_mov_b32_e32 v28, s57
	v_add_co_u32_e64 v8, s[52:53], s56, v6
	v_addc_co_u32_e64 v9, s[52:53], v28, v9, s[52:53]
	global_store_byte_d16_hi v[8:9], v7, off
	s_or_b64 exec, exec, s[58:59]
	s_and_saveexec_b64 s[58:59], s[30:31]
	s_cbranch_execz .LBB241_22
.LBB241_45:                             ;   in Loop: Header=BB241_3 Depth=1
	s_waitcnt vmcnt(1)
	v_add3_u32 v6, v3, v17, s76
	v_lshrrev_b32_e32 v8, 24, v7
	v_ashrrev_i32_e32 v7, 31, v6
	v_mov_b32_e32 v9, s57
	v_add_co_u32_e64 v6, s[52:53], s56, v6
	v_addc_co_u32_e64 v7, s[52:53], v9, v7, s[52:53]
	global_store_byte v[6:7], v8, off
	s_or_b64 exec, exec, s[58:59]
	s_and_saveexec_b64 s[58:59], s[34:35]
	s_cbranch_execz .LBB241_23
.LBB241_46:                             ;   in Loop: Header=BB241_3 Depth=1
	s_waitcnt vmcnt(1)
	v_add_u32_e32 v6, v3, v18
	v_ashrrev_i32_e32 v7, 31, v6
	v_mov_b32_e32 v8, s57
	v_add_co_u32_e64 v6, s[52:53], s56, v6
	v_addc_co_u32_e64 v7, s[52:53], v8, v7, s[52:53]
	s_waitcnt vmcnt(0)
	global_store_byte v[6:7], v4, off
	s_or_b64 exec, exec, s[58:59]
	s_and_saveexec_b64 s[58:59], s[36:37]
	s_cbranch_execz .LBB241_24
.LBB241_47:                             ;   in Loop: Header=BB241_3 Depth=1
	s_waitcnt vmcnt(1)
	v_add3_u32 v6, v3, v19, 64
	v_ashrrev_i32_e32 v7, 31, v6
	v_mov_b32_e32 v9, s57
	v_add_co_u32_e64 v6, s[52:53], s56, v6
	s_waitcnt vmcnt(0)
	v_lshrrev_b32_e32 v8, 8, v4
	v_addc_co_u32_e64 v7, s[52:53], v9, v7, s[52:53]
	global_store_byte v[6:7], v8, off
	s_or_b64 exec, exec, s[58:59]
	s_and_saveexec_b64 s[58:59], s[38:39]
	s_cbranch_execz .LBB241_25
.LBB241_48:                             ;   in Loop: Header=BB241_3 Depth=1
	s_waitcnt vmcnt(1)
	v_add3_u32 v6, v3, v20, s72
	v_ashrrev_i32_e32 v7, 31, v6
	v_mov_b32_e32 v8, s57
	v_add_co_u32_e64 v6, s[52:53], s56, v6
	v_addc_co_u32_e64 v7, s[52:53], v8, v7, s[52:53]
	s_waitcnt vmcnt(0)
	global_store_byte_d16_hi v[6:7], v4, off
	s_or_b64 exec, exec, s[58:59]
	s_and_saveexec_b64 s[58:59], s[40:41]
	s_cbranch_execz .LBB241_26
.LBB241_49:                             ;   in Loop: Header=BB241_3 Depth=1
	s_waitcnt vmcnt(1)
	v_add3_u32 v6, v3, v21, s73
	v_ashrrev_i32_e32 v7, 31, v6
	v_mov_b32_e32 v8, s57
	v_add_co_u32_e64 v6, s[52:53], s56, v6
	s_waitcnt vmcnt(0)
	v_lshrrev_b32_e32 v4, 24, v4
	v_addc_co_u32_e64 v7, s[52:53], v8, v7, s[52:53]
	global_store_byte v[6:7], v4, off
	s_or_b64 exec, exec, s[58:59]
	s_and_saveexec_b64 s[58:59], s[42:43]
	s_cbranch_execz .LBB241_27
.LBB241_50:                             ;   in Loop: Header=BB241_3 Depth=1
	s_waitcnt vmcnt(0)
	v_add3_u32 v4, v3, v22, 2
	v_ashrrev_i32_e32 v7, 31, v4
	v_mov_b32_e32 v8, s57
	v_add_co_u32_e64 v6, s[52:53], s56, v4
	v_addc_co_u32_e64 v7, s[52:53], v8, v7, s[52:53]
	global_store_byte v[6:7], v5, off
	s_or_b64 exec, exec, s[58:59]
	s_and_saveexec_b64 s[58:59], s[44:45]
	s_cbranch_execz .LBB241_28
.LBB241_51:                             ;   in Loop: Header=BB241_3 Depth=1
	s_waitcnt vmcnt(0)
	v_add3_u32 v4, v3, v23, s74
	v_ashrrev_i32_e32 v7, 31, v4
	v_mov_b32_e32 v9, s57
	v_add_co_u32_e64 v6, s[52:53], s56, v4
	v_lshrrev_b32_e32 v8, 8, v5
	v_addc_co_u32_e64 v7, s[52:53], v9, v7, s[52:53]
	global_store_byte v[6:7], v8, off
	s_or_b64 exec, exec, s[58:59]
	s_and_saveexec_b64 s[58:59], s[46:47]
	s_cbranch_execz .LBB241_29
.LBB241_52:                             ;   in Loop: Header=BB241_3 Depth=1
	s_waitcnt vmcnt(0)
	v_add3_u32 v4, v3, v24, s75
	v_ashrrev_i32_e32 v7, 31, v4
	v_mov_b32_e32 v8, s57
	v_add_co_u32_e64 v6, s[52:53], s56, v4
	v_addc_co_u32_e64 v7, s[52:53], v8, v7, s[52:53]
	global_store_byte_d16_hi v[6:7], v5, off
	s_or_b64 exec, exec, s[58:59]
	s_and_b64 exec, exec, s[48:49]
	s_cbranch_execz .LBB241_2
.LBB241_53:                             ;   in Loop: Header=BB241_3 Depth=1
	v_add3_u32 v3, v3, v25, s76
	s_waitcnt vmcnt(0)
	v_lshrrev_b32_e32 v6, 24, v5
	v_ashrrev_i32_e32 v5, 31, v3
	v_mov_b32_e32 v7, s57
	v_add_co_u32_e64 v4, s[52:53], s56, v3
	v_addc_co_u32_e64 v5, s[52:53], v7, v5, s[52:53]
	global_store_byte v[4:5], v6, off
	s_branch .LBB241_2
.LBB241_54:
	s_endpgm
	.section	.rodata,"a",@progbits
	.p2align	6, 0x0
	.amdhsa_kernel _ZN5aiter21mxfp4_moe_sort_kernelILi256ELi32ELi24ELi32EEEvPhS1_PKiS3_iiiii
		.amdhsa_group_segment_fixed_size 0
		.amdhsa_private_segment_fixed_size 0
		.amdhsa_kernarg_size 52
		.amdhsa_user_sgpr_count 6
		.amdhsa_user_sgpr_private_segment_buffer 1
		.amdhsa_user_sgpr_dispatch_ptr 0
		.amdhsa_user_sgpr_queue_ptr 0
		.amdhsa_user_sgpr_kernarg_segment_ptr 1
		.amdhsa_user_sgpr_dispatch_id 0
		.amdhsa_user_sgpr_flat_scratch_init 0
		.amdhsa_user_sgpr_kernarg_preload_length 0
		.amdhsa_user_sgpr_kernarg_preload_offset 0
		.amdhsa_user_sgpr_private_segment_size 0
		.amdhsa_uses_dynamic_stack 0
		.amdhsa_system_sgpr_private_segment_wavefront_offset 0
		.amdhsa_system_sgpr_workgroup_id_x 1
		.amdhsa_system_sgpr_workgroup_id_y 0
		.amdhsa_system_sgpr_workgroup_id_z 0
		.amdhsa_system_sgpr_workgroup_info 0
		.amdhsa_system_vgpr_workitem_id 0
		.amdhsa_next_free_vgpr 32
		.amdhsa_next_free_sgpr 77
		.amdhsa_accum_offset 32
		.amdhsa_reserve_vcc 1
		.amdhsa_reserve_flat_scratch 0
		.amdhsa_float_round_mode_32 0
		.amdhsa_float_round_mode_16_64 0
		.amdhsa_float_denorm_mode_32 3
		.amdhsa_float_denorm_mode_16_64 3
		.amdhsa_dx10_clamp 1
		.amdhsa_ieee_mode 1
		.amdhsa_fp16_overflow 0
		.amdhsa_tg_split 0
		.amdhsa_exception_fp_ieee_invalid_op 0
		.amdhsa_exception_fp_denorm_src 0
		.amdhsa_exception_fp_ieee_div_zero 0
		.amdhsa_exception_fp_ieee_overflow 0
		.amdhsa_exception_fp_ieee_underflow 0
		.amdhsa_exception_fp_ieee_inexact 0
		.amdhsa_exception_int_div_zero 0
	.end_amdhsa_kernel
	.section	.text._ZN5aiter21mxfp4_moe_sort_kernelILi256ELi32ELi24ELi32EEEvPhS1_PKiS3_iiiii,"axG",@progbits,_ZN5aiter21mxfp4_moe_sort_kernelILi256ELi32ELi24ELi32EEEvPhS1_PKiS3_iiiii,comdat
.Lfunc_end241:
	.size	_ZN5aiter21mxfp4_moe_sort_kernelILi256ELi32ELi24ELi32EEEvPhS1_PKiS3_iiiii, .Lfunc_end241-_ZN5aiter21mxfp4_moe_sort_kernelILi256ELi32ELi24ELi32EEEvPhS1_PKiS3_iiiii
                                        ; -- End function
	.section	.AMDGPU.csdata,"",@progbits
; Kernel info:
; codeLenInByte = 2696
; NumSgprs: 81
; NumVgprs: 32
; NumAgprs: 0
; TotalNumVgprs: 32
; ScratchSize: 0
; MemoryBound: 0
; FloatMode: 240
; IeeeMode: 1
; LDSByteSize: 0 bytes/workgroup (compile time only)
; SGPRBlocks: 10
; VGPRBlocks: 3
; NumSGPRsForWavesPerEU: 81
; NumVGPRsForWavesPerEU: 32
; AccumOffset: 32
; Occupancy: 8
; WaveLimiterHint : 0
; COMPUTE_PGM_RSRC2:SCRATCH_EN: 0
; COMPUTE_PGM_RSRC2:USER_SGPR: 6
; COMPUTE_PGM_RSRC2:TRAP_HANDLER: 0
; COMPUTE_PGM_RSRC2:TGID_X_EN: 1
; COMPUTE_PGM_RSRC2:TGID_Y_EN: 0
; COMPUTE_PGM_RSRC2:TGID_Z_EN: 0
; COMPUTE_PGM_RSRC2:TIDIG_COMP_CNT: 0
; COMPUTE_PGM_RSRC3_GFX90A:ACCUM_OFFSET: 7
; COMPUTE_PGM_RSRC3_GFX90A:TG_SPLIT: 0
	.section	.text._ZN5aiter21mxfp4_moe_sort_kernelILi256ELi32ELi32ELi32EEEvPhS1_PKiS3_iiiii,"axG",@progbits,_ZN5aiter21mxfp4_moe_sort_kernelILi256ELi32ELi32ELi32EEEvPhS1_PKiS3_iiiii,comdat
	.protected	_ZN5aiter21mxfp4_moe_sort_kernelILi256ELi32ELi32ELi32EEEvPhS1_PKiS3_iiiii ; -- Begin function _ZN5aiter21mxfp4_moe_sort_kernelILi256ELi32ELi32ELi32EEEvPhS1_PKiS3_iiiii
	.globl	_ZN5aiter21mxfp4_moe_sort_kernelILi256ELi32ELi32ELi32EEEvPhS1_PKiS3_iiiii
	.p2align	8
	.type	_ZN5aiter21mxfp4_moe_sort_kernelILi256ELi32ELi32ELi32EEEvPhS1_PKiS3_iiiii,@function
_ZN5aiter21mxfp4_moe_sort_kernelILi256ELi32ELi32ELi32EEEvPhS1_PKiS3_iiiii: ; @_ZN5aiter21mxfp4_moe_sort_kernelILi256ELi32ELi32ELi32EEEvPhS1_PKiS3_iiiii
; %bb.0:
	s_load_dwordx4 s[80:83], s[4:5], 0x20
	s_waitcnt lgkmcnt(0)
	s_cmp_ge_i32 s6, s82
	s_cbranch_scc1 .LBB242_70
; %bb.1:
	s_load_dwordx8 s[72:79], s[4:5], 0x0
	s_load_dword s7, s[4:5], 0x30
	s_add_i32 s0, s81, 31
	s_ashr_i32 s1, s0, 31
	v_lshlrev_b32_e32 v2, 5, v0
	s_lshr_b32 s1, s1, 27
	v_lshrrev_b32_e32 v1, 3, v0
	v_and_b32_e32 v8, 0xe0, v2
	s_add_i32 s0, s0, s1
	v_lshlrev_b32_e32 v0, 10, v0
	s_waitcnt lgkmcnt(0)
	s_load_dword s33, s[78:79], 0x0
	s_ashr_i32 s78, s0, 5
	v_and_b32_e32 v9, 0x1c00, v0
	v_or_b32_e32 v0, 1, v8
	v_cmp_gt_i32_e64 s[2:3], s78, v0
	v_or_b32_e32 v0, 2, v8
	v_cmp_gt_i32_e64 s[4:5], s78, v0
	;; [unrolled: 2-line block ×8, first 2 shown]
	v_lshlrev_b32_e32 v12, 5, v0
	v_or_b32_e32 v0, 9, v8
	v_cmp_gt_i32_e64 s[18:19], s78, v0
	v_lshlrev_b32_e32 v0, 5, v0
	v_and_b32_e32 v13, 0x1d00, v0
	v_or_b32_e32 v0, 10, v8
	v_cmp_gt_i32_e64 s[20:21], s78, v0
	v_lshlrev_b32_e32 v0, 5, v0
	v_and_b32_e32 v14, 0x1d00, v0
	;; [unrolled: 4-line block ×7, first 2 shown]
	v_or_b32_e32 v0, 16, v8
	v_cmp_gt_i32_e64 s[34:35], s78, v0
	v_lshlrev_b32_e32 v20, 5, v0
	v_or_b32_e32 v0, 17, v8
	v_cmp_gt_i32_e64 s[36:37], s78, v0
	v_lshlrev_b32_e32 v0, 5, v0
	v_and_b32_e32 v21, 0x1e00, v0
	v_or_b32_e32 v0, 18, v8
	v_or_b32_e32 v2, 25, v8
	v_cmp_gt_i32_e64 s[38:39], s78, v0
	v_lshlrev_b32_e32 v0, 5, v0
	v_lshlrev_b32_e32 v3, 5, v2
	v_and_b32_e32 v22, 0x1e00, v0
	v_or_b32_e32 v0, 19, v8
	v_and_b32_e32 v29, 0x1f00, v3
	v_or_b32_e32 v3, 26, v8
	v_cmp_gt_i32_e64 s[40:41], s78, v0
	v_lshlrev_b32_e32 v0, 5, v0
	v_lshlrev_b32_e32 v4, 5, v3
	v_and_b32_e32 v23, 0x1e00, v0
	v_or_b32_e32 v0, 20, v8
	v_and_b32_e32 v30, 0x1f00, v4
	v_or_b32_e32 v4, 27, v8
	v_cmp_gt_i32_e64 s[42:43], s78, v0
	v_lshlrev_b32_e32 v0, 5, v0
	v_lshlrev_b32_e32 v5, 5, v4
	v_and_b32_e32 v24, 0x1e00, v0
	v_or_b32_e32 v0, 21, v8
	v_and_b32_e32 v31, 0x1f00, v5
	v_or_b32_e32 v5, 28, v8
	s_add_i32 s0, s78, 7
	v_cmp_gt_i32_e64 s[44:45], s78, v0
	v_lshlrev_b32_e32 v0, 5, v0
	v_lshlrev_b32_e32 v6, 5, v5
	s_lshr_b32 s1, s0, 29
	v_and_b32_e32 v25, 0x1e00, v0
	v_or_b32_e32 v0, 22, v8
	v_and_b32_e32 v32, 0x1f00, v6
	v_or_b32_e32 v6, 29, v8
	s_add_i32 s0, s0, s1
	v_cmp_gt_i32_e64 s[46:47], s78, v0
	v_lshlrev_b32_e32 v0, 5, v0
	v_lshlrev_b32_e32 v7, 5, v6
	s_lshl_b32 s0, s0, 5
	v_and_b32_e32 v26, 0x1e00, v0
	v_or_b32_e32 v0, 23, v8
	v_and_b32_e32 v33, 0x1f00, v7
	v_or_b32_e32 v7, 30, v8
	s_and_b32 s79, s0, 0xffffff00
	s_and_b32 s75, s75, 0xffff
	v_cmp_gt_i32_e64 s[48:49], s78, v0
	v_lshlrev_b32_e32 v0, 5, v0
	v_lshlrev_b32_e32 v10, 5, v7
	v_or_b32_e32 v11, 31, v8
	s_mul_i32 s0, s78, s80
	s_cmp_eq_u32 s7, 1
	v_and_b32_e32 v27, 0x1e00, v0
	v_or_b32_e32 v0, 24, v8
	v_and_b32_e32 v34, 0x1f00, v10
	v_lshlrev_b32_e32 v10, 5, v11
	s_mul_i32 s86, s0, s7
	s_mov_b32 s87, 0x20000
	s_mov_b64 s[84:85], s[74:75]
	s_cselect_b64 vcc, -1, 0
	v_cmp_gt_i32_e64 s[0:1], s78, v8
	v_lshlrev_b32_e32 v28, 5, v0
	v_and_b32_e32 v35, 0x1f00, v10
	v_lshl_add_u32 v10, s6, 5, v1
	s_lshl_b32 s81, s83, 5
	s_movk_i32 s88, 0x80
	s_movk_i32 s89, 0xc0
	s_movk_i32 s90, 0x42
	s_movk_i32 s91, 0x82
	v_mov_b32_e32 v36, 11
	v_mov_b32_e32 v37, 4
	s_movk_i32 s92, 0xc2
	v_cmp_gt_i32_e64 s[50:51], s78, v0
	v_cmp_gt_i32_e64 s[52:53], s78, v2
	;; [unrolled: 1-line block ×8, first 2 shown]
	s_branch .LBB242_3
.LBB242_2:                              ;   in Loop: Header=BB242_3 Depth=1
	s_or_b64 exec, exec, s[70:71]
	s_add_i32 s6, s6, s83
	s_cmp_lt_i32 s6, s82
	v_add_u32_e32 v10, s81, v10
	s_cbranch_scc0 .LBB242_70
.LBB242_3:                              ; =>This Inner Loop Header: Depth=1
	s_waitcnt lgkmcnt(0)
	v_cmp_gt_i32_e64 s[68:69], s33, v10
	s_waitcnt vmcnt(0)
	v_mov_b32_e32 v0, s80
	v_ashrrev_i32_e32 v11, 31, v10
	s_and_saveexec_b64 s[70:71], s[68:69]
	s_cbranch_execz .LBB242_5
; %bb.4:                                ;   in Loop: Header=BB242_3 Depth=1
	v_lshlrev_b64 v[0:1], 2, v[10:11]
	v_mov_b32_e32 v2, s77
	v_add_co_u32_e64 v0, s[68:69], s76, v0
	v_addc_co_u32_e64 v1, s[68:69], v2, v1, s[68:69]
	global_load_dword v0, v[0:1], off
.LBB242_5:                              ;   in Loop: Header=BB242_3 Depth=1
	s_or_b64 exec, exec, s[70:71]
	s_waitcnt vmcnt(0)
	v_and_b32_e32 v1, 0xffffff, v0
	v_ashrrev_i32_e32 v0, 24, v0
	v_cmp_gt_i32_e64 s[70:71], s7, v0
	v_cmp_gt_i32_e64 s[68:69], s80, v1
	s_or_b64 s[70:71], vcc, s[70:71]
	s_and_b64 s[68:69], s[68:69], s[70:71]
	s_and_saveexec_b64 s[70:71], s[68:69]
	s_cbranch_execz .LBB242_2
; %bb.6:                                ;   in Loop: Header=BB242_3 Depth=1
	v_mad_u64_u32 v[2:3], s[68:69], v1, s7, v[0:1]
	v_cndmask_b32_e32 v0, v2, v1, vcc
	v_mad_u64_u32 v[0:1], s[68:69], v0, s78, v[8:9]
	buffer_load_dwordx4 v[4:7], v0, s[84:87], 0 offen
	s_nop 0
	buffer_load_dwordx4 v[0:3], v0, s[84:87], 16 offen
	v_lshrrev_b32_e32 v38, 27, v11
	v_add_u32_e32 v38, v10, v38
	v_ashrrev_i32_e32 v39, 5, v38
	v_and_b32_e32 v38, 0xffe0, v38
	v_sub_u32_e32 v38, v10, v38
	v_lshrrev_b32_e32 v11, 28, v11
	v_lshrrev_b16_sdwa v40, v36, sext(v38) dst_sel:DWORD dst_unused:UNUSED_PAD src0_sel:DWORD src1_sel:BYTE_0
	v_add_u32_e32 v11, v10, v11
	v_and_b32_e32 v40, 15, v40
	v_and_b32_e32 v11, 0x3ffffff0, v11
	v_add_u16_e32 v38, v38, v40
	v_sub_u32_e32 v11, v10, v11
	v_ashrrev_i16_sdwa v38, v37, sext(v38) dst_sel:DWORD dst_unused:UNUSED_PAD src0_sel:DWORD src1_sel:BYTE_0
	v_mul_lo_u32 v39, s79, v39
	v_lshlrev_b32_e32 v11, 2, v11
	v_bfe_i32 v38, v38, 0, 16
	v_add3_u32 v11, v11, v39, v38
	s_and_saveexec_b64 s[74:75], s[0:1]
	s_cbranch_execnz .LBB242_38
; %bb.7:                                ;   in Loop: Header=BB242_3 Depth=1
	s_or_b64 exec, exec, s[74:75]
	s_and_saveexec_b64 s[74:75], s[2:3]
	s_cbranch_execnz .LBB242_39
.LBB242_8:                              ;   in Loop: Header=BB242_3 Depth=1
	s_or_b64 exec, exec, s[74:75]
	s_and_saveexec_b64 s[74:75], s[4:5]
	s_cbranch_execnz .LBB242_40
.LBB242_9:                              ;   in Loop: Header=BB242_3 Depth=1
	s_or_b64 exec, exec, s[74:75]
	s_and_saveexec_b64 s[74:75], s[66:67]
	s_cbranch_execnz .LBB242_41
.LBB242_10:                             ;   in Loop: Header=BB242_3 Depth=1
	s_or_b64 exec, exec, s[74:75]
	s_and_saveexec_b64 s[74:75], s[8:9]
	s_cbranch_execnz .LBB242_42
.LBB242_11:                             ;   in Loop: Header=BB242_3 Depth=1
	s_or_b64 exec, exec, s[74:75]
	s_and_saveexec_b64 s[74:75], s[10:11]
	s_cbranch_execnz .LBB242_43
.LBB242_12:                             ;   in Loop: Header=BB242_3 Depth=1
	s_or_b64 exec, exec, s[74:75]
	s_and_saveexec_b64 s[74:75], s[12:13]
	s_cbranch_execnz .LBB242_44
.LBB242_13:                             ;   in Loop: Header=BB242_3 Depth=1
	s_or_b64 exec, exec, s[74:75]
	s_and_saveexec_b64 s[74:75], s[14:15]
	s_cbranch_execnz .LBB242_45
.LBB242_14:                             ;   in Loop: Header=BB242_3 Depth=1
	s_or_b64 exec, exec, s[74:75]
	s_and_saveexec_b64 s[74:75], s[16:17]
	s_cbranch_execnz .LBB242_46
.LBB242_15:                             ;   in Loop: Header=BB242_3 Depth=1
	s_or_b64 exec, exec, s[74:75]
	s_and_saveexec_b64 s[74:75], s[18:19]
	s_cbranch_execnz .LBB242_47
.LBB242_16:                             ;   in Loop: Header=BB242_3 Depth=1
	s_or_b64 exec, exec, s[74:75]
	s_and_saveexec_b64 s[74:75], s[20:21]
	s_cbranch_execnz .LBB242_48
.LBB242_17:                             ;   in Loop: Header=BB242_3 Depth=1
	s_or_b64 exec, exec, s[74:75]
	s_and_saveexec_b64 s[74:75], s[22:23]
	s_cbranch_execnz .LBB242_49
.LBB242_18:                             ;   in Loop: Header=BB242_3 Depth=1
	s_or_b64 exec, exec, s[74:75]
	s_and_saveexec_b64 s[74:75], s[24:25]
	s_cbranch_execnz .LBB242_50
.LBB242_19:                             ;   in Loop: Header=BB242_3 Depth=1
	s_or_b64 exec, exec, s[74:75]
	s_and_saveexec_b64 s[74:75], s[26:27]
	s_cbranch_execnz .LBB242_51
.LBB242_20:                             ;   in Loop: Header=BB242_3 Depth=1
	s_or_b64 exec, exec, s[74:75]
	s_and_saveexec_b64 s[74:75], s[28:29]
	s_cbranch_execnz .LBB242_52
.LBB242_21:                             ;   in Loop: Header=BB242_3 Depth=1
	s_or_b64 exec, exec, s[74:75]
	s_and_saveexec_b64 s[74:75], s[30:31]
	s_cbranch_execnz .LBB242_53
.LBB242_22:                             ;   in Loop: Header=BB242_3 Depth=1
	s_or_b64 exec, exec, s[74:75]
	s_and_saveexec_b64 s[74:75], s[34:35]
	s_cbranch_execnz .LBB242_54
.LBB242_23:                             ;   in Loop: Header=BB242_3 Depth=1
	s_or_b64 exec, exec, s[74:75]
	s_and_saveexec_b64 s[74:75], s[36:37]
	s_cbranch_execnz .LBB242_55
.LBB242_24:                             ;   in Loop: Header=BB242_3 Depth=1
	s_or_b64 exec, exec, s[74:75]
	s_and_saveexec_b64 s[74:75], s[38:39]
	s_cbranch_execnz .LBB242_56
.LBB242_25:                             ;   in Loop: Header=BB242_3 Depth=1
	s_or_b64 exec, exec, s[74:75]
	s_and_saveexec_b64 s[74:75], s[40:41]
	s_cbranch_execnz .LBB242_57
.LBB242_26:                             ;   in Loop: Header=BB242_3 Depth=1
	s_or_b64 exec, exec, s[74:75]
	s_and_saveexec_b64 s[74:75], s[42:43]
	s_cbranch_execnz .LBB242_58
.LBB242_27:                             ;   in Loop: Header=BB242_3 Depth=1
	s_or_b64 exec, exec, s[74:75]
	s_and_saveexec_b64 s[74:75], s[44:45]
	s_cbranch_execnz .LBB242_59
.LBB242_28:                             ;   in Loop: Header=BB242_3 Depth=1
	s_or_b64 exec, exec, s[74:75]
	s_and_saveexec_b64 s[74:75], s[46:47]
	s_cbranch_execnz .LBB242_60
.LBB242_29:                             ;   in Loop: Header=BB242_3 Depth=1
	s_or_b64 exec, exec, s[74:75]
	s_and_saveexec_b64 s[74:75], s[48:49]
	s_cbranch_execnz .LBB242_61
.LBB242_30:                             ;   in Loop: Header=BB242_3 Depth=1
	s_or_b64 exec, exec, s[74:75]
	s_and_saveexec_b64 s[74:75], s[50:51]
	s_cbranch_execnz .LBB242_62
.LBB242_31:                             ;   in Loop: Header=BB242_3 Depth=1
	s_or_b64 exec, exec, s[74:75]
	s_and_saveexec_b64 s[74:75], s[52:53]
	s_cbranch_execnz .LBB242_63
.LBB242_32:                             ;   in Loop: Header=BB242_3 Depth=1
	s_or_b64 exec, exec, s[74:75]
	s_and_saveexec_b64 s[74:75], s[54:55]
	s_cbranch_execnz .LBB242_64
.LBB242_33:                             ;   in Loop: Header=BB242_3 Depth=1
	s_or_b64 exec, exec, s[74:75]
	s_and_saveexec_b64 s[74:75], s[56:57]
	s_cbranch_execnz .LBB242_65
.LBB242_34:                             ;   in Loop: Header=BB242_3 Depth=1
	s_or_b64 exec, exec, s[74:75]
	s_and_saveexec_b64 s[74:75], s[58:59]
	s_cbranch_execnz .LBB242_66
.LBB242_35:                             ;   in Loop: Header=BB242_3 Depth=1
	s_or_b64 exec, exec, s[74:75]
	s_and_saveexec_b64 s[74:75], s[60:61]
	s_cbranch_execnz .LBB242_67
.LBB242_36:                             ;   in Loop: Header=BB242_3 Depth=1
	s_or_b64 exec, exec, s[74:75]
	s_and_saveexec_b64 s[74:75], s[62:63]
	s_cbranch_execnz .LBB242_68
.LBB242_37:                             ;   in Loop: Header=BB242_3 Depth=1
	s_or_b64 exec, exec, s[74:75]
	s_and_b64 exec, exec, s[64:65]
	s_cbranch_execz .LBB242_2
	s_branch .LBB242_69
.LBB242_38:                             ;   in Loop: Header=BB242_3 Depth=1
	v_add_u32_e32 v38, v11, v9
	v_ashrrev_i32_e32 v39, 31, v38
	v_mov_b32_e32 v40, s73
	v_add_co_u32_e64 v38, s[68:69], s72, v38
	v_addc_co_u32_e64 v39, s[68:69], v40, v39, s[68:69]
	s_waitcnt vmcnt(1)
	global_store_byte v[38:39], v4, off
	s_or_b64 exec, exec, s[74:75]
	s_and_saveexec_b64 s[74:75], s[2:3]
	s_cbranch_execz .LBB242_8
.LBB242_39:                             ;   in Loop: Header=BB242_3 Depth=1
	v_add3_u32 v38, v11, v9, 64
	v_ashrrev_i32_e32 v39, 31, v38
	v_mov_b32_e32 v41, s73
	v_add_co_u32_e64 v38, s[68:69], s72, v38
	s_waitcnt vmcnt(1)
	v_lshrrev_b32_e32 v40, 8, v4
	v_addc_co_u32_e64 v39, s[68:69], v41, v39, s[68:69]
	global_store_byte v[38:39], v40, off
	s_or_b64 exec, exec, s[74:75]
	s_and_saveexec_b64 s[74:75], s[4:5]
	s_cbranch_execz .LBB242_9
.LBB242_40:                             ;   in Loop: Header=BB242_3 Depth=1
	v_add3_u32 v38, v11, v9, s88
	v_ashrrev_i32_e32 v39, 31, v38
	v_mov_b32_e32 v40, s73
	v_add_co_u32_e64 v38, s[68:69], s72, v38
	v_addc_co_u32_e64 v39, s[68:69], v40, v39, s[68:69]
	s_waitcnt vmcnt(1)
	global_store_byte_d16_hi v[38:39], v4, off
	s_or_b64 exec, exec, s[74:75]
	s_and_saveexec_b64 s[74:75], s[66:67]
	s_cbranch_execz .LBB242_10
.LBB242_41:                             ;   in Loop: Header=BB242_3 Depth=1
	v_add3_u32 v38, v11, v9, s89
	v_ashrrev_i32_e32 v39, 31, v38
	v_mov_b32_e32 v40, s73
	v_add_co_u32_e64 v38, s[68:69], s72, v38
	s_waitcnt vmcnt(1)
	v_lshrrev_b32_e32 v4, 24, v4
	v_addc_co_u32_e64 v39, s[68:69], v40, v39, s[68:69]
	global_store_byte v[38:39], v4, off
	s_or_b64 exec, exec, s[74:75]
	s_and_saveexec_b64 s[74:75], s[8:9]
	s_cbranch_execz .LBB242_11
.LBB242_42:                             ;   in Loop: Header=BB242_3 Depth=1
	s_waitcnt vmcnt(1)
	v_add3_u32 v4, v11, v9, 2
	v_ashrrev_i32_e32 v39, 31, v4
	v_mov_b32_e32 v40, s73
	v_add_co_u32_e64 v38, s[68:69], s72, v4
	v_addc_co_u32_e64 v39, s[68:69], v40, v39, s[68:69]
	global_store_byte v[38:39], v5, off
	s_or_b64 exec, exec, s[74:75]
	s_and_saveexec_b64 s[74:75], s[10:11]
	s_cbranch_execz .LBB242_12
.LBB242_43:                             ;   in Loop: Header=BB242_3 Depth=1
	s_waitcnt vmcnt(1)
	v_add3_u32 v4, v11, v9, s90
	v_ashrrev_i32_e32 v39, 31, v4
	v_mov_b32_e32 v41, s73
	v_add_co_u32_e64 v38, s[68:69], s72, v4
	v_lshrrev_b32_e32 v40, 8, v5
	v_addc_co_u32_e64 v39, s[68:69], v41, v39, s[68:69]
	global_store_byte v[38:39], v40, off
	s_or_b64 exec, exec, s[74:75]
	s_and_saveexec_b64 s[74:75], s[12:13]
	s_cbranch_execz .LBB242_13
.LBB242_44:                             ;   in Loop: Header=BB242_3 Depth=1
	s_waitcnt vmcnt(1)
	v_add3_u32 v4, v11, v9, s91
	v_ashrrev_i32_e32 v39, 31, v4
	v_mov_b32_e32 v40, s73
	v_add_co_u32_e64 v38, s[68:69], s72, v4
	v_addc_co_u32_e64 v39, s[68:69], v40, v39, s[68:69]
	global_store_byte_d16_hi v[38:39], v5, off
	s_or_b64 exec, exec, s[74:75]
	s_and_saveexec_b64 s[74:75], s[14:15]
	s_cbranch_execz .LBB242_14
.LBB242_45:                             ;   in Loop: Header=BB242_3 Depth=1
	s_waitcnt vmcnt(1)
	v_add3_u32 v4, v11, v9, s92
	v_lshrrev_b32_e32 v38, 24, v5
	v_ashrrev_i32_e32 v5, 31, v4
	v_mov_b32_e32 v39, s73
	v_add_co_u32_e64 v4, s[68:69], s72, v4
	v_addc_co_u32_e64 v5, s[68:69], v39, v5, s[68:69]
	global_store_byte v[4:5], v38, off
	s_or_b64 exec, exec, s[74:75]
	s_and_saveexec_b64 s[74:75], s[16:17]
	s_cbranch_execz .LBB242_15
.LBB242_46:                             ;   in Loop: Header=BB242_3 Depth=1
	s_waitcnt vmcnt(1)
	v_add_u32_e32 v4, v11, v12
	v_ashrrev_i32_e32 v5, 31, v4
	v_mov_b32_e32 v38, s73
	v_add_co_u32_e64 v4, s[68:69], s72, v4
	v_addc_co_u32_e64 v5, s[68:69], v38, v5, s[68:69]
	global_store_byte v[4:5], v6, off
	s_or_b64 exec, exec, s[74:75]
	s_and_saveexec_b64 s[74:75], s[18:19]
	s_cbranch_execz .LBB242_16
.LBB242_47:                             ;   in Loop: Header=BB242_3 Depth=1
	s_waitcnt vmcnt(1)
	v_add3_u32 v4, v11, v13, 64
	v_ashrrev_i32_e32 v5, 31, v4
	v_mov_b32_e32 v39, s73
	v_add_co_u32_e64 v4, s[68:69], s72, v4
	v_lshrrev_b32_e32 v38, 8, v6
	v_addc_co_u32_e64 v5, s[68:69], v39, v5, s[68:69]
	global_store_byte v[4:5], v38, off
	s_or_b64 exec, exec, s[74:75]
	s_and_saveexec_b64 s[74:75], s[20:21]
	s_cbranch_execz .LBB242_17
.LBB242_48:                             ;   in Loop: Header=BB242_3 Depth=1
	s_waitcnt vmcnt(1)
	v_add3_u32 v4, v11, v14, s88
	v_ashrrev_i32_e32 v5, 31, v4
	v_mov_b32_e32 v38, s73
	v_add_co_u32_e64 v4, s[68:69], s72, v4
	v_addc_co_u32_e64 v5, s[68:69], v38, v5, s[68:69]
	global_store_byte_d16_hi v[4:5], v6, off
	s_or_b64 exec, exec, s[74:75]
	s_and_saveexec_b64 s[74:75], s[22:23]
	s_cbranch_execz .LBB242_18
.LBB242_49:                             ;   in Loop: Header=BB242_3 Depth=1
	s_waitcnt vmcnt(1)
	v_add3_u32 v4, v11, v15, s89
	v_ashrrev_i32_e32 v5, 31, v4
	v_mov_b32_e32 v38, s73
	v_add_co_u32_e64 v4, s[68:69], s72, v4
	v_lshrrev_b32_e32 v6, 24, v6
	v_addc_co_u32_e64 v5, s[68:69], v38, v5, s[68:69]
	global_store_byte v[4:5], v6, off
	s_or_b64 exec, exec, s[74:75]
	s_and_saveexec_b64 s[74:75], s[24:25]
	s_cbranch_execz .LBB242_19
.LBB242_50:                             ;   in Loop: Header=BB242_3 Depth=1
	s_waitcnt vmcnt(1)
	v_add3_u32 v4, v11, v16, 2
	v_ashrrev_i32_e32 v5, 31, v4
	v_mov_b32_e32 v6, s73
	v_add_co_u32_e64 v4, s[68:69], s72, v4
	v_addc_co_u32_e64 v5, s[68:69], v6, v5, s[68:69]
	global_store_byte v[4:5], v7, off
	s_or_b64 exec, exec, s[74:75]
	s_and_saveexec_b64 s[74:75], s[26:27]
	s_cbranch_execz .LBB242_20
.LBB242_51:                             ;   in Loop: Header=BB242_3 Depth=1
	s_waitcnt vmcnt(1)
	v_add3_u32 v4, v11, v17, s90
	v_ashrrev_i32_e32 v5, 31, v4
	v_mov_b32_e32 v38, s73
	v_add_co_u32_e64 v4, s[68:69], s72, v4
	v_lshrrev_b32_e32 v6, 8, v7
	v_addc_co_u32_e64 v5, s[68:69], v38, v5, s[68:69]
	global_store_byte v[4:5], v6, off
	s_or_b64 exec, exec, s[74:75]
	s_and_saveexec_b64 s[74:75], s[28:29]
	s_cbranch_execz .LBB242_21
.LBB242_52:                             ;   in Loop: Header=BB242_3 Depth=1
	s_waitcnt vmcnt(1)
	v_add3_u32 v4, v11, v18, s91
	v_ashrrev_i32_e32 v5, 31, v4
	v_mov_b32_e32 v6, s73
	v_add_co_u32_e64 v4, s[68:69], s72, v4
	v_addc_co_u32_e64 v5, s[68:69], v6, v5, s[68:69]
	global_store_byte_d16_hi v[4:5], v7, off
	s_or_b64 exec, exec, s[74:75]
	s_and_saveexec_b64 s[74:75], s[30:31]
	s_cbranch_execz .LBB242_22
.LBB242_53:                             ;   in Loop: Header=BB242_3 Depth=1
	s_waitcnt vmcnt(1)
	v_add3_u32 v4, v11, v19, s92
	v_lshrrev_b32_e32 v6, 24, v7
	v_ashrrev_i32_e32 v5, 31, v4
	v_mov_b32_e32 v7, s73
	v_add_co_u32_e64 v4, s[68:69], s72, v4
	v_addc_co_u32_e64 v5, s[68:69], v7, v5, s[68:69]
	global_store_byte v[4:5], v6, off
	s_or_b64 exec, exec, s[74:75]
	s_and_saveexec_b64 s[74:75], s[34:35]
	s_cbranch_execz .LBB242_23
.LBB242_54:                             ;   in Loop: Header=BB242_3 Depth=1
	s_waitcnt vmcnt(1)
	v_add_u32_e32 v4, v11, v20
	v_ashrrev_i32_e32 v5, 31, v4
	v_mov_b32_e32 v6, s73
	v_add_co_u32_e64 v4, s[68:69], s72, v4
	v_addc_co_u32_e64 v5, s[68:69], v6, v5, s[68:69]
	s_waitcnt vmcnt(0)
	global_store_byte v[4:5], v0, off
	s_or_b64 exec, exec, s[74:75]
	s_and_saveexec_b64 s[74:75], s[36:37]
	s_cbranch_execz .LBB242_24
.LBB242_55:                             ;   in Loop: Header=BB242_3 Depth=1
	s_waitcnt vmcnt(1)
	v_add3_u32 v4, v11, v21, 64
	v_ashrrev_i32_e32 v5, 31, v4
	v_mov_b32_e32 v7, s73
	v_add_co_u32_e64 v4, s[68:69], s72, v4
	s_waitcnt vmcnt(0)
	v_lshrrev_b32_e32 v6, 8, v0
	v_addc_co_u32_e64 v5, s[68:69], v7, v5, s[68:69]
	global_store_byte v[4:5], v6, off
	s_or_b64 exec, exec, s[74:75]
	s_and_saveexec_b64 s[74:75], s[38:39]
	s_cbranch_execz .LBB242_25
.LBB242_56:                             ;   in Loop: Header=BB242_3 Depth=1
	s_waitcnt vmcnt(1)
	v_add3_u32 v4, v11, v22, s88
	v_ashrrev_i32_e32 v5, 31, v4
	v_mov_b32_e32 v6, s73
	v_add_co_u32_e64 v4, s[68:69], s72, v4
	v_addc_co_u32_e64 v5, s[68:69], v6, v5, s[68:69]
	s_waitcnt vmcnt(0)
	global_store_byte_d16_hi v[4:5], v0, off
	s_or_b64 exec, exec, s[74:75]
	s_and_saveexec_b64 s[74:75], s[40:41]
	s_cbranch_execz .LBB242_26
.LBB242_57:                             ;   in Loop: Header=BB242_3 Depth=1
	s_waitcnt vmcnt(1)
	v_add3_u32 v4, v11, v23, s89
	v_ashrrev_i32_e32 v5, 31, v4
	v_mov_b32_e32 v6, s73
	v_add_co_u32_e64 v4, s[68:69], s72, v4
	s_waitcnt vmcnt(0)
	v_lshrrev_b32_e32 v0, 24, v0
	v_addc_co_u32_e64 v5, s[68:69], v6, v5, s[68:69]
	global_store_byte v[4:5], v0, off
	s_or_b64 exec, exec, s[74:75]
	s_and_saveexec_b64 s[74:75], s[42:43]
	s_cbranch_execz .LBB242_27
.LBB242_58:                             ;   in Loop: Header=BB242_3 Depth=1
	s_waitcnt vmcnt(0)
	v_add3_u32 v0, v11, v24, 2
	v_ashrrev_i32_e32 v5, 31, v0
	v_mov_b32_e32 v6, s73
	v_add_co_u32_e64 v4, s[68:69], s72, v0
	v_addc_co_u32_e64 v5, s[68:69], v6, v5, s[68:69]
	global_store_byte v[4:5], v1, off
	s_or_b64 exec, exec, s[74:75]
	s_and_saveexec_b64 s[74:75], s[44:45]
	s_cbranch_execz .LBB242_28
.LBB242_59:                             ;   in Loop: Header=BB242_3 Depth=1
	s_waitcnt vmcnt(0)
	v_add3_u32 v0, v11, v25, s90
	v_ashrrev_i32_e32 v5, 31, v0
	v_mov_b32_e32 v7, s73
	v_add_co_u32_e64 v4, s[68:69], s72, v0
	v_lshrrev_b32_e32 v6, 8, v1
	v_addc_co_u32_e64 v5, s[68:69], v7, v5, s[68:69]
	global_store_byte v[4:5], v6, off
	s_or_b64 exec, exec, s[74:75]
	s_and_saveexec_b64 s[74:75], s[46:47]
	s_cbranch_execz .LBB242_29
.LBB242_60:                             ;   in Loop: Header=BB242_3 Depth=1
	s_waitcnt vmcnt(0)
	v_add3_u32 v0, v11, v26, s91
	v_ashrrev_i32_e32 v5, 31, v0
	v_mov_b32_e32 v6, s73
	v_add_co_u32_e64 v4, s[68:69], s72, v0
	v_addc_co_u32_e64 v5, s[68:69], v6, v5, s[68:69]
	global_store_byte_d16_hi v[4:5], v1, off
	s_or_b64 exec, exec, s[74:75]
	s_and_saveexec_b64 s[74:75], s[48:49]
	s_cbranch_execz .LBB242_30
.LBB242_61:                             ;   in Loop: Header=BB242_3 Depth=1
	s_waitcnt vmcnt(0)
	v_add3_u32 v0, v11, v27, s92
	v_lshrrev_b32_e32 v4, 24, v1
	v_ashrrev_i32_e32 v1, 31, v0
	v_mov_b32_e32 v5, s73
	v_add_co_u32_e64 v0, s[68:69], s72, v0
	v_addc_co_u32_e64 v1, s[68:69], v5, v1, s[68:69]
	global_store_byte v[0:1], v4, off
	s_or_b64 exec, exec, s[74:75]
	s_and_saveexec_b64 s[74:75], s[50:51]
	s_cbranch_execz .LBB242_31
.LBB242_62:                             ;   in Loop: Header=BB242_3 Depth=1
	s_waitcnt vmcnt(0)
	v_add_u32_e32 v0, v11, v28
	v_ashrrev_i32_e32 v1, 31, v0
	v_mov_b32_e32 v4, s73
	v_add_co_u32_e64 v0, s[68:69], s72, v0
	v_addc_co_u32_e64 v1, s[68:69], v4, v1, s[68:69]
	global_store_byte v[0:1], v2, off
	s_or_b64 exec, exec, s[74:75]
	s_and_saveexec_b64 s[74:75], s[52:53]
	s_cbranch_execz .LBB242_32
.LBB242_63:                             ;   in Loop: Header=BB242_3 Depth=1
	s_waitcnt vmcnt(0)
	v_add3_u32 v0, v11, v29, 64
	v_ashrrev_i32_e32 v1, 31, v0
	v_mov_b32_e32 v5, s73
	v_add_co_u32_e64 v0, s[68:69], s72, v0
	v_lshrrev_b32_e32 v4, 8, v2
	v_addc_co_u32_e64 v1, s[68:69], v5, v1, s[68:69]
	global_store_byte v[0:1], v4, off
	s_or_b64 exec, exec, s[74:75]
	s_and_saveexec_b64 s[74:75], s[54:55]
	s_cbranch_execz .LBB242_33
.LBB242_64:                             ;   in Loop: Header=BB242_3 Depth=1
	s_waitcnt vmcnt(0)
	v_add3_u32 v0, v11, v30, s88
	v_ashrrev_i32_e32 v1, 31, v0
	v_mov_b32_e32 v4, s73
	v_add_co_u32_e64 v0, s[68:69], s72, v0
	v_addc_co_u32_e64 v1, s[68:69], v4, v1, s[68:69]
	global_store_byte_d16_hi v[0:1], v2, off
	s_or_b64 exec, exec, s[74:75]
	s_and_saveexec_b64 s[74:75], s[56:57]
	s_cbranch_execz .LBB242_34
.LBB242_65:                             ;   in Loop: Header=BB242_3 Depth=1
	s_waitcnt vmcnt(0)
	v_add3_u32 v0, v11, v31, s89
	v_ashrrev_i32_e32 v1, 31, v0
	v_mov_b32_e32 v4, s73
	v_add_co_u32_e64 v0, s[68:69], s72, v0
	v_lshrrev_b32_e32 v2, 24, v2
	v_addc_co_u32_e64 v1, s[68:69], v4, v1, s[68:69]
	global_store_byte v[0:1], v2, off
	s_or_b64 exec, exec, s[74:75]
	s_and_saveexec_b64 s[74:75], s[58:59]
	s_cbranch_execz .LBB242_35
.LBB242_66:                             ;   in Loop: Header=BB242_3 Depth=1
	s_waitcnt vmcnt(0)
	v_add3_u32 v0, v11, v32, 2
	v_ashrrev_i32_e32 v1, 31, v0
	v_mov_b32_e32 v2, s73
	v_add_co_u32_e64 v0, s[68:69], s72, v0
	v_addc_co_u32_e64 v1, s[68:69], v2, v1, s[68:69]
	global_store_byte v[0:1], v3, off
	s_or_b64 exec, exec, s[74:75]
	s_and_saveexec_b64 s[74:75], s[60:61]
	s_cbranch_execz .LBB242_36
.LBB242_67:                             ;   in Loop: Header=BB242_3 Depth=1
	s_waitcnt vmcnt(0)
	v_add3_u32 v0, v11, v33, s90
	v_ashrrev_i32_e32 v1, 31, v0
	v_mov_b32_e32 v4, s73
	v_add_co_u32_e64 v0, s[68:69], s72, v0
	v_lshrrev_b32_e32 v2, 8, v3
	v_addc_co_u32_e64 v1, s[68:69], v4, v1, s[68:69]
	global_store_byte v[0:1], v2, off
	s_or_b64 exec, exec, s[74:75]
	s_and_saveexec_b64 s[74:75], s[62:63]
	s_cbranch_execz .LBB242_37
.LBB242_68:                             ;   in Loop: Header=BB242_3 Depth=1
	s_waitcnt vmcnt(0)
	v_add3_u32 v0, v11, v34, s91
	v_ashrrev_i32_e32 v1, 31, v0
	v_mov_b32_e32 v2, s73
	v_add_co_u32_e64 v0, s[68:69], s72, v0
	v_addc_co_u32_e64 v1, s[68:69], v2, v1, s[68:69]
	global_store_byte_d16_hi v[0:1], v3, off
	s_or_b64 exec, exec, s[74:75]
	s_and_b64 exec, exec, s[64:65]
	s_cbranch_execz .LBB242_2
.LBB242_69:                             ;   in Loop: Header=BB242_3 Depth=1
	s_waitcnt vmcnt(0)
	v_add3_u32 v0, v11, v35, s92
	v_lshrrev_b32_e32 v2, 24, v3
	v_ashrrev_i32_e32 v1, 31, v0
	v_mov_b32_e32 v3, s73
	v_add_co_u32_e64 v0, s[68:69], s72, v0
	v_addc_co_u32_e64 v1, s[68:69], v3, v1, s[68:69]
	global_store_byte v[0:1], v2, off
	s_branch .LBB242_2
.LBB242_70:
	s_endpgm
	.section	.rodata,"a",@progbits
	.p2align	6, 0x0
	.amdhsa_kernel _ZN5aiter21mxfp4_moe_sort_kernelILi256ELi32ELi32ELi32EEEvPhS1_PKiS3_iiiii
		.amdhsa_group_segment_fixed_size 0
		.amdhsa_private_segment_fixed_size 0
		.amdhsa_kernarg_size 52
		.amdhsa_user_sgpr_count 6
		.amdhsa_user_sgpr_private_segment_buffer 1
		.amdhsa_user_sgpr_dispatch_ptr 0
		.amdhsa_user_sgpr_queue_ptr 0
		.amdhsa_user_sgpr_kernarg_segment_ptr 1
		.amdhsa_user_sgpr_dispatch_id 0
		.amdhsa_user_sgpr_flat_scratch_init 0
		.amdhsa_user_sgpr_kernarg_preload_length 0
		.amdhsa_user_sgpr_kernarg_preload_offset 0
		.amdhsa_user_sgpr_private_segment_size 0
		.amdhsa_uses_dynamic_stack 0
		.amdhsa_system_sgpr_private_segment_wavefront_offset 0
		.amdhsa_system_sgpr_workgroup_id_x 1
		.amdhsa_system_sgpr_workgroup_id_y 0
		.amdhsa_system_sgpr_workgroup_id_z 0
		.amdhsa_system_sgpr_workgroup_info 0
		.amdhsa_system_vgpr_workitem_id 0
		.amdhsa_next_free_vgpr 42
		.amdhsa_next_free_sgpr 93
		.amdhsa_accum_offset 44
		.amdhsa_reserve_vcc 1
		.amdhsa_reserve_flat_scratch 0
		.amdhsa_float_round_mode_32 0
		.amdhsa_float_round_mode_16_64 0
		.amdhsa_float_denorm_mode_32 3
		.amdhsa_float_denorm_mode_16_64 3
		.amdhsa_dx10_clamp 1
		.amdhsa_ieee_mode 1
		.amdhsa_fp16_overflow 0
		.amdhsa_tg_split 0
		.amdhsa_exception_fp_ieee_invalid_op 0
		.amdhsa_exception_fp_denorm_src 0
		.amdhsa_exception_fp_ieee_div_zero 0
		.amdhsa_exception_fp_ieee_overflow 0
		.amdhsa_exception_fp_ieee_underflow 0
		.amdhsa_exception_fp_ieee_inexact 0
		.amdhsa_exception_int_div_zero 0
	.end_amdhsa_kernel
	.section	.text._ZN5aiter21mxfp4_moe_sort_kernelILi256ELi32ELi32ELi32EEEvPhS1_PKiS3_iiiii,"axG",@progbits,_ZN5aiter21mxfp4_moe_sort_kernelILi256ELi32ELi32ELi32EEEvPhS1_PKiS3_iiiii,comdat
.Lfunc_end242:
	.size	_ZN5aiter21mxfp4_moe_sort_kernelILi256ELi32ELi32ELi32EEEvPhS1_PKiS3_iiiii, .Lfunc_end242-_ZN5aiter21mxfp4_moe_sort_kernelILi256ELi32ELi32ELi32EEEvPhS1_PKiS3_iiiii
                                        ; -- End function
	.section	.AMDGPU.csdata,"",@progbits
; Kernel info:
; codeLenInByte = 3356
; NumSgprs: 97
; NumVgprs: 42
; NumAgprs: 0
; TotalNumVgprs: 42
; ScratchSize: 0
; MemoryBound: 0
; FloatMode: 240
; IeeeMode: 1
; LDSByteSize: 0 bytes/workgroup (compile time only)
; SGPRBlocks: 12
; VGPRBlocks: 5
; NumSGPRsForWavesPerEU: 97
; NumVGPRsForWavesPerEU: 42
; AccumOffset: 44
; Occupancy: 8
; WaveLimiterHint : 0
; COMPUTE_PGM_RSRC2:SCRATCH_EN: 0
; COMPUTE_PGM_RSRC2:USER_SGPR: 6
; COMPUTE_PGM_RSRC2:TRAP_HANDLER: 0
; COMPUTE_PGM_RSRC2:TGID_X_EN: 1
; COMPUTE_PGM_RSRC2:TGID_Y_EN: 0
; COMPUTE_PGM_RSRC2:TGID_Z_EN: 0
; COMPUTE_PGM_RSRC2:TIDIG_COMP_CNT: 0
; COMPUTE_PGM_RSRC3_GFX90A:ACCUM_OFFSET: 10
; COMPUTE_PGM_RSRC3_GFX90A:TG_SPLIT: 0
	.section	.text._ZN5aiter21mxfp4_moe_sort_kernelILi256ELi16ELi32ELi32EEEvPhS1_PKiS3_iiiii,"axG",@progbits,_ZN5aiter21mxfp4_moe_sort_kernelILi256ELi16ELi32ELi32EEEvPhS1_PKiS3_iiiii,comdat
	.protected	_ZN5aiter21mxfp4_moe_sort_kernelILi256ELi16ELi32ELi32EEEvPhS1_PKiS3_iiiii ; -- Begin function _ZN5aiter21mxfp4_moe_sort_kernelILi256ELi16ELi32ELi32EEEvPhS1_PKiS3_iiiii
	.globl	_ZN5aiter21mxfp4_moe_sort_kernelILi256ELi16ELi32ELi32EEEvPhS1_PKiS3_iiiii
	.p2align	8
	.type	_ZN5aiter21mxfp4_moe_sort_kernelILi256ELi16ELi32ELi32EEEvPhS1_PKiS3_iiiii,@function
_ZN5aiter21mxfp4_moe_sort_kernelILi256ELi16ELi32ELi32EEEvPhS1_PKiS3_iiiii: ; @_ZN5aiter21mxfp4_moe_sort_kernelILi256ELi16ELi32ELi32EEEvPhS1_PKiS3_iiiii
; %bb.0:
	s_load_dwordx4 s[80:83], s[4:5], 0x20
	s_waitcnt lgkmcnt(0)
	s_cmp_ge_i32 s6, s82
	s_cbranch_scc1 .LBB243_70
; %bb.1:
	s_load_dwordx8 s[72:79], s[4:5], 0x0
	s_load_dword s7, s[4:5], 0x30
	s_add_i32 s0, s81, 31
	s_ashr_i32 s1, s0, 31
	v_lshlrev_b32_e32 v2, 5, v0
	s_lshr_b32 s1, s1, 27
	v_lshrrev_b32_e32 v1, 4, v0
	v_and_b32_e32 v8, 0x1e0, v2
	s_add_i32 s0, s0, s1
	v_lshlrev_b32_e32 v0, 10, v0
	s_waitcnt lgkmcnt(0)
	s_load_dword s33, s[78:79], 0x0
	s_ashr_i32 s78, s0, 5
	v_and_b32_e32 v9, 0x3c00, v0
	v_or_b32_e32 v0, 1, v8
	v_cmp_gt_i32_e64 s[2:3], s78, v0
	v_or_b32_e32 v0, 2, v8
	v_cmp_gt_i32_e64 s[4:5], s78, v0
	v_or_b32_e32 v0, 3, v8
	v_cmp_gt_i32_e64 s[66:67], s78, v0
	v_or_b32_e32 v0, 4, v8
	v_cmp_gt_i32_e64 s[8:9], s78, v0
	v_or_b32_e32 v0, 5, v8
	v_cmp_gt_i32_e64 s[10:11], s78, v0
	v_or_b32_e32 v0, 6, v8
	v_cmp_gt_i32_e64 s[12:13], s78, v0
	v_or_b32_e32 v0, 7, v8
	v_cmp_gt_i32_e64 s[14:15], s78, v0
	v_or_b32_e32 v0, 8, v8
	v_cmp_gt_i32_e64 s[16:17], s78, v0
	v_lshlrev_b32_e32 v12, 5, v0
	v_or_b32_e32 v0, 9, v8
	v_cmp_gt_i32_e64 s[18:19], s78, v0
	v_lshlrev_b32_e32 v0, 5, v0
	v_and_b32_e32 v13, 0x3d00, v0
	v_or_b32_e32 v0, 10, v8
	v_cmp_gt_i32_e64 s[20:21], s78, v0
	v_lshlrev_b32_e32 v0, 5, v0
	v_and_b32_e32 v14, 0x3d00, v0
	;; [unrolled: 4-line block ×7, first 2 shown]
	v_or_b32_e32 v0, 16, v8
	v_cmp_gt_i32_e64 s[34:35], s78, v0
	v_lshlrev_b32_e32 v20, 5, v0
	v_or_b32_e32 v0, 17, v8
	v_cmp_gt_i32_e64 s[36:37], s78, v0
	v_lshlrev_b32_e32 v0, 5, v0
	v_and_b32_e32 v21, 0x3e00, v0
	v_or_b32_e32 v0, 18, v8
	v_or_b32_e32 v2, 25, v8
	v_cmp_gt_i32_e64 s[38:39], s78, v0
	v_lshlrev_b32_e32 v0, 5, v0
	v_lshlrev_b32_e32 v3, 5, v2
	v_and_b32_e32 v22, 0x3e00, v0
	v_or_b32_e32 v0, 19, v8
	v_and_b32_e32 v29, 0x3f00, v3
	v_or_b32_e32 v3, 26, v8
	v_cmp_gt_i32_e64 s[40:41], s78, v0
	v_lshlrev_b32_e32 v0, 5, v0
	v_lshlrev_b32_e32 v4, 5, v3
	v_and_b32_e32 v23, 0x3e00, v0
	v_or_b32_e32 v0, 20, v8
	v_and_b32_e32 v30, 0x3f00, v4
	;; [unrolled: 7-line block ×3, first 2 shown]
	v_or_b32_e32 v5, 28, v8
	s_add_i32 s0, s78, 7
	v_cmp_gt_i32_e64 s[44:45], s78, v0
	v_lshlrev_b32_e32 v0, 5, v0
	v_lshlrev_b32_e32 v6, 5, v5
	s_lshr_b32 s1, s0, 29
	v_and_b32_e32 v25, 0x3e00, v0
	v_or_b32_e32 v0, 22, v8
	v_and_b32_e32 v32, 0x3f00, v6
	v_or_b32_e32 v6, 29, v8
	s_add_i32 s0, s0, s1
	v_cmp_gt_i32_e64 s[46:47], s78, v0
	v_lshlrev_b32_e32 v0, 5, v0
	v_lshlrev_b32_e32 v7, 5, v6
	s_lshl_b32 s0, s0, 5
	v_and_b32_e32 v26, 0x3e00, v0
	v_or_b32_e32 v0, 23, v8
	v_and_b32_e32 v33, 0x3f00, v7
	v_or_b32_e32 v7, 30, v8
	s_and_b32 s79, s0, 0xffffff00
	s_and_b32 s75, s75, 0xffff
	v_cmp_gt_i32_e64 s[48:49], s78, v0
	v_lshlrev_b32_e32 v0, 5, v0
	v_lshlrev_b32_e32 v10, 5, v7
	v_or_b32_e32 v11, 31, v8
	s_mul_i32 s0, s78, s80
	s_cmp_eq_u32 s7, 1
	v_and_b32_e32 v27, 0x3e00, v0
	v_or_b32_e32 v0, 24, v8
	v_and_b32_e32 v34, 0x3f00, v10
	v_lshlrev_b32_e32 v10, 5, v11
	s_mul_i32 s86, s0, s7
	s_mov_b32 s87, 0x20000
	s_mov_b64 s[84:85], s[74:75]
	s_cselect_b64 vcc, -1, 0
	v_cmp_gt_i32_e64 s[0:1], s78, v8
	v_lshlrev_b32_e32 v28, 5, v0
	v_and_b32_e32 v35, 0x3f00, v10
	v_lshl_add_u32 v10, s6, 4, v1
	s_lshl_b32 s81, s83, 4
	s_movk_i32 s88, 0x80
	s_movk_i32 s89, 0xc0
	;; [unrolled: 1-line block ×4, first 2 shown]
	v_mov_b32_e32 v36, 11
	v_mov_b32_e32 v37, 4
	s_movk_i32 s92, 0xc2
	v_cmp_gt_i32_e64 s[50:51], s78, v0
	v_cmp_gt_i32_e64 s[52:53], s78, v2
	;; [unrolled: 1-line block ×8, first 2 shown]
	s_branch .LBB243_3
.LBB243_2:                              ;   in Loop: Header=BB243_3 Depth=1
	s_or_b64 exec, exec, s[70:71]
	s_add_i32 s6, s6, s83
	s_cmp_lt_i32 s6, s82
	v_add_u32_e32 v10, s81, v10
	s_cbranch_scc0 .LBB243_70
.LBB243_3:                              ; =>This Inner Loop Header: Depth=1
	s_waitcnt lgkmcnt(0)
	v_cmp_gt_i32_e64 s[68:69], s33, v10
	s_waitcnt vmcnt(0)
	v_mov_b32_e32 v0, s80
	v_ashrrev_i32_e32 v11, 31, v10
	s_and_saveexec_b64 s[70:71], s[68:69]
	s_cbranch_execz .LBB243_5
; %bb.4:                                ;   in Loop: Header=BB243_3 Depth=1
	v_lshlrev_b64 v[0:1], 2, v[10:11]
	v_mov_b32_e32 v2, s77
	v_add_co_u32_e64 v0, s[68:69], s76, v0
	v_addc_co_u32_e64 v1, s[68:69], v2, v1, s[68:69]
	global_load_dword v0, v[0:1], off
.LBB243_5:                              ;   in Loop: Header=BB243_3 Depth=1
	s_or_b64 exec, exec, s[70:71]
	s_waitcnt vmcnt(0)
	v_and_b32_e32 v1, 0xffffff, v0
	v_ashrrev_i32_e32 v0, 24, v0
	v_cmp_gt_i32_e64 s[70:71], s7, v0
	v_cmp_gt_i32_e64 s[68:69], s80, v1
	s_or_b64 s[70:71], vcc, s[70:71]
	s_and_b64 s[68:69], s[68:69], s[70:71]
	s_and_saveexec_b64 s[70:71], s[68:69]
	s_cbranch_execz .LBB243_2
; %bb.6:                                ;   in Loop: Header=BB243_3 Depth=1
	v_mad_u64_u32 v[2:3], s[68:69], v1, s7, v[0:1]
	v_cndmask_b32_e32 v0, v2, v1, vcc
	v_mad_u64_u32 v[0:1], s[68:69], v0, s78, v[8:9]
	buffer_load_dwordx4 v[4:7], v0, s[84:87], 0 offen
	s_nop 0
	buffer_load_dwordx4 v[0:3], v0, s[84:87], 16 offen
	v_lshrrev_b32_e32 v38, 27, v11
	v_add_u32_e32 v38, v10, v38
	v_ashrrev_i32_e32 v39, 5, v38
	v_and_b32_e32 v38, 0xffe0, v38
	v_sub_u32_e32 v38, v10, v38
	v_lshrrev_b32_e32 v11, 28, v11
	v_lshrrev_b16_sdwa v40, v36, sext(v38) dst_sel:DWORD dst_unused:UNUSED_PAD src0_sel:DWORD src1_sel:BYTE_0
	v_add_u32_e32 v11, v10, v11
	v_and_b32_e32 v40, 15, v40
	v_and_b32_e32 v11, 0x3ffffff0, v11
	v_add_u16_e32 v38, v38, v40
	v_sub_u32_e32 v11, v10, v11
	v_ashrrev_i16_sdwa v38, v37, sext(v38) dst_sel:DWORD dst_unused:UNUSED_PAD src0_sel:DWORD src1_sel:BYTE_0
	v_mul_lo_u32 v39, s79, v39
	v_lshlrev_b32_e32 v11, 2, v11
	v_bfe_i32 v38, v38, 0, 16
	v_add3_u32 v11, v11, v39, v38
	s_and_saveexec_b64 s[74:75], s[0:1]
	s_cbranch_execnz .LBB243_38
; %bb.7:                                ;   in Loop: Header=BB243_3 Depth=1
	s_or_b64 exec, exec, s[74:75]
	s_and_saveexec_b64 s[74:75], s[2:3]
	s_cbranch_execnz .LBB243_39
.LBB243_8:                              ;   in Loop: Header=BB243_3 Depth=1
	s_or_b64 exec, exec, s[74:75]
	s_and_saveexec_b64 s[74:75], s[4:5]
	s_cbranch_execnz .LBB243_40
.LBB243_9:                              ;   in Loop: Header=BB243_3 Depth=1
	s_or_b64 exec, exec, s[74:75]
	s_and_saveexec_b64 s[74:75], s[66:67]
	s_cbranch_execnz .LBB243_41
.LBB243_10:                             ;   in Loop: Header=BB243_3 Depth=1
	s_or_b64 exec, exec, s[74:75]
	s_and_saveexec_b64 s[74:75], s[8:9]
	s_cbranch_execnz .LBB243_42
.LBB243_11:                             ;   in Loop: Header=BB243_3 Depth=1
	s_or_b64 exec, exec, s[74:75]
	s_and_saveexec_b64 s[74:75], s[10:11]
	s_cbranch_execnz .LBB243_43
.LBB243_12:                             ;   in Loop: Header=BB243_3 Depth=1
	s_or_b64 exec, exec, s[74:75]
	s_and_saveexec_b64 s[74:75], s[12:13]
	s_cbranch_execnz .LBB243_44
.LBB243_13:                             ;   in Loop: Header=BB243_3 Depth=1
	s_or_b64 exec, exec, s[74:75]
	s_and_saveexec_b64 s[74:75], s[14:15]
	s_cbranch_execnz .LBB243_45
.LBB243_14:                             ;   in Loop: Header=BB243_3 Depth=1
	s_or_b64 exec, exec, s[74:75]
	s_and_saveexec_b64 s[74:75], s[16:17]
	s_cbranch_execnz .LBB243_46
.LBB243_15:                             ;   in Loop: Header=BB243_3 Depth=1
	s_or_b64 exec, exec, s[74:75]
	s_and_saveexec_b64 s[74:75], s[18:19]
	s_cbranch_execnz .LBB243_47
.LBB243_16:                             ;   in Loop: Header=BB243_3 Depth=1
	s_or_b64 exec, exec, s[74:75]
	s_and_saveexec_b64 s[74:75], s[20:21]
	s_cbranch_execnz .LBB243_48
.LBB243_17:                             ;   in Loop: Header=BB243_3 Depth=1
	s_or_b64 exec, exec, s[74:75]
	s_and_saveexec_b64 s[74:75], s[22:23]
	s_cbranch_execnz .LBB243_49
.LBB243_18:                             ;   in Loop: Header=BB243_3 Depth=1
	s_or_b64 exec, exec, s[74:75]
	s_and_saveexec_b64 s[74:75], s[24:25]
	s_cbranch_execnz .LBB243_50
.LBB243_19:                             ;   in Loop: Header=BB243_3 Depth=1
	s_or_b64 exec, exec, s[74:75]
	s_and_saveexec_b64 s[74:75], s[26:27]
	s_cbranch_execnz .LBB243_51
.LBB243_20:                             ;   in Loop: Header=BB243_3 Depth=1
	s_or_b64 exec, exec, s[74:75]
	s_and_saveexec_b64 s[74:75], s[28:29]
	s_cbranch_execnz .LBB243_52
.LBB243_21:                             ;   in Loop: Header=BB243_3 Depth=1
	s_or_b64 exec, exec, s[74:75]
	s_and_saveexec_b64 s[74:75], s[30:31]
	s_cbranch_execnz .LBB243_53
.LBB243_22:                             ;   in Loop: Header=BB243_3 Depth=1
	s_or_b64 exec, exec, s[74:75]
	s_and_saveexec_b64 s[74:75], s[34:35]
	s_cbranch_execnz .LBB243_54
.LBB243_23:                             ;   in Loop: Header=BB243_3 Depth=1
	s_or_b64 exec, exec, s[74:75]
	s_and_saveexec_b64 s[74:75], s[36:37]
	s_cbranch_execnz .LBB243_55
.LBB243_24:                             ;   in Loop: Header=BB243_3 Depth=1
	s_or_b64 exec, exec, s[74:75]
	s_and_saveexec_b64 s[74:75], s[38:39]
	s_cbranch_execnz .LBB243_56
.LBB243_25:                             ;   in Loop: Header=BB243_3 Depth=1
	s_or_b64 exec, exec, s[74:75]
	s_and_saveexec_b64 s[74:75], s[40:41]
	s_cbranch_execnz .LBB243_57
.LBB243_26:                             ;   in Loop: Header=BB243_3 Depth=1
	s_or_b64 exec, exec, s[74:75]
	s_and_saveexec_b64 s[74:75], s[42:43]
	s_cbranch_execnz .LBB243_58
.LBB243_27:                             ;   in Loop: Header=BB243_3 Depth=1
	s_or_b64 exec, exec, s[74:75]
	s_and_saveexec_b64 s[74:75], s[44:45]
	s_cbranch_execnz .LBB243_59
.LBB243_28:                             ;   in Loop: Header=BB243_3 Depth=1
	s_or_b64 exec, exec, s[74:75]
	s_and_saveexec_b64 s[74:75], s[46:47]
	s_cbranch_execnz .LBB243_60
.LBB243_29:                             ;   in Loop: Header=BB243_3 Depth=1
	s_or_b64 exec, exec, s[74:75]
	s_and_saveexec_b64 s[74:75], s[48:49]
	s_cbranch_execnz .LBB243_61
.LBB243_30:                             ;   in Loop: Header=BB243_3 Depth=1
	s_or_b64 exec, exec, s[74:75]
	s_and_saveexec_b64 s[74:75], s[50:51]
	s_cbranch_execnz .LBB243_62
.LBB243_31:                             ;   in Loop: Header=BB243_3 Depth=1
	s_or_b64 exec, exec, s[74:75]
	s_and_saveexec_b64 s[74:75], s[52:53]
	s_cbranch_execnz .LBB243_63
.LBB243_32:                             ;   in Loop: Header=BB243_3 Depth=1
	s_or_b64 exec, exec, s[74:75]
	s_and_saveexec_b64 s[74:75], s[54:55]
	s_cbranch_execnz .LBB243_64
.LBB243_33:                             ;   in Loop: Header=BB243_3 Depth=1
	s_or_b64 exec, exec, s[74:75]
	s_and_saveexec_b64 s[74:75], s[56:57]
	s_cbranch_execnz .LBB243_65
.LBB243_34:                             ;   in Loop: Header=BB243_3 Depth=1
	s_or_b64 exec, exec, s[74:75]
	s_and_saveexec_b64 s[74:75], s[58:59]
	s_cbranch_execnz .LBB243_66
.LBB243_35:                             ;   in Loop: Header=BB243_3 Depth=1
	s_or_b64 exec, exec, s[74:75]
	s_and_saveexec_b64 s[74:75], s[60:61]
	s_cbranch_execnz .LBB243_67
.LBB243_36:                             ;   in Loop: Header=BB243_3 Depth=1
	s_or_b64 exec, exec, s[74:75]
	s_and_saveexec_b64 s[74:75], s[62:63]
	s_cbranch_execnz .LBB243_68
.LBB243_37:                             ;   in Loop: Header=BB243_3 Depth=1
	s_or_b64 exec, exec, s[74:75]
	s_and_b64 exec, exec, s[64:65]
	s_cbranch_execz .LBB243_2
	s_branch .LBB243_69
.LBB243_38:                             ;   in Loop: Header=BB243_3 Depth=1
	v_add_u32_e32 v38, v11, v9
	v_ashrrev_i32_e32 v39, 31, v38
	v_mov_b32_e32 v40, s73
	v_add_co_u32_e64 v38, s[68:69], s72, v38
	v_addc_co_u32_e64 v39, s[68:69], v40, v39, s[68:69]
	s_waitcnt vmcnt(1)
	global_store_byte v[38:39], v4, off
	s_or_b64 exec, exec, s[74:75]
	s_and_saveexec_b64 s[74:75], s[2:3]
	s_cbranch_execz .LBB243_8
.LBB243_39:                             ;   in Loop: Header=BB243_3 Depth=1
	v_add3_u32 v38, v11, v9, 64
	v_ashrrev_i32_e32 v39, 31, v38
	v_mov_b32_e32 v41, s73
	v_add_co_u32_e64 v38, s[68:69], s72, v38
	s_waitcnt vmcnt(1)
	v_lshrrev_b32_e32 v40, 8, v4
	v_addc_co_u32_e64 v39, s[68:69], v41, v39, s[68:69]
	global_store_byte v[38:39], v40, off
	s_or_b64 exec, exec, s[74:75]
	s_and_saveexec_b64 s[74:75], s[4:5]
	s_cbranch_execz .LBB243_9
.LBB243_40:                             ;   in Loop: Header=BB243_3 Depth=1
	v_add3_u32 v38, v11, v9, s88
	v_ashrrev_i32_e32 v39, 31, v38
	v_mov_b32_e32 v40, s73
	v_add_co_u32_e64 v38, s[68:69], s72, v38
	v_addc_co_u32_e64 v39, s[68:69], v40, v39, s[68:69]
	s_waitcnt vmcnt(1)
	global_store_byte_d16_hi v[38:39], v4, off
	s_or_b64 exec, exec, s[74:75]
	s_and_saveexec_b64 s[74:75], s[66:67]
	s_cbranch_execz .LBB243_10
.LBB243_41:                             ;   in Loop: Header=BB243_3 Depth=1
	v_add3_u32 v38, v11, v9, s89
	v_ashrrev_i32_e32 v39, 31, v38
	v_mov_b32_e32 v40, s73
	v_add_co_u32_e64 v38, s[68:69], s72, v38
	s_waitcnt vmcnt(1)
	v_lshrrev_b32_e32 v4, 24, v4
	v_addc_co_u32_e64 v39, s[68:69], v40, v39, s[68:69]
	global_store_byte v[38:39], v4, off
	s_or_b64 exec, exec, s[74:75]
	s_and_saveexec_b64 s[74:75], s[8:9]
	s_cbranch_execz .LBB243_11
.LBB243_42:                             ;   in Loop: Header=BB243_3 Depth=1
	s_waitcnt vmcnt(1)
	v_add3_u32 v4, v11, v9, 2
	v_ashrrev_i32_e32 v39, 31, v4
	v_mov_b32_e32 v40, s73
	v_add_co_u32_e64 v38, s[68:69], s72, v4
	v_addc_co_u32_e64 v39, s[68:69], v40, v39, s[68:69]
	global_store_byte v[38:39], v5, off
	s_or_b64 exec, exec, s[74:75]
	s_and_saveexec_b64 s[74:75], s[10:11]
	s_cbranch_execz .LBB243_12
.LBB243_43:                             ;   in Loop: Header=BB243_3 Depth=1
	s_waitcnt vmcnt(1)
	v_add3_u32 v4, v11, v9, s90
	v_ashrrev_i32_e32 v39, 31, v4
	v_mov_b32_e32 v41, s73
	v_add_co_u32_e64 v38, s[68:69], s72, v4
	v_lshrrev_b32_e32 v40, 8, v5
	v_addc_co_u32_e64 v39, s[68:69], v41, v39, s[68:69]
	global_store_byte v[38:39], v40, off
	s_or_b64 exec, exec, s[74:75]
	s_and_saveexec_b64 s[74:75], s[12:13]
	s_cbranch_execz .LBB243_13
.LBB243_44:                             ;   in Loop: Header=BB243_3 Depth=1
	s_waitcnt vmcnt(1)
	v_add3_u32 v4, v11, v9, s91
	v_ashrrev_i32_e32 v39, 31, v4
	v_mov_b32_e32 v40, s73
	v_add_co_u32_e64 v38, s[68:69], s72, v4
	v_addc_co_u32_e64 v39, s[68:69], v40, v39, s[68:69]
	global_store_byte_d16_hi v[38:39], v5, off
	s_or_b64 exec, exec, s[74:75]
	s_and_saveexec_b64 s[74:75], s[14:15]
	s_cbranch_execz .LBB243_14
.LBB243_45:                             ;   in Loop: Header=BB243_3 Depth=1
	s_waitcnt vmcnt(1)
	v_add3_u32 v4, v11, v9, s92
	v_lshrrev_b32_e32 v38, 24, v5
	v_ashrrev_i32_e32 v5, 31, v4
	v_mov_b32_e32 v39, s73
	v_add_co_u32_e64 v4, s[68:69], s72, v4
	v_addc_co_u32_e64 v5, s[68:69], v39, v5, s[68:69]
	global_store_byte v[4:5], v38, off
	s_or_b64 exec, exec, s[74:75]
	s_and_saveexec_b64 s[74:75], s[16:17]
	s_cbranch_execz .LBB243_15
.LBB243_46:                             ;   in Loop: Header=BB243_3 Depth=1
	s_waitcnt vmcnt(1)
	v_add_u32_e32 v4, v11, v12
	v_ashrrev_i32_e32 v5, 31, v4
	v_mov_b32_e32 v38, s73
	v_add_co_u32_e64 v4, s[68:69], s72, v4
	v_addc_co_u32_e64 v5, s[68:69], v38, v5, s[68:69]
	global_store_byte v[4:5], v6, off
	s_or_b64 exec, exec, s[74:75]
	s_and_saveexec_b64 s[74:75], s[18:19]
	s_cbranch_execz .LBB243_16
.LBB243_47:                             ;   in Loop: Header=BB243_3 Depth=1
	s_waitcnt vmcnt(1)
	v_add3_u32 v4, v11, v13, 64
	v_ashrrev_i32_e32 v5, 31, v4
	v_mov_b32_e32 v39, s73
	v_add_co_u32_e64 v4, s[68:69], s72, v4
	v_lshrrev_b32_e32 v38, 8, v6
	v_addc_co_u32_e64 v5, s[68:69], v39, v5, s[68:69]
	global_store_byte v[4:5], v38, off
	s_or_b64 exec, exec, s[74:75]
	s_and_saveexec_b64 s[74:75], s[20:21]
	s_cbranch_execz .LBB243_17
.LBB243_48:                             ;   in Loop: Header=BB243_3 Depth=1
	s_waitcnt vmcnt(1)
	v_add3_u32 v4, v11, v14, s88
	v_ashrrev_i32_e32 v5, 31, v4
	v_mov_b32_e32 v38, s73
	v_add_co_u32_e64 v4, s[68:69], s72, v4
	v_addc_co_u32_e64 v5, s[68:69], v38, v5, s[68:69]
	global_store_byte_d16_hi v[4:5], v6, off
	s_or_b64 exec, exec, s[74:75]
	s_and_saveexec_b64 s[74:75], s[22:23]
	s_cbranch_execz .LBB243_18
.LBB243_49:                             ;   in Loop: Header=BB243_3 Depth=1
	s_waitcnt vmcnt(1)
	v_add3_u32 v4, v11, v15, s89
	v_ashrrev_i32_e32 v5, 31, v4
	v_mov_b32_e32 v38, s73
	v_add_co_u32_e64 v4, s[68:69], s72, v4
	v_lshrrev_b32_e32 v6, 24, v6
	v_addc_co_u32_e64 v5, s[68:69], v38, v5, s[68:69]
	global_store_byte v[4:5], v6, off
	s_or_b64 exec, exec, s[74:75]
	s_and_saveexec_b64 s[74:75], s[24:25]
	s_cbranch_execz .LBB243_19
.LBB243_50:                             ;   in Loop: Header=BB243_3 Depth=1
	s_waitcnt vmcnt(1)
	v_add3_u32 v4, v11, v16, 2
	v_ashrrev_i32_e32 v5, 31, v4
	v_mov_b32_e32 v6, s73
	v_add_co_u32_e64 v4, s[68:69], s72, v4
	v_addc_co_u32_e64 v5, s[68:69], v6, v5, s[68:69]
	global_store_byte v[4:5], v7, off
	s_or_b64 exec, exec, s[74:75]
	s_and_saveexec_b64 s[74:75], s[26:27]
	s_cbranch_execz .LBB243_20
.LBB243_51:                             ;   in Loop: Header=BB243_3 Depth=1
	s_waitcnt vmcnt(1)
	v_add3_u32 v4, v11, v17, s90
	v_ashrrev_i32_e32 v5, 31, v4
	v_mov_b32_e32 v38, s73
	v_add_co_u32_e64 v4, s[68:69], s72, v4
	v_lshrrev_b32_e32 v6, 8, v7
	v_addc_co_u32_e64 v5, s[68:69], v38, v5, s[68:69]
	global_store_byte v[4:5], v6, off
	s_or_b64 exec, exec, s[74:75]
	s_and_saveexec_b64 s[74:75], s[28:29]
	s_cbranch_execz .LBB243_21
.LBB243_52:                             ;   in Loop: Header=BB243_3 Depth=1
	s_waitcnt vmcnt(1)
	v_add3_u32 v4, v11, v18, s91
	v_ashrrev_i32_e32 v5, 31, v4
	v_mov_b32_e32 v6, s73
	v_add_co_u32_e64 v4, s[68:69], s72, v4
	v_addc_co_u32_e64 v5, s[68:69], v6, v5, s[68:69]
	global_store_byte_d16_hi v[4:5], v7, off
	s_or_b64 exec, exec, s[74:75]
	s_and_saveexec_b64 s[74:75], s[30:31]
	s_cbranch_execz .LBB243_22
.LBB243_53:                             ;   in Loop: Header=BB243_3 Depth=1
	s_waitcnt vmcnt(1)
	v_add3_u32 v4, v11, v19, s92
	v_lshrrev_b32_e32 v6, 24, v7
	v_ashrrev_i32_e32 v5, 31, v4
	v_mov_b32_e32 v7, s73
	v_add_co_u32_e64 v4, s[68:69], s72, v4
	v_addc_co_u32_e64 v5, s[68:69], v7, v5, s[68:69]
	global_store_byte v[4:5], v6, off
	s_or_b64 exec, exec, s[74:75]
	s_and_saveexec_b64 s[74:75], s[34:35]
	s_cbranch_execz .LBB243_23
.LBB243_54:                             ;   in Loop: Header=BB243_3 Depth=1
	s_waitcnt vmcnt(1)
	v_add_u32_e32 v4, v11, v20
	v_ashrrev_i32_e32 v5, 31, v4
	v_mov_b32_e32 v6, s73
	v_add_co_u32_e64 v4, s[68:69], s72, v4
	v_addc_co_u32_e64 v5, s[68:69], v6, v5, s[68:69]
	s_waitcnt vmcnt(0)
	global_store_byte v[4:5], v0, off
	s_or_b64 exec, exec, s[74:75]
	s_and_saveexec_b64 s[74:75], s[36:37]
	s_cbranch_execz .LBB243_24
.LBB243_55:                             ;   in Loop: Header=BB243_3 Depth=1
	s_waitcnt vmcnt(1)
	v_add3_u32 v4, v11, v21, 64
	v_ashrrev_i32_e32 v5, 31, v4
	v_mov_b32_e32 v7, s73
	v_add_co_u32_e64 v4, s[68:69], s72, v4
	s_waitcnt vmcnt(0)
	v_lshrrev_b32_e32 v6, 8, v0
	v_addc_co_u32_e64 v5, s[68:69], v7, v5, s[68:69]
	global_store_byte v[4:5], v6, off
	s_or_b64 exec, exec, s[74:75]
	s_and_saveexec_b64 s[74:75], s[38:39]
	s_cbranch_execz .LBB243_25
.LBB243_56:                             ;   in Loop: Header=BB243_3 Depth=1
	s_waitcnt vmcnt(1)
	v_add3_u32 v4, v11, v22, s88
	v_ashrrev_i32_e32 v5, 31, v4
	v_mov_b32_e32 v6, s73
	v_add_co_u32_e64 v4, s[68:69], s72, v4
	v_addc_co_u32_e64 v5, s[68:69], v6, v5, s[68:69]
	s_waitcnt vmcnt(0)
	global_store_byte_d16_hi v[4:5], v0, off
	s_or_b64 exec, exec, s[74:75]
	s_and_saveexec_b64 s[74:75], s[40:41]
	s_cbranch_execz .LBB243_26
.LBB243_57:                             ;   in Loop: Header=BB243_3 Depth=1
	s_waitcnt vmcnt(1)
	v_add3_u32 v4, v11, v23, s89
	v_ashrrev_i32_e32 v5, 31, v4
	v_mov_b32_e32 v6, s73
	v_add_co_u32_e64 v4, s[68:69], s72, v4
	s_waitcnt vmcnt(0)
	v_lshrrev_b32_e32 v0, 24, v0
	v_addc_co_u32_e64 v5, s[68:69], v6, v5, s[68:69]
	global_store_byte v[4:5], v0, off
	s_or_b64 exec, exec, s[74:75]
	s_and_saveexec_b64 s[74:75], s[42:43]
	s_cbranch_execz .LBB243_27
.LBB243_58:                             ;   in Loop: Header=BB243_3 Depth=1
	s_waitcnt vmcnt(0)
	v_add3_u32 v0, v11, v24, 2
	v_ashrrev_i32_e32 v5, 31, v0
	v_mov_b32_e32 v6, s73
	v_add_co_u32_e64 v4, s[68:69], s72, v0
	v_addc_co_u32_e64 v5, s[68:69], v6, v5, s[68:69]
	global_store_byte v[4:5], v1, off
	s_or_b64 exec, exec, s[74:75]
	s_and_saveexec_b64 s[74:75], s[44:45]
	s_cbranch_execz .LBB243_28
.LBB243_59:                             ;   in Loop: Header=BB243_3 Depth=1
	s_waitcnt vmcnt(0)
	v_add3_u32 v0, v11, v25, s90
	v_ashrrev_i32_e32 v5, 31, v0
	v_mov_b32_e32 v7, s73
	v_add_co_u32_e64 v4, s[68:69], s72, v0
	v_lshrrev_b32_e32 v6, 8, v1
	v_addc_co_u32_e64 v5, s[68:69], v7, v5, s[68:69]
	global_store_byte v[4:5], v6, off
	s_or_b64 exec, exec, s[74:75]
	s_and_saveexec_b64 s[74:75], s[46:47]
	s_cbranch_execz .LBB243_29
.LBB243_60:                             ;   in Loop: Header=BB243_3 Depth=1
	s_waitcnt vmcnt(0)
	v_add3_u32 v0, v11, v26, s91
	v_ashrrev_i32_e32 v5, 31, v0
	v_mov_b32_e32 v6, s73
	v_add_co_u32_e64 v4, s[68:69], s72, v0
	v_addc_co_u32_e64 v5, s[68:69], v6, v5, s[68:69]
	global_store_byte_d16_hi v[4:5], v1, off
	s_or_b64 exec, exec, s[74:75]
	s_and_saveexec_b64 s[74:75], s[48:49]
	s_cbranch_execz .LBB243_30
.LBB243_61:                             ;   in Loop: Header=BB243_3 Depth=1
	s_waitcnt vmcnt(0)
	v_add3_u32 v0, v11, v27, s92
	v_lshrrev_b32_e32 v4, 24, v1
	v_ashrrev_i32_e32 v1, 31, v0
	v_mov_b32_e32 v5, s73
	v_add_co_u32_e64 v0, s[68:69], s72, v0
	v_addc_co_u32_e64 v1, s[68:69], v5, v1, s[68:69]
	global_store_byte v[0:1], v4, off
	s_or_b64 exec, exec, s[74:75]
	s_and_saveexec_b64 s[74:75], s[50:51]
	s_cbranch_execz .LBB243_31
.LBB243_62:                             ;   in Loop: Header=BB243_3 Depth=1
	s_waitcnt vmcnt(0)
	v_add_u32_e32 v0, v11, v28
	v_ashrrev_i32_e32 v1, 31, v0
	v_mov_b32_e32 v4, s73
	v_add_co_u32_e64 v0, s[68:69], s72, v0
	v_addc_co_u32_e64 v1, s[68:69], v4, v1, s[68:69]
	global_store_byte v[0:1], v2, off
	s_or_b64 exec, exec, s[74:75]
	s_and_saveexec_b64 s[74:75], s[52:53]
	s_cbranch_execz .LBB243_32
.LBB243_63:                             ;   in Loop: Header=BB243_3 Depth=1
	s_waitcnt vmcnt(0)
	v_add3_u32 v0, v11, v29, 64
	v_ashrrev_i32_e32 v1, 31, v0
	v_mov_b32_e32 v5, s73
	v_add_co_u32_e64 v0, s[68:69], s72, v0
	v_lshrrev_b32_e32 v4, 8, v2
	v_addc_co_u32_e64 v1, s[68:69], v5, v1, s[68:69]
	global_store_byte v[0:1], v4, off
	s_or_b64 exec, exec, s[74:75]
	s_and_saveexec_b64 s[74:75], s[54:55]
	s_cbranch_execz .LBB243_33
.LBB243_64:                             ;   in Loop: Header=BB243_3 Depth=1
	s_waitcnt vmcnt(0)
	v_add3_u32 v0, v11, v30, s88
	v_ashrrev_i32_e32 v1, 31, v0
	v_mov_b32_e32 v4, s73
	v_add_co_u32_e64 v0, s[68:69], s72, v0
	v_addc_co_u32_e64 v1, s[68:69], v4, v1, s[68:69]
	global_store_byte_d16_hi v[0:1], v2, off
	s_or_b64 exec, exec, s[74:75]
	s_and_saveexec_b64 s[74:75], s[56:57]
	s_cbranch_execz .LBB243_34
.LBB243_65:                             ;   in Loop: Header=BB243_3 Depth=1
	s_waitcnt vmcnt(0)
	v_add3_u32 v0, v11, v31, s89
	v_ashrrev_i32_e32 v1, 31, v0
	v_mov_b32_e32 v4, s73
	v_add_co_u32_e64 v0, s[68:69], s72, v0
	v_lshrrev_b32_e32 v2, 24, v2
	v_addc_co_u32_e64 v1, s[68:69], v4, v1, s[68:69]
	global_store_byte v[0:1], v2, off
	s_or_b64 exec, exec, s[74:75]
	s_and_saveexec_b64 s[74:75], s[58:59]
	s_cbranch_execz .LBB243_35
.LBB243_66:                             ;   in Loop: Header=BB243_3 Depth=1
	s_waitcnt vmcnt(0)
	v_add3_u32 v0, v11, v32, 2
	v_ashrrev_i32_e32 v1, 31, v0
	v_mov_b32_e32 v2, s73
	v_add_co_u32_e64 v0, s[68:69], s72, v0
	v_addc_co_u32_e64 v1, s[68:69], v2, v1, s[68:69]
	global_store_byte v[0:1], v3, off
	s_or_b64 exec, exec, s[74:75]
	s_and_saveexec_b64 s[74:75], s[60:61]
	s_cbranch_execz .LBB243_36
.LBB243_67:                             ;   in Loop: Header=BB243_3 Depth=1
	s_waitcnt vmcnt(0)
	v_add3_u32 v0, v11, v33, s90
	v_ashrrev_i32_e32 v1, 31, v0
	v_mov_b32_e32 v4, s73
	v_add_co_u32_e64 v0, s[68:69], s72, v0
	v_lshrrev_b32_e32 v2, 8, v3
	v_addc_co_u32_e64 v1, s[68:69], v4, v1, s[68:69]
	global_store_byte v[0:1], v2, off
	s_or_b64 exec, exec, s[74:75]
	s_and_saveexec_b64 s[74:75], s[62:63]
	s_cbranch_execz .LBB243_37
.LBB243_68:                             ;   in Loop: Header=BB243_3 Depth=1
	s_waitcnt vmcnt(0)
	v_add3_u32 v0, v11, v34, s91
	v_ashrrev_i32_e32 v1, 31, v0
	v_mov_b32_e32 v2, s73
	v_add_co_u32_e64 v0, s[68:69], s72, v0
	v_addc_co_u32_e64 v1, s[68:69], v2, v1, s[68:69]
	global_store_byte_d16_hi v[0:1], v3, off
	s_or_b64 exec, exec, s[74:75]
	s_and_b64 exec, exec, s[64:65]
	s_cbranch_execz .LBB243_2
.LBB243_69:                             ;   in Loop: Header=BB243_3 Depth=1
	s_waitcnt vmcnt(0)
	v_add3_u32 v0, v11, v35, s92
	v_lshrrev_b32_e32 v2, 24, v3
	v_ashrrev_i32_e32 v1, 31, v0
	v_mov_b32_e32 v3, s73
	v_add_co_u32_e64 v0, s[68:69], s72, v0
	v_addc_co_u32_e64 v1, s[68:69], v3, v1, s[68:69]
	global_store_byte v[0:1], v2, off
	s_branch .LBB243_2
.LBB243_70:
	s_endpgm
	.section	.rodata,"a",@progbits
	.p2align	6, 0x0
	.amdhsa_kernel _ZN5aiter21mxfp4_moe_sort_kernelILi256ELi16ELi32ELi32EEEvPhS1_PKiS3_iiiii
		.amdhsa_group_segment_fixed_size 0
		.amdhsa_private_segment_fixed_size 0
		.amdhsa_kernarg_size 52
		.amdhsa_user_sgpr_count 6
		.amdhsa_user_sgpr_private_segment_buffer 1
		.amdhsa_user_sgpr_dispatch_ptr 0
		.amdhsa_user_sgpr_queue_ptr 0
		.amdhsa_user_sgpr_kernarg_segment_ptr 1
		.amdhsa_user_sgpr_dispatch_id 0
		.amdhsa_user_sgpr_flat_scratch_init 0
		.amdhsa_user_sgpr_kernarg_preload_length 0
		.amdhsa_user_sgpr_kernarg_preload_offset 0
		.amdhsa_user_sgpr_private_segment_size 0
		.amdhsa_uses_dynamic_stack 0
		.amdhsa_system_sgpr_private_segment_wavefront_offset 0
		.amdhsa_system_sgpr_workgroup_id_x 1
		.amdhsa_system_sgpr_workgroup_id_y 0
		.amdhsa_system_sgpr_workgroup_id_z 0
		.amdhsa_system_sgpr_workgroup_info 0
		.amdhsa_system_vgpr_workitem_id 0
		.amdhsa_next_free_vgpr 42
		.amdhsa_next_free_sgpr 93
		.amdhsa_accum_offset 44
		.amdhsa_reserve_vcc 1
		.amdhsa_reserve_flat_scratch 0
		.amdhsa_float_round_mode_32 0
		.amdhsa_float_round_mode_16_64 0
		.amdhsa_float_denorm_mode_32 3
		.amdhsa_float_denorm_mode_16_64 3
		.amdhsa_dx10_clamp 1
		.amdhsa_ieee_mode 1
		.amdhsa_fp16_overflow 0
		.amdhsa_tg_split 0
		.amdhsa_exception_fp_ieee_invalid_op 0
		.amdhsa_exception_fp_denorm_src 0
		.amdhsa_exception_fp_ieee_div_zero 0
		.amdhsa_exception_fp_ieee_overflow 0
		.amdhsa_exception_fp_ieee_underflow 0
		.amdhsa_exception_fp_ieee_inexact 0
		.amdhsa_exception_int_div_zero 0
	.end_amdhsa_kernel
	.section	.text._ZN5aiter21mxfp4_moe_sort_kernelILi256ELi16ELi32ELi32EEEvPhS1_PKiS3_iiiii,"axG",@progbits,_ZN5aiter21mxfp4_moe_sort_kernelILi256ELi16ELi32ELi32EEEvPhS1_PKiS3_iiiii,comdat
.Lfunc_end243:
	.size	_ZN5aiter21mxfp4_moe_sort_kernelILi256ELi16ELi32ELi32EEEvPhS1_PKiS3_iiiii, .Lfunc_end243-_ZN5aiter21mxfp4_moe_sort_kernelILi256ELi16ELi32ELi32EEEvPhS1_PKiS3_iiiii
                                        ; -- End function
	.section	.AMDGPU.csdata,"",@progbits
; Kernel info:
; codeLenInByte = 3356
; NumSgprs: 97
; NumVgprs: 42
; NumAgprs: 0
; TotalNumVgprs: 42
; ScratchSize: 0
; MemoryBound: 0
; FloatMode: 240
; IeeeMode: 1
; LDSByteSize: 0 bytes/workgroup (compile time only)
; SGPRBlocks: 12
; VGPRBlocks: 5
; NumSGPRsForWavesPerEU: 97
; NumVGPRsForWavesPerEU: 42
; AccumOffset: 44
; Occupancy: 8
; WaveLimiterHint : 0
; COMPUTE_PGM_RSRC2:SCRATCH_EN: 0
; COMPUTE_PGM_RSRC2:USER_SGPR: 6
; COMPUTE_PGM_RSRC2:TRAP_HANDLER: 0
; COMPUTE_PGM_RSRC2:TGID_X_EN: 1
; COMPUTE_PGM_RSRC2:TGID_Y_EN: 0
; COMPUTE_PGM_RSRC2:TGID_Z_EN: 0
; COMPUTE_PGM_RSRC2:TIDIG_COMP_CNT: 0
; COMPUTE_PGM_RSRC3_GFX90A:ACCUM_OFFSET: 10
; COMPUTE_PGM_RSRC3_GFX90A:TG_SPLIT: 0
	.text
	.p2alignl 6, 3212836864
	.fill 256, 4, 3212836864
	.type	__hip_cuid_994d6190293238a1,@object ; @__hip_cuid_994d6190293238a1
	.section	.bss,"aw",@nobits
	.globl	__hip_cuid_994d6190293238a1
__hip_cuid_994d6190293238a1:
	.byte	0                               ; 0x0
	.size	__hip_cuid_994d6190293238a1, 1

	.ident	"AMD clang version 19.0.0git (https://github.com/RadeonOpenCompute/llvm-project roc-6.4.0 25133 c7fe45cf4b819c5991fe208aaa96edf142730f1d)"
	.section	".note.GNU-stack","",@progbits
	.addrsig
	.addrsig_sym __hip_cuid_994d6190293238a1
	.amdgpu_metadata
---
amdhsa.kernels:
  - .agpr_count:     0
    .args:           []
    .group_segment_fixed_size: 0
    .kernarg_segment_align: 4
    .kernarg_segment_size: 0
    .language:       OpenCL C
    .language_version:
      - 2
      - 0
    .max_flat_workgroup_size: 1024
    .name:           _ZN7ck_tileL11flush_cacheEv
    .private_segment_fixed_size: 0
    .sgpr_count:     4
    .sgpr_spill_count: 0
    .symbol:         _ZN7ck_tileL11flush_cacheEv.kd
    .uniform_work_group_size: 1
    .uses_dynamic_stack: false
    .vgpr_count:     0
    .vgpr_spill_count: 0
    .wavefront_size: 64
  - .agpr_count:     0
    .args:
      - .address_space:  global
        .offset:         0
        .size:           8
        .value_kind:     global_buffer
      - .offset:         8
        .size:           4
        .value_kind:     by_value
      - .offset:         12
        .size:           4
        .value_kind:     by_value
      - .offset:         16
        .size:           4
        .value_kind:     hidden_block_count_x
      - .offset:         20
        .size:           4
        .value_kind:     hidden_block_count_y
      - .offset:         24
        .size:           4
        .value_kind:     hidden_block_count_z
      - .offset:         28
        .size:           2
        .value_kind:     hidden_group_size_x
      - .offset:         30
        .size:           2
        .value_kind:     hidden_group_size_y
      - .offset:         32
        .size:           2
        .value_kind:     hidden_group_size_z
      - .offset:         34
        .size:           2
        .value_kind:     hidden_remainder_x
      - .offset:         36
        .size:           2
        .value_kind:     hidden_remainder_y
      - .offset:         38
        .size:           2
        .value_kind:     hidden_remainder_z
      - .offset:         56
        .size:           8
        .value_kind:     hidden_global_offset_x
      - .offset:         64
        .size:           8
        .value_kind:     hidden_global_offset_y
      - .offset:         72
        .size:           8
        .value_kind:     hidden_global_offset_z
      - .offset:         80
        .size:           2
        .value_kind:     hidden_grid_dims
    .group_segment_fixed_size: 0
    .kernarg_segment_align: 8
    .kernarg_segment_size: 272
    .language:       OpenCL C
    .language_version:
      - 2
      - 0
    .max_flat_workgroup_size: 1024
    .name:           _ZN5aiter15initializeScaleEPfif
    .private_segment_fixed_size: 0
    .sgpr_count:     11
    .sgpr_spill_count: 0
    .symbol:         _ZN5aiter15initializeScaleEPfif.kd
    .uniform_work_group_size: 1
    .uses_dynamic_stack: false
    .vgpr_count:     3
    .vgpr_spill_count: 0
    .wavefront_size: 64
  - .agpr_count:     0
    .args:
      - .actual_access:  write_only
        .address_space:  global
        .offset:         0
        .size:           8
        .value_kind:     global_buffer
      - .actual_access:  read_only
        .address_space:  global
        .offset:         8
        .size:           8
        .value_kind:     global_buffer
      - .actual_access:  read_only
        .address_space:  global
        .offset:         16
        .size:           8
        .value_kind:     global_buffer
      - .offset:         24
        .size:           4
        .value_kind:     by_value
    .group_segment_fixed_size: 0
    .kernarg_segment_align: 8
    .kernarg_segment_size: 28
    .language:       OpenCL C
    .language_version:
      - 2
      - 0
    .max_flat_workgroup_size: 1024
    .name:           _ZN5aiter19scaled_quant_kernelIDF16_DB8_EEvPT0_PKT_PKfi
    .private_segment_fixed_size: 0
    .sgpr_count:     21
    .sgpr_spill_count: 0
    .symbol:         _ZN5aiter19scaled_quant_kernelIDF16_DB8_EEvPT0_PKT_PKfi.kd
    .uniform_work_group_size: 1
    .uses_dynamic_stack: false
    .vgpr_count:     34
    .vgpr_spill_count: 0
    .wavefront_size: 64
  - .agpr_count:     0
    .args:
      - .actual_access:  write_only
        .address_space:  global
        .offset:         0
        .size:           8
        .value_kind:     global_buffer
      - .actual_access:  read_only
        .address_space:  global
        .offset:         8
        .size:           8
        .value_kind:     global_buffer
      - .actual_access:  read_only
        .address_space:  global
        .offset:         16
        .size:           8
        .value_kind:     global_buffer
      - .offset:         24
        .size:           4
        .value_kind:     by_value
    .group_segment_fixed_size: 0
    .kernarg_segment_align: 8
    .kernarg_segment_size: 28
    .language:       OpenCL C
    .language_version:
      - 2
      - 0
    .max_flat_workgroup_size: 1024
    .name:           _ZN5aiter19scaled_quant_kernelItDB8_EEvPT0_PKT_PKfi
    .private_segment_fixed_size: 0
    .sgpr_count:     21
    .sgpr_spill_count: 0
    .symbol:         _ZN5aiter19scaled_quant_kernelItDB8_EEvPT0_PKT_PKfi.kd
    .uniform_work_group_size: 1
    .uses_dynamic_stack: false
    .vgpr_count:     34
    .vgpr_spill_count: 0
    .wavefront_size: 64
  - .agpr_count:     0
    .args:
      - .actual_access:  write_only
        .address_space:  global
        .offset:         0
        .size:           8
        .value_kind:     global_buffer
      - .actual_access:  read_only
        .address_space:  global
        .offset:         8
        .size:           8
        .value_kind:     global_buffer
      - .actual_access:  read_only
        .address_space:  global
        .offset:         16
        .size:           8
        .value_kind:     global_buffer
      - .offset:         24
        .size:           4
        .value_kind:     by_value
    .group_segment_fixed_size: 0
    .kernarg_segment_align: 8
    .kernarg_segment_size: 28
    .language:       OpenCL C
    .language_version:
      - 2
      - 0
    .max_flat_workgroup_size: 1024
    .name:           _ZN5aiter19scaled_quant_kernelIDF16_aEEvPT0_PKT_PKfi
    .private_segment_fixed_size: 0
    .sgpr_count:     18
    .sgpr_spill_count: 0
    .symbol:         _ZN5aiter19scaled_quant_kernelIDF16_aEEvPT0_PKT_PKfi.kd
    .uniform_work_group_size: 1
    .uses_dynamic_stack: false
    .vgpr_count:     32
    .vgpr_spill_count: 0
    .wavefront_size: 64
  - .agpr_count:     0
    .args:
      - .actual_access:  write_only
        .address_space:  global
        .offset:         0
        .size:           8
        .value_kind:     global_buffer
      - .actual_access:  read_only
        .address_space:  global
        .offset:         8
        .size:           8
        .value_kind:     global_buffer
      - .actual_access:  read_only
        .address_space:  global
        .offset:         16
        .size:           8
        .value_kind:     global_buffer
      - .offset:         24
        .size:           4
        .value_kind:     by_value
    .group_segment_fixed_size: 0
    .kernarg_segment_align: 8
    .kernarg_segment_size: 28
    .language:       OpenCL C
    .language_version:
      - 2
      - 0
    .max_flat_workgroup_size: 1024
    .name:           _ZN5aiter19scaled_quant_kernelItaEEvPT0_PKT_PKfi
    .private_segment_fixed_size: 0
    .sgpr_count:     18
    .sgpr_spill_count: 0
    .symbol:         _ZN5aiter19scaled_quant_kernelItaEEvPT0_PKT_PKfi.kd
    .uniform_work_group_size: 1
    .uses_dynamic_stack: false
    .vgpr_count:     32
    .vgpr_spill_count: 0
    .wavefront_size: 64
  - .agpr_count:     0
    .args:
      - .address_space:  global
        .offset:         0
        .size:           8
        .value_kind:     global_buffer
      - .actual_access:  read_only
        .address_space:  global
        .offset:         8
        .size:           8
        .value_kind:     global_buffer
      - .offset:         16
        .size:           4
        .value_kind:     by_value
    .group_segment_fixed_size: 16
    .kernarg_segment_align: 8
    .kernarg_segment_size: 20
    .language:       OpenCL C
    .language_version:
      - 2
      - 0
    .max_flat_workgroup_size: 1024
    .name:           _ZN5aiter20data_to_scale_kernelIDF16_DB8_EEvPfPKT_i
    .private_segment_fixed_size: 0
    .sgpr_count:     16
    .sgpr_spill_count: 0
    .symbol:         _ZN5aiter20data_to_scale_kernelIDF16_DB8_EEvPfPKT_i.kd
    .uniform_work_group_size: 1
    .uses_dynamic_stack: false
    .vgpr_count:     29
    .vgpr_spill_count: 0
    .wavefront_size: 64
  - .agpr_count:     0
    .args:
      - .address_space:  global
        .offset:         0
        .size:           8
        .value_kind:     global_buffer
      - .actual_access:  read_only
        .address_space:  global
        .offset:         8
        .size:           8
        .value_kind:     global_buffer
      - .offset:         16
        .size:           4
        .value_kind:     by_value
    .group_segment_fixed_size: 16
    .kernarg_segment_align: 8
    .kernarg_segment_size: 20
    .language:       OpenCL C
    .language_version:
      - 2
      - 0
    .max_flat_workgroup_size: 1024
    .name:           _ZN5aiter20data_to_scale_kernelItDB8_EEvPfPKT_i
    .private_segment_fixed_size: 0
    .sgpr_count:     16
    .sgpr_spill_count: 0
    .symbol:         _ZN5aiter20data_to_scale_kernelItDB8_EEvPfPKT_i.kd
    .uniform_work_group_size: 1
    .uses_dynamic_stack: false
    .vgpr_count:     29
    .vgpr_spill_count: 0
    .wavefront_size: 64
  - .agpr_count:     0
    .args:
      - .address_space:  global
        .offset:         0
        .size:           8
        .value_kind:     global_buffer
      - .actual_access:  read_only
        .address_space:  global
        .offset:         8
        .size:           8
        .value_kind:     global_buffer
      - .offset:         16
        .size:           4
        .value_kind:     by_value
    .group_segment_fixed_size: 16
    .kernarg_segment_align: 8
    .kernarg_segment_size: 20
    .language:       OpenCL C
    .language_version:
      - 2
      - 0
    .max_flat_workgroup_size: 1024
    .name:           _ZN5aiter20data_to_scale_kernelIDF16_aEEvPfPKT_i
    .private_segment_fixed_size: 0
    .sgpr_count:     16
    .sgpr_spill_count: 0
    .symbol:         _ZN5aiter20data_to_scale_kernelIDF16_aEEvPfPKT_i.kd
    .uniform_work_group_size: 1
    .uses_dynamic_stack: false
    .vgpr_count:     29
    .vgpr_spill_count: 0
    .wavefront_size: 64
  - .agpr_count:     0
    .args:
      - .address_space:  global
        .offset:         0
        .size:           8
        .value_kind:     global_buffer
      - .actual_access:  read_only
        .address_space:  global
        .offset:         8
        .size:           8
        .value_kind:     global_buffer
      - .offset:         16
        .size:           4
        .value_kind:     by_value
    .group_segment_fixed_size: 16
    .kernarg_segment_align: 8
    .kernarg_segment_size: 20
    .language:       OpenCL C
    .language_version:
      - 2
      - 0
    .max_flat_workgroup_size: 1024
    .name:           _ZN5aiter20data_to_scale_kernelItaEEvPfPKT_i
    .private_segment_fixed_size: 0
    .sgpr_count:     16
    .sgpr_spill_count: 0
    .symbol:         _ZN5aiter20data_to_scale_kernelItaEEvPfPKT_i.kd
    .uniform_work_group_size: 1
    .uses_dynamic_stack: false
    .vgpr_count:     29
    .vgpr_spill_count: 0
    .wavefront_size: 64
  - .agpr_count:     0
    .args:
      - .actual_access:  write_only
        .address_space:  global
        .offset:         0
        .size:           8
        .value_kind:     global_buffer
      - .actual_access:  write_only
        .address_space:  global
        .offset:         8
        .size:           8
        .value_kind:     global_buffer
      - .actual_access:  read_only
        .address_space:  global
        .offset:         16
        .size:           8
        .value_kind:     global_buffer
      - .actual_access:  read_only
        .address_space:  global
        .offset:         24
        .size:           8
        .value_kind:     global_buffer
      - .offset:         32
        .size:           8
        .value_kind:     by_value
      - .offset:         40
        .size:           4
        .value_kind:     by_value
      - .offset:         44
        .size:           4
        .value_kind:     by_value
      - .offset:         48
        .size:           8
        .value_kind:     by_value
      - .actual_access:  read_only
        .address_space:  global
        .offset:         56
        .size:           8
        .value_kind:     global_buffer
      - .offset:         64
        .size:           4
        .value_kind:     by_value
    .group_segment_fixed_size: 0
    .kernarg_segment_align: 8
    .kernarg_segment_size: 68
    .language:       OpenCL C
    .language_version:
      - 2
      - 0
    .max_flat_workgroup_size: 64
    .name:           _ZN5aiter37dynamic_per_group_scaled_quant_kernelIDF16_DB8_Li32ELi32ELb1ELi64ELb0EEEvPT0_PfPKT_PKfliilPKii
    .private_segment_fixed_size: 0
    .sgpr_count:     22
    .sgpr_spill_count: 0
    .symbol:         _ZN5aiter37dynamic_per_group_scaled_quant_kernelIDF16_DB8_Li32ELi32ELb1ELi64ELb0EEEvPT0_PfPKT_PKfliilPKii.kd
    .uniform_work_group_size: 1
    .uses_dynamic_stack: false
    .vgpr_count:     52
    .vgpr_spill_count: 0
    .wavefront_size: 64
  - .agpr_count:     0
    .args:
      - .actual_access:  write_only
        .address_space:  global
        .offset:         0
        .size:           8
        .value_kind:     global_buffer
      - .actual_access:  write_only
        .address_space:  global
        .offset:         8
        .size:           8
        .value_kind:     global_buffer
      - .actual_access:  read_only
        .address_space:  global
        .offset:         16
        .size:           8
        .value_kind:     global_buffer
      - .actual_access:  read_only
        .address_space:  global
        .offset:         24
        .size:           8
        .value_kind:     global_buffer
      - .offset:         32
        .size:           8
        .value_kind:     by_value
      - .offset:         40
        .size:           4
        .value_kind:     by_value
      - .offset:         44
        .size:           4
        .value_kind:     by_value
      - .offset:         48
        .size:           8
        .value_kind:     by_value
      - .actual_access:  read_only
        .address_space:  global
        .offset:         56
        .size:           8
        .value_kind:     global_buffer
      - .offset:         64
        .size:           4
        .value_kind:     by_value
    .group_segment_fixed_size: 0
    .kernarg_segment_align: 8
    .kernarg_segment_size: 68
    .language:       OpenCL C
    .language_version:
      - 2
      - 0
    .max_flat_workgroup_size: 64
    .name:           _ZN5aiter37dynamic_per_group_scaled_quant_kernelItDB8_Li32ELi32ELb1ELi64ELb0EEEvPT0_PfPKT_PKfliilPKii
    .private_segment_fixed_size: 0
    .sgpr_count:     22
    .sgpr_spill_count: 0
    .symbol:         _ZN5aiter37dynamic_per_group_scaled_quant_kernelItDB8_Li32ELi32ELb1ELi64ELb0EEEvPT0_PfPKT_PKfliilPKii.kd
    .uniform_work_group_size: 1
    .uses_dynamic_stack: false
    .vgpr_count:     40
    .vgpr_spill_count: 0
    .wavefront_size: 64
  - .agpr_count:     0
    .args:
      - .actual_access:  write_only
        .address_space:  global
        .offset:         0
        .size:           8
        .value_kind:     global_buffer
      - .actual_access:  write_only
        .address_space:  global
        .offset:         8
        .size:           8
        .value_kind:     global_buffer
      - .actual_access:  read_only
        .address_space:  global
        .offset:         16
        .size:           8
        .value_kind:     global_buffer
      - .actual_access:  read_only
        .address_space:  global
        .offset:         24
        .size:           8
        .value_kind:     global_buffer
      - .offset:         32
        .size:           8
        .value_kind:     by_value
      - .offset:         40
        .size:           4
        .value_kind:     by_value
      - .offset:         44
        .size:           4
        .value_kind:     by_value
      - .offset:         48
        .size:           8
        .value_kind:     by_value
      - .actual_access:  read_only
        .address_space:  global
        .offset:         56
        .size:           8
        .value_kind:     global_buffer
      - .offset:         64
        .size:           4
        .value_kind:     by_value
    .group_segment_fixed_size: 0
    .kernarg_segment_align: 8
    .kernarg_segment_size: 68
    .language:       OpenCL C
    .language_version:
      - 2
      - 0
    .max_flat_workgroup_size: 64
    .name:           _ZN5aiter37dynamic_per_group_scaled_quant_kernelIDF16_aLi32ELi32ELb1ELi64ELb0EEEvPT0_PfPKT_PKfliilPKii
    .private_segment_fixed_size: 0
    .sgpr_count:     22
    .sgpr_spill_count: 0
    .symbol:         _ZN5aiter37dynamic_per_group_scaled_quant_kernelIDF16_aLi32ELi32ELb1ELi64ELb0EEEvPT0_PfPKT_PKfliilPKii.kd
    .uniform_work_group_size: 1
    .uses_dynamic_stack: false
    .vgpr_count:     52
    .vgpr_spill_count: 0
    .wavefront_size: 64
  - .agpr_count:     0
    .args:
      - .actual_access:  write_only
        .address_space:  global
        .offset:         0
        .size:           8
        .value_kind:     global_buffer
      - .actual_access:  write_only
        .address_space:  global
        .offset:         8
        .size:           8
        .value_kind:     global_buffer
      - .actual_access:  read_only
        .address_space:  global
        .offset:         16
        .size:           8
        .value_kind:     global_buffer
      - .actual_access:  read_only
        .address_space:  global
        .offset:         24
        .size:           8
        .value_kind:     global_buffer
      - .offset:         32
        .size:           8
        .value_kind:     by_value
      - .offset:         40
        .size:           4
        .value_kind:     by_value
      - .offset:         44
        .size:           4
        .value_kind:     by_value
      - .offset:         48
        .size:           8
        .value_kind:     by_value
      - .actual_access:  read_only
        .address_space:  global
        .offset:         56
        .size:           8
        .value_kind:     global_buffer
      - .offset:         64
        .size:           4
        .value_kind:     by_value
    .group_segment_fixed_size: 0
    .kernarg_segment_align: 8
    .kernarg_segment_size: 68
    .language:       OpenCL C
    .language_version:
      - 2
      - 0
    .max_flat_workgroup_size: 64
    .name:           _ZN5aiter37dynamic_per_group_scaled_quant_kernelItaLi32ELi32ELb1ELi64ELb0EEEvPT0_PfPKT_PKfliilPKii
    .private_segment_fixed_size: 0
    .sgpr_count:     22
    .sgpr_spill_count: 0
    .symbol:         _ZN5aiter37dynamic_per_group_scaled_quant_kernelItaLi32ELi32ELb1ELi64ELb0EEEvPT0_PfPKT_PKfliilPKii.kd
    .uniform_work_group_size: 1
    .uses_dynamic_stack: false
    .vgpr_count:     39
    .vgpr_spill_count: 0
    .wavefront_size: 64
  - .agpr_count:     0
    .args:
      - .actual_access:  write_only
        .address_space:  global
        .offset:         0
        .size:           8
        .value_kind:     global_buffer
      - .actual_access:  write_only
        .address_space:  global
        .offset:         8
        .size:           8
        .value_kind:     global_buffer
      - .actual_access:  read_only
        .address_space:  global
        .offset:         16
        .size:           8
        .value_kind:     global_buffer
      - .actual_access:  read_only
        .address_space:  global
        .offset:         24
        .size:           8
        .value_kind:     global_buffer
      - .offset:         32
        .size:           8
        .value_kind:     by_value
      - .offset:         40
        .size:           4
        .value_kind:     by_value
      - .offset:         44
        .size:           4
        .value_kind:     by_value
      - .offset:         48
        .size:           8
        .value_kind:     by_value
      - .actual_access:  read_only
        .address_space:  global
        .offset:         56
        .size:           8
        .value_kind:     global_buffer
      - .offset:         64
        .size:           4
        .value_kind:     by_value
    .group_segment_fixed_size: 0
    .kernarg_segment_align: 8
    .kernarg_segment_size: 68
    .language:       OpenCL C
    .language_version:
      - 2
      - 0
    .max_flat_workgroup_size: 64
    .name:           _ZN5aiter37dynamic_per_group_scaled_quant_kernelIDF16_DB8_Li32ELi32ELb0ELi64ELb0EEEvPT0_PfPKT_PKfliilPKii
    .private_segment_fixed_size: 0
    .sgpr_count:     20
    .sgpr_spill_count: 0
    .symbol:         _ZN5aiter37dynamic_per_group_scaled_quant_kernelIDF16_DB8_Li32ELi32ELb0ELi64ELb0EEEvPT0_PfPKT_PKfliilPKii.kd
    .uniform_work_group_size: 1
    .uses_dynamic_stack: false
    .vgpr_count:     60
    .vgpr_spill_count: 0
    .wavefront_size: 64
  - .agpr_count:     0
    .args:
      - .actual_access:  write_only
        .address_space:  global
        .offset:         0
        .size:           8
        .value_kind:     global_buffer
      - .actual_access:  write_only
        .address_space:  global
        .offset:         8
        .size:           8
        .value_kind:     global_buffer
      - .actual_access:  read_only
        .address_space:  global
        .offset:         16
        .size:           8
        .value_kind:     global_buffer
      - .actual_access:  read_only
        .address_space:  global
        .offset:         24
        .size:           8
        .value_kind:     global_buffer
      - .offset:         32
        .size:           8
        .value_kind:     by_value
      - .offset:         40
        .size:           4
        .value_kind:     by_value
      - .offset:         44
        .size:           4
        .value_kind:     by_value
      - .offset:         48
        .size:           8
        .value_kind:     by_value
      - .actual_access:  read_only
        .address_space:  global
        .offset:         56
        .size:           8
        .value_kind:     global_buffer
      - .offset:         64
        .size:           4
        .value_kind:     by_value
    .group_segment_fixed_size: 0
    .kernarg_segment_align: 8
    .kernarg_segment_size: 68
    .language:       OpenCL C
    .language_version:
      - 2
      - 0
    .max_flat_workgroup_size: 64
    .name:           _ZN5aiter37dynamic_per_group_scaled_quant_kernelItDB8_Li32ELi32ELb0ELi64ELb0EEEvPT0_PfPKT_PKfliilPKii
    .private_segment_fixed_size: 0
    .sgpr_count:     20
    .sgpr_spill_count: 0
    .symbol:         _ZN5aiter37dynamic_per_group_scaled_quant_kernelItDB8_Li32ELi32ELb0ELi64ELb0EEEvPT0_PfPKT_PKfliilPKii.kd
    .uniform_work_group_size: 1
    .uses_dynamic_stack: false
    .vgpr_count:     41
    .vgpr_spill_count: 0
    .wavefront_size: 64
  - .agpr_count:     0
    .args:
      - .actual_access:  write_only
        .address_space:  global
        .offset:         0
        .size:           8
        .value_kind:     global_buffer
      - .actual_access:  write_only
        .address_space:  global
        .offset:         8
        .size:           8
        .value_kind:     global_buffer
      - .actual_access:  read_only
        .address_space:  global
        .offset:         16
        .size:           8
        .value_kind:     global_buffer
      - .actual_access:  read_only
        .address_space:  global
        .offset:         24
        .size:           8
        .value_kind:     global_buffer
      - .offset:         32
        .size:           8
        .value_kind:     by_value
      - .offset:         40
        .size:           4
        .value_kind:     by_value
      - .offset:         44
        .size:           4
        .value_kind:     by_value
      - .offset:         48
        .size:           8
        .value_kind:     by_value
      - .actual_access:  read_only
        .address_space:  global
        .offset:         56
        .size:           8
        .value_kind:     global_buffer
      - .offset:         64
        .size:           4
        .value_kind:     by_value
    .group_segment_fixed_size: 0
    .kernarg_segment_align: 8
    .kernarg_segment_size: 68
    .language:       OpenCL C
    .language_version:
      - 2
      - 0
    .max_flat_workgroup_size: 64
    .name:           _ZN5aiter37dynamic_per_group_scaled_quant_kernelIDF16_aLi32ELi32ELb0ELi64ELb0EEEvPT0_PfPKT_PKfliilPKii
    .private_segment_fixed_size: 0
    .sgpr_count:     20
    .sgpr_spill_count: 0
    .symbol:         _ZN5aiter37dynamic_per_group_scaled_quant_kernelIDF16_aLi32ELi32ELb0ELi64ELb0EEEvPT0_PfPKT_PKfliilPKii.kd
    .uniform_work_group_size: 1
    .uses_dynamic_stack: false
    .vgpr_count:     59
    .vgpr_spill_count: 0
    .wavefront_size: 64
  - .agpr_count:     0
    .args:
      - .actual_access:  write_only
        .address_space:  global
        .offset:         0
        .size:           8
        .value_kind:     global_buffer
      - .actual_access:  write_only
        .address_space:  global
        .offset:         8
        .size:           8
        .value_kind:     global_buffer
      - .actual_access:  read_only
        .address_space:  global
        .offset:         16
        .size:           8
        .value_kind:     global_buffer
      - .actual_access:  read_only
        .address_space:  global
        .offset:         24
        .size:           8
        .value_kind:     global_buffer
      - .offset:         32
        .size:           8
        .value_kind:     by_value
      - .offset:         40
        .size:           4
        .value_kind:     by_value
      - .offset:         44
        .size:           4
        .value_kind:     by_value
      - .offset:         48
        .size:           8
        .value_kind:     by_value
      - .actual_access:  read_only
        .address_space:  global
        .offset:         56
        .size:           8
        .value_kind:     global_buffer
      - .offset:         64
        .size:           4
        .value_kind:     by_value
    .group_segment_fixed_size: 0
    .kernarg_segment_align: 8
    .kernarg_segment_size: 68
    .language:       OpenCL C
    .language_version:
      - 2
      - 0
    .max_flat_workgroup_size: 64
    .name:           _ZN5aiter37dynamic_per_group_scaled_quant_kernelItaLi32ELi32ELb0ELi64ELb0EEEvPT0_PfPKT_PKfliilPKii
    .private_segment_fixed_size: 0
    .sgpr_count:     20
    .sgpr_spill_count: 0
    .symbol:         _ZN5aiter37dynamic_per_group_scaled_quant_kernelItaLi32ELi32ELb0ELi64ELb0EEEvPT0_PfPKT_PKfliilPKii.kd
    .uniform_work_group_size: 1
    .uses_dynamic_stack: false
    .vgpr_count:     39
    .vgpr_spill_count: 0
    .wavefront_size: 64
  - .agpr_count:     0
    .args:
      - .actual_access:  write_only
        .address_space:  global
        .offset:         0
        .size:           8
        .value_kind:     global_buffer
      - .actual_access:  write_only
        .address_space:  global
        .offset:         8
        .size:           8
        .value_kind:     global_buffer
      - .actual_access:  read_only
        .address_space:  global
        .offset:         16
        .size:           8
        .value_kind:     global_buffer
      - .actual_access:  read_only
        .address_space:  global
        .offset:         24
        .size:           8
        .value_kind:     global_buffer
      - .offset:         32
        .size:           8
        .value_kind:     by_value
      - .offset:         40
        .size:           4
        .value_kind:     by_value
      - .offset:         44
        .size:           4
        .value_kind:     by_value
      - .offset:         48
        .size:           8
        .value_kind:     by_value
      - .actual_access:  read_only
        .address_space:  global
        .offset:         56
        .size:           8
        .value_kind:     global_buffer
      - .offset:         64
        .size:           4
        .value_kind:     by_value
    .group_segment_fixed_size: 0
    .kernarg_segment_align: 8
    .kernarg_segment_size: 68
    .language:       OpenCL C
    .language_version:
      - 2
      - 0
    .max_flat_workgroup_size: 64
    .name:           _ZN5aiter37dynamic_per_group_scaled_quant_kernelIDF16_DB8_Li32ELi64ELb1ELi64ELb0EEEvPT0_PfPKT_PKfliilPKii
    .private_segment_fixed_size: 0
    .sgpr_count:     19
    .sgpr_spill_count: 0
    .symbol:         _ZN5aiter37dynamic_per_group_scaled_quant_kernelIDF16_DB8_Li32ELi64ELb1ELi64ELb0EEEvPT0_PfPKT_PKfliilPKii.kd
    .uniform_work_group_size: 1
    .uses_dynamic_stack: false
    .vgpr_count:     55
    .vgpr_spill_count: 0
    .wavefront_size: 64
  - .agpr_count:     0
    .args:
      - .actual_access:  write_only
        .address_space:  global
        .offset:         0
        .size:           8
        .value_kind:     global_buffer
      - .actual_access:  write_only
        .address_space:  global
        .offset:         8
        .size:           8
        .value_kind:     global_buffer
      - .actual_access:  read_only
        .address_space:  global
        .offset:         16
        .size:           8
        .value_kind:     global_buffer
      - .actual_access:  read_only
        .address_space:  global
        .offset:         24
        .size:           8
        .value_kind:     global_buffer
      - .offset:         32
        .size:           8
        .value_kind:     by_value
      - .offset:         40
        .size:           4
        .value_kind:     by_value
      - .offset:         44
        .size:           4
        .value_kind:     by_value
      - .offset:         48
        .size:           8
        .value_kind:     by_value
      - .actual_access:  read_only
        .address_space:  global
        .offset:         56
        .size:           8
        .value_kind:     global_buffer
      - .offset:         64
        .size:           4
        .value_kind:     by_value
    .group_segment_fixed_size: 0
    .kernarg_segment_align: 8
    .kernarg_segment_size: 68
    .language:       OpenCL C
    .language_version:
      - 2
      - 0
    .max_flat_workgroup_size: 64
    .name:           _ZN5aiter37dynamic_per_group_scaled_quant_kernelItDB8_Li32ELi64ELb1ELi64ELb0EEEvPT0_PfPKT_PKfliilPKii
    .private_segment_fixed_size: 0
    .sgpr_count:     19
    .sgpr_spill_count: 0
    .symbol:         _ZN5aiter37dynamic_per_group_scaled_quant_kernelItDB8_Li32ELi64ELb1ELi64ELb0EEEvPT0_PfPKT_PKfliilPKii.kd
    .uniform_work_group_size: 1
    .uses_dynamic_stack: false
    .vgpr_count:     47
    .vgpr_spill_count: 0
    .wavefront_size: 64
  - .agpr_count:     0
    .args:
      - .actual_access:  write_only
        .address_space:  global
        .offset:         0
        .size:           8
        .value_kind:     global_buffer
      - .actual_access:  write_only
        .address_space:  global
        .offset:         8
        .size:           8
        .value_kind:     global_buffer
      - .actual_access:  read_only
        .address_space:  global
        .offset:         16
        .size:           8
        .value_kind:     global_buffer
      - .actual_access:  read_only
        .address_space:  global
        .offset:         24
        .size:           8
        .value_kind:     global_buffer
      - .offset:         32
        .size:           8
        .value_kind:     by_value
      - .offset:         40
        .size:           4
        .value_kind:     by_value
      - .offset:         44
        .size:           4
        .value_kind:     by_value
      - .offset:         48
        .size:           8
        .value_kind:     by_value
      - .actual_access:  read_only
        .address_space:  global
        .offset:         56
        .size:           8
        .value_kind:     global_buffer
      - .offset:         64
        .size:           4
        .value_kind:     by_value
    .group_segment_fixed_size: 0
    .kernarg_segment_align: 8
    .kernarg_segment_size: 68
    .language:       OpenCL C
    .language_version:
      - 2
      - 0
    .max_flat_workgroup_size: 64
    .name:           _ZN5aiter37dynamic_per_group_scaled_quant_kernelIDF16_aLi32ELi64ELb1ELi64ELb0EEEvPT0_PfPKT_PKfliilPKii
    .private_segment_fixed_size: 0
    .sgpr_count:     19
    .sgpr_spill_count: 0
    .symbol:         _ZN5aiter37dynamic_per_group_scaled_quant_kernelIDF16_aLi32ELi64ELb1ELi64ELb0EEEvPT0_PfPKT_PKfliilPKii.kd
    .uniform_work_group_size: 1
    .uses_dynamic_stack: false
    .vgpr_count:     55
    .vgpr_spill_count: 0
    .wavefront_size: 64
  - .agpr_count:     0
    .args:
      - .actual_access:  write_only
        .address_space:  global
        .offset:         0
        .size:           8
        .value_kind:     global_buffer
      - .actual_access:  write_only
        .address_space:  global
        .offset:         8
        .size:           8
        .value_kind:     global_buffer
      - .actual_access:  read_only
        .address_space:  global
        .offset:         16
        .size:           8
        .value_kind:     global_buffer
      - .actual_access:  read_only
        .address_space:  global
        .offset:         24
        .size:           8
        .value_kind:     global_buffer
      - .offset:         32
        .size:           8
        .value_kind:     by_value
      - .offset:         40
        .size:           4
        .value_kind:     by_value
      - .offset:         44
        .size:           4
        .value_kind:     by_value
      - .offset:         48
        .size:           8
        .value_kind:     by_value
      - .actual_access:  read_only
        .address_space:  global
        .offset:         56
        .size:           8
        .value_kind:     global_buffer
      - .offset:         64
        .size:           4
        .value_kind:     by_value
    .group_segment_fixed_size: 0
    .kernarg_segment_align: 8
    .kernarg_segment_size: 68
    .language:       OpenCL C
    .language_version:
      - 2
      - 0
    .max_flat_workgroup_size: 64
    .name:           _ZN5aiter37dynamic_per_group_scaled_quant_kernelItaLi32ELi64ELb1ELi64ELb0EEEvPT0_PfPKT_PKfliilPKii
    .private_segment_fixed_size: 0
    .sgpr_count:     19
    .sgpr_spill_count: 0
    .symbol:         _ZN5aiter37dynamic_per_group_scaled_quant_kernelItaLi32ELi64ELb1ELi64ELb0EEEvPT0_PfPKT_PKfliilPKii.kd
    .uniform_work_group_size: 1
    .uses_dynamic_stack: false
    .vgpr_count:     43
    .vgpr_spill_count: 0
    .wavefront_size: 64
  - .agpr_count:     0
    .args:
      - .actual_access:  write_only
        .address_space:  global
        .offset:         0
        .size:           8
        .value_kind:     global_buffer
      - .actual_access:  write_only
        .address_space:  global
        .offset:         8
        .size:           8
        .value_kind:     global_buffer
      - .actual_access:  read_only
        .address_space:  global
        .offset:         16
        .size:           8
        .value_kind:     global_buffer
      - .actual_access:  read_only
        .address_space:  global
        .offset:         24
        .size:           8
        .value_kind:     global_buffer
      - .offset:         32
        .size:           8
        .value_kind:     by_value
      - .offset:         40
        .size:           4
        .value_kind:     by_value
      - .offset:         44
        .size:           4
        .value_kind:     by_value
      - .offset:         48
        .size:           8
        .value_kind:     by_value
      - .actual_access:  read_only
        .address_space:  global
        .offset:         56
        .size:           8
        .value_kind:     global_buffer
      - .offset:         64
        .size:           4
        .value_kind:     by_value
    .group_segment_fixed_size: 0
    .kernarg_segment_align: 8
    .kernarg_segment_size: 68
    .language:       OpenCL C
    .language_version:
      - 2
      - 0
    .max_flat_workgroup_size: 64
    .name:           _ZN5aiter37dynamic_per_group_scaled_quant_kernelIDF16_DB8_Li32ELi64ELb0ELi64ELb0EEEvPT0_PfPKT_PKfliilPKii
    .private_segment_fixed_size: 0
    .sgpr_count:     18
    .sgpr_spill_count: 0
    .symbol:         _ZN5aiter37dynamic_per_group_scaled_quant_kernelIDF16_DB8_Li32ELi64ELb0ELi64ELb0EEEvPT0_PfPKT_PKfliilPKii.kd
    .uniform_work_group_size: 1
    .uses_dynamic_stack: false
    .vgpr_count:     52
    .vgpr_spill_count: 0
    .wavefront_size: 64
  - .agpr_count:     0
    .args:
      - .actual_access:  write_only
        .address_space:  global
        .offset:         0
        .size:           8
        .value_kind:     global_buffer
      - .actual_access:  write_only
        .address_space:  global
        .offset:         8
        .size:           8
        .value_kind:     global_buffer
      - .actual_access:  read_only
        .address_space:  global
        .offset:         16
        .size:           8
        .value_kind:     global_buffer
      - .actual_access:  read_only
        .address_space:  global
        .offset:         24
        .size:           8
        .value_kind:     global_buffer
      - .offset:         32
        .size:           8
        .value_kind:     by_value
      - .offset:         40
        .size:           4
        .value_kind:     by_value
      - .offset:         44
        .size:           4
        .value_kind:     by_value
      - .offset:         48
        .size:           8
        .value_kind:     by_value
      - .actual_access:  read_only
        .address_space:  global
        .offset:         56
        .size:           8
        .value_kind:     global_buffer
      - .offset:         64
        .size:           4
        .value_kind:     by_value
    .group_segment_fixed_size: 0
    .kernarg_segment_align: 8
    .kernarg_segment_size: 68
    .language:       OpenCL C
    .language_version:
      - 2
      - 0
    .max_flat_workgroup_size: 64
    .name:           _ZN5aiter37dynamic_per_group_scaled_quant_kernelItDB8_Li32ELi64ELb0ELi64ELb0EEEvPT0_PfPKT_PKfliilPKii
    .private_segment_fixed_size: 0
    .sgpr_count:     18
    .sgpr_spill_count: 0
    .symbol:         _ZN5aiter37dynamic_per_group_scaled_quant_kernelItDB8_Li32ELi64ELb0ELi64ELb0EEEvPT0_PfPKT_PKfliilPKii.kd
    .uniform_work_group_size: 1
    .uses_dynamic_stack: false
    .vgpr_count:     45
    .vgpr_spill_count: 0
    .wavefront_size: 64
  - .agpr_count:     0
    .args:
      - .actual_access:  write_only
        .address_space:  global
        .offset:         0
        .size:           8
        .value_kind:     global_buffer
      - .actual_access:  write_only
        .address_space:  global
        .offset:         8
        .size:           8
        .value_kind:     global_buffer
      - .actual_access:  read_only
        .address_space:  global
        .offset:         16
        .size:           8
        .value_kind:     global_buffer
      - .actual_access:  read_only
        .address_space:  global
        .offset:         24
        .size:           8
        .value_kind:     global_buffer
      - .offset:         32
        .size:           8
        .value_kind:     by_value
      - .offset:         40
        .size:           4
        .value_kind:     by_value
      - .offset:         44
        .size:           4
        .value_kind:     by_value
      - .offset:         48
        .size:           8
        .value_kind:     by_value
      - .actual_access:  read_only
        .address_space:  global
        .offset:         56
        .size:           8
        .value_kind:     global_buffer
      - .offset:         64
        .size:           4
        .value_kind:     by_value
    .group_segment_fixed_size: 0
    .kernarg_segment_align: 8
    .kernarg_segment_size: 68
    .language:       OpenCL C
    .language_version:
      - 2
      - 0
    .max_flat_workgroup_size: 64
    .name:           _ZN5aiter37dynamic_per_group_scaled_quant_kernelIDF16_aLi32ELi64ELb0ELi64ELb0EEEvPT0_PfPKT_PKfliilPKii
    .private_segment_fixed_size: 0
    .sgpr_count:     18
    .sgpr_spill_count: 0
    .symbol:         _ZN5aiter37dynamic_per_group_scaled_quant_kernelIDF16_aLi32ELi64ELb0ELi64ELb0EEEvPT0_PfPKT_PKfliilPKii.kd
    .uniform_work_group_size: 1
    .uses_dynamic_stack: false
    .vgpr_count:     52
    .vgpr_spill_count: 0
    .wavefront_size: 64
  - .agpr_count:     0
    .args:
      - .actual_access:  write_only
        .address_space:  global
        .offset:         0
        .size:           8
        .value_kind:     global_buffer
      - .actual_access:  write_only
        .address_space:  global
        .offset:         8
        .size:           8
        .value_kind:     global_buffer
      - .actual_access:  read_only
        .address_space:  global
        .offset:         16
        .size:           8
        .value_kind:     global_buffer
      - .actual_access:  read_only
        .address_space:  global
        .offset:         24
        .size:           8
        .value_kind:     global_buffer
      - .offset:         32
        .size:           8
        .value_kind:     by_value
      - .offset:         40
        .size:           4
        .value_kind:     by_value
      - .offset:         44
        .size:           4
        .value_kind:     by_value
      - .offset:         48
        .size:           8
        .value_kind:     by_value
      - .actual_access:  read_only
        .address_space:  global
        .offset:         56
        .size:           8
        .value_kind:     global_buffer
      - .offset:         64
        .size:           4
        .value_kind:     by_value
    .group_segment_fixed_size: 0
    .kernarg_segment_align: 8
    .kernarg_segment_size: 68
    .language:       OpenCL C
    .language_version:
      - 2
      - 0
    .max_flat_workgroup_size: 64
    .name:           _ZN5aiter37dynamic_per_group_scaled_quant_kernelItaLi32ELi64ELb0ELi64ELb0EEEvPT0_PfPKT_PKfliilPKii
    .private_segment_fixed_size: 0
    .sgpr_count:     18
    .sgpr_spill_count: 0
    .symbol:         _ZN5aiter37dynamic_per_group_scaled_quant_kernelItaLi32ELi64ELb0ELi64ELb0EEEvPT0_PfPKT_PKfliilPKii.kd
    .uniform_work_group_size: 1
    .uses_dynamic_stack: false
    .vgpr_count:     41
    .vgpr_spill_count: 0
    .wavefront_size: 64
  - .agpr_count:     0
    .args:
      - .actual_access:  write_only
        .address_space:  global
        .offset:         0
        .size:           8
        .value_kind:     global_buffer
      - .actual_access:  write_only
        .address_space:  global
        .offset:         8
        .size:           8
        .value_kind:     global_buffer
      - .actual_access:  read_only
        .address_space:  global
        .offset:         16
        .size:           8
        .value_kind:     global_buffer
      - .actual_access:  read_only
        .address_space:  global
        .offset:         24
        .size:           8
        .value_kind:     global_buffer
      - .offset:         32
        .size:           8
        .value_kind:     by_value
      - .offset:         40
        .size:           4
        .value_kind:     by_value
      - .offset:         44
        .size:           4
        .value_kind:     by_value
      - .offset:         48
        .size:           8
        .value_kind:     by_value
      - .actual_access:  read_only
        .address_space:  global
        .offset:         56
        .size:           8
        .value_kind:     global_buffer
      - .offset:         64
        .size:           4
        .value_kind:     by_value
    .group_segment_fixed_size: 0
    .kernarg_segment_align: 8
    .kernarg_segment_size: 68
    .language:       OpenCL C
    .language_version:
      - 2
      - 0
    .max_flat_workgroup_size: 64
    .name:           _ZN5aiter37dynamic_per_group_scaled_quant_kernelIDF16_DB8_Li32ELi128ELb1ELi64ELb0EEEvPT0_PfPKT_PKfliilPKii
    .private_segment_fixed_size: 0
    .sgpr_count:     19
    .sgpr_spill_count: 0
    .symbol:         _ZN5aiter37dynamic_per_group_scaled_quant_kernelIDF16_DB8_Li32ELi128ELb1ELi64ELb0EEEvPT0_PfPKT_PKfliilPKii.kd
    .uniform_work_group_size: 1
    .uses_dynamic_stack: false
    .vgpr_count:     55
    .vgpr_spill_count: 0
    .wavefront_size: 64
  - .agpr_count:     0
    .args:
      - .actual_access:  write_only
        .address_space:  global
        .offset:         0
        .size:           8
        .value_kind:     global_buffer
      - .actual_access:  write_only
        .address_space:  global
        .offset:         8
        .size:           8
        .value_kind:     global_buffer
      - .actual_access:  read_only
        .address_space:  global
        .offset:         16
        .size:           8
        .value_kind:     global_buffer
      - .actual_access:  read_only
        .address_space:  global
        .offset:         24
        .size:           8
        .value_kind:     global_buffer
      - .offset:         32
        .size:           8
        .value_kind:     by_value
      - .offset:         40
        .size:           4
        .value_kind:     by_value
      - .offset:         44
        .size:           4
        .value_kind:     by_value
      - .offset:         48
        .size:           8
        .value_kind:     by_value
      - .actual_access:  read_only
        .address_space:  global
        .offset:         56
        .size:           8
        .value_kind:     global_buffer
      - .offset:         64
        .size:           4
        .value_kind:     by_value
    .group_segment_fixed_size: 0
    .kernarg_segment_align: 8
    .kernarg_segment_size: 68
    .language:       OpenCL C
    .language_version:
      - 2
      - 0
    .max_flat_workgroup_size: 64
    .name:           _ZN5aiter37dynamic_per_group_scaled_quant_kernelItDB8_Li32ELi128ELb1ELi64ELb0EEEvPT0_PfPKT_PKfliilPKii
    .private_segment_fixed_size: 0
    .sgpr_count:     19
    .sgpr_spill_count: 0
    .symbol:         _ZN5aiter37dynamic_per_group_scaled_quant_kernelItDB8_Li32ELi128ELb1ELi64ELb0EEEvPT0_PfPKT_PKfliilPKii.kd
    .uniform_work_group_size: 1
    .uses_dynamic_stack: false
    .vgpr_count:     47
    .vgpr_spill_count: 0
    .wavefront_size: 64
  - .agpr_count:     0
    .args:
      - .actual_access:  write_only
        .address_space:  global
        .offset:         0
        .size:           8
        .value_kind:     global_buffer
      - .actual_access:  write_only
        .address_space:  global
        .offset:         8
        .size:           8
        .value_kind:     global_buffer
      - .actual_access:  read_only
        .address_space:  global
        .offset:         16
        .size:           8
        .value_kind:     global_buffer
      - .actual_access:  read_only
        .address_space:  global
        .offset:         24
        .size:           8
        .value_kind:     global_buffer
      - .offset:         32
        .size:           8
        .value_kind:     by_value
      - .offset:         40
        .size:           4
        .value_kind:     by_value
      - .offset:         44
        .size:           4
        .value_kind:     by_value
      - .offset:         48
        .size:           8
        .value_kind:     by_value
      - .actual_access:  read_only
        .address_space:  global
        .offset:         56
        .size:           8
        .value_kind:     global_buffer
      - .offset:         64
        .size:           4
        .value_kind:     by_value
    .group_segment_fixed_size: 0
    .kernarg_segment_align: 8
    .kernarg_segment_size: 68
    .language:       OpenCL C
    .language_version:
      - 2
      - 0
    .max_flat_workgroup_size: 64
    .name:           _ZN5aiter37dynamic_per_group_scaled_quant_kernelIDF16_aLi32ELi128ELb1ELi64ELb0EEEvPT0_PfPKT_PKfliilPKii
    .private_segment_fixed_size: 0
    .sgpr_count:     19
    .sgpr_spill_count: 0
    .symbol:         _ZN5aiter37dynamic_per_group_scaled_quant_kernelIDF16_aLi32ELi128ELb1ELi64ELb0EEEvPT0_PfPKT_PKfliilPKii.kd
    .uniform_work_group_size: 1
    .uses_dynamic_stack: false
    .vgpr_count:     55
    .vgpr_spill_count: 0
    .wavefront_size: 64
  - .agpr_count:     0
    .args:
      - .actual_access:  write_only
        .address_space:  global
        .offset:         0
        .size:           8
        .value_kind:     global_buffer
      - .actual_access:  write_only
        .address_space:  global
        .offset:         8
        .size:           8
        .value_kind:     global_buffer
      - .actual_access:  read_only
        .address_space:  global
        .offset:         16
        .size:           8
        .value_kind:     global_buffer
      - .actual_access:  read_only
        .address_space:  global
        .offset:         24
        .size:           8
        .value_kind:     global_buffer
      - .offset:         32
        .size:           8
        .value_kind:     by_value
      - .offset:         40
        .size:           4
        .value_kind:     by_value
      - .offset:         44
        .size:           4
        .value_kind:     by_value
      - .offset:         48
        .size:           8
        .value_kind:     by_value
      - .actual_access:  read_only
        .address_space:  global
        .offset:         56
        .size:           8
        .value_kind:     global_buffer
      - .offset:         64
        .size:           4
        .value_kind:     by_value
    .group_segment_fixed_size: 0
    .kernarg_segment_align: 8
    .kernarg_segment_size: 68
    .language:       OpenCL C
    .language_version:
      - 2
      - 0
    .max_flat_workgroup_size: 64
    .name:           _ZN5aiter37dynamic_per_group_scaled_quant_kernelItaLi32ELi128ELb1ELi64ELb0EEEvPT0_PfPKT_PKfliilPKii
    .private_segment_fixed_size: 0
    .sgpr_count:     19
    .sgpr_spill_count: 0
    .symbol:         _ZN5aiter37dynamic_per_group_scaled_quant_kernelItaLi32ELi128ELb1ELi64ELb0EEEvPT0_PfPKT_PKfliilPKii.kd
    .uniform_work_group_size: 1
    .uses_dynamic_stack: false
    .vgpr_count:     43
    .vgpr_spill_count: 0
    .wavefront_size: 64
  - .agpr_count:     0
    .args:
      - .actual_access:  write_only
        .address_space:  global
        .offset:         0
        .size:           8
        .value_kind:     global_buffer
      - .actual_access:  write_only
        .address_space:  global
        .offset:         8
        .size:           8
        .value_kind:     global_buffer
      - .actual_access:  read_only
        .address_space:  global
        .offset:         16
        .size:           8
        .value_kind:     global_buffer
      - .actual_access:  read_only
        .address_space:  global
        .offset:         24
        .size:           8
        .value_kind:     global_buffer
      - .offset:         32
        .size:           8
        .value_kind:     by_value
      - .offset:         40
        .size:           4
        .value_kind:     by_value
      - .offset:         44
        .size:           4
        .value_kind:     by_value
      - .offset:         48
        .size:           8
        .value_kind:     by_value
      - .actual_access:  read_only
        .address_space:  global
        .offset:         56
        .size:           8
        .value_kind:     global_buffer
      - .offset:         64
        .size:           4
        .value_kind:     by_value
    .group_segment_fixed_size: 0
    .kernarg_segment_align: 8
    .kernarg_segment_size: 68
    .language:       OpenCL C
    .language_version:
      - 2
      - 0
    .max_flat_workgroup_size: 64
    .name:           _ZN5aiter37dynamic_per_group_scaled_quant_kernelIDF16_DB8_Li32ELi128ELb0ELi64ELb0EEEvPT0_PfPKT_PKfliilPKii
    .private_segment_fixed_size: 0
    .sgpr_count:     18
    .sgpr_spill_count: 0
    .symbol:         _ZN5aiter37dynamic_per_group_scaled_quant_kernelIDF16_DB8_Li32ELi128ELb0ELi64ELb0EEEvPT0_PfPKT_PKfliilPKii.kd
    .uniform_work_group_size: 1
    .uses_dynamic_stack: false
    .vgpr_count:     52
    .vgpr_spill_count: 0
    .wavefront_size: 64
  - .agpr_count:     0
    .args:
      - .actual_access:  write_only
        .address_space:  global
        .offset:         0
        .size:           8
        .value_kind:     global_buffer
      - .actual_access:  write_only
        .address_space:  global
        .offset:         8
        .size:           8
        .value_kind:     global_buffer
      - .actual_access:  read_only
        .address_space:  global
        .offset:         16
        .size:           8
        .value_kind:     global_buffer
      - .actual_access:  read_only
        .address_space:  global
        .offset:         24
        .size:           8
        .value_kind:     global_buffer
      - .offset:         32
        .size:           8
        .value_kind:     by_value
      - .offset:         40
        .size:           4
        .value_kind:     by_value
      - .offset:         44
        .size:           4
        .value_kind:     by_value
      - .offset:         48
        .size:           8
        .value_kind:     by_value
      - .actual_access:  read_only
        .address_space:  global
        .offset:         56
        .size:           8
        .value_kind:     global_buffer
      - .offset:         64
        .size:           4
        .value_kind:     by_value
    .group_segment_fixed_size: 0
    .kernarg_segment_align: 8
    .kernarg_segment_size: 68
    .language:       OpenCL C
    .language_version:
      - 2
      - 0
    .max_flat_workgroup_size: 64
    .name:           _ZN5aiter37dynamic_per_group_scaled_quant_kernelItDB8_Li32ELi128ELb0ELi64ELb0EEEvPT0_PfPKT_PKfliilPKii
    .private_segment_fixed_size: 0
    .sgpr_count:     18
    .sgpr_spill_count: 0
    .symbol:         _ZN5aiter37dynamic_per_group_scaled_quant_kernelItDB8_Li32ELi128ELb0ELi64ELb0EEEvPT0_PfPKT_PKfliilPKii.kd
    .uniform_work_group_size: 1
    .uses_dynamic_stack: false
    .vgpr_count:     45
    .vgpr_spill_count: 0
    .wavefront_size: 64
  - .agpr_count:     0
    .args:
      - .actual_access:  write_only
        .address_space:  global
        .offset:         0
        .size:           8
        .value_kind:     global_buffer
      - .actual_access:  write_only
        .address_space:  global
        .offset:         8
        .size:           8
        .value_kind:     global_buffer
      - .actual_access:  read_only
        .address_space:  global
        .offset:         16
        .size:           8
        .value_kind:     global_buffer
      - .actual_access:  read_only
        .address_space:  global
        .offset:         24
        .size:           8
        .value_kind:     global_buffer
      - .offset:         32
        .size:           8
        .value_kind:     by_value
      - .offset:         40
        .size:           4
        .value_kind:     by_value
      - .offset:         44
        .size:           4
        .value_kind:     by_value
      - .offset:         48
        .size:           8
        .value_kind:     by_value
      - .actual_access:  read_only
        .address_space:  global
        .offset:         56
        .size:           8
        .value_kind:     global_buffer
      - .offset:         64
        .size:           4
        .value_kind:     by_value
    .group_segment_fixed_size: 0
    .kernarg_segment_align: 8
    .kernarg_segment_size: 68
    .language:       OpenCL C
    .language_version:
      - 2
      - 0
    .max_flat_workgroup_size: 64
    .name:           _ZN5aiter37dynamic_per_group_scaled_quant_kernelIDF16_aLi32ELi128ELb0ELi64ELb0EEEvPT0_PfPKT_PKfliilPKii
    .private_segment_fixed_size: 0
    .sgpr_count:     18
    .sgpr_spill_count: 0
    .symbol:         _ZN5aiter37dynamic_per_group_scaled_quant_kernelIDF16_aLi32ELi128ELb0ELi64ELb0EEEvPT0_PfPKT_PKfliilPKii.kd
    .uniform_work_group_size: 1
    .uses_dynamic_stack: false
    .vgpr_count:     52
    .vgpr_spill_count: 0
    .wavefront_size: 64
  - .agpr_count:     0
    .args:
      - .actual_access:  write_only
        .address_space:  global
        .offset:         0
        .size:           8
        .value_kind:     global_buffer
      - .actual_access:  write_only
        .address_space:  global
        .offset:         8
        .size:           8
        .value_kind:     global_buffer
      - .actual_access:  read_only
        .address_space:  global
        .offset:         16
        .size:           8
        .value_kind:     global_buffer
      - .actual_access:  read_only
        .address_space:  global
        .offset:         24
        .size:           8
        .value_kind:     global_buffer
      - .offset:         32
        .size:           8
        .value_kind:     by_value
      - .offset:         40
        .size:           4
        .value_kind:     by_value
      - .offset:         44
        .size:           4
        .value_kind:     by_value
      - .offset:         48
        .size:           8
        .value_kind:     by_value
      - .actual_access:  read_only
        .address_space:  global
        .offset:         56
        .size:           8
        .value_kind:     global_buffer
      - .offset:         64
        .size:           4
        .value_kind:     by_value
    .group_segment_fixed_size: 0
    .kernarg_segment_align: 8
    .kernarg_segment_size: 68
    .language:       OpenCL C
    .language_version:
      - 2
      - 0
    .max_flat_workgroup_size: 64
    .name:           _ZN5aiter37dynamic_per_group_scaled_quant_kernelItaLi32ELi128ELb0ELi64ELb0EEEvPT0_PfPKT_PKfliilPKii
    .private_segment_fixed_size: 0
    .sgpr_count:     18
    .sgpr_spill_count: 0
    .symbol:         _ZN5aiter37dynamic_per_group_scaled_quant_kernelItaLi32ELi128ELb0ELi64ELb0EEEvPT0_PfPKT_PKfliilPKii.kd
    .uniform_work_group_size: 1
    .uses_dynamic_stack: false
    .vgpr_count:     41
    .vgpr_spill_count: 0
    .wavefront_size: 64
  - .agpr_count:     0
    .args:
      - .actual_access:  write_only
        .address_space:  global
        .offset:         0
        .size:           8
        .value_kind:     global_buffer
      - .actual_access:  write_only
        .address_space:  global
        .offset:         8
        .size:           8
        .value_kind:     global_buffer
      - .actual_access:  read_only
        .address_space:  global
        .offset:         16
        .size:           8
        .value_kind:     global_buffer
      - .actual_access:  read_only
        .address_space:  global
        .offset:         24
        .size:           8
        .value_kind:     global_buffer
      - .offset:         32
        .size:           4
        .value_kind:     by_value
      - .actual_access:  read_only
        .address_space:  global
        .offset:         40
        .size:           8
        .value_kind:     global_buffer
      - .offset:         48
        .size:           4
        .value_kind:     by_value
    .group_segment_fixed_size: 16
    .kernarg_segment_align: 8
    .kernarg_segment_size: 52
    .language:       OpenCL C
    .language_version:
      - 2
      - 0
    .max_flat_workgroup_size: 1024
    .name:           _ZN5aiter37dynamic_per_token_scaled_quant_kernelIDF16_DB8_Li8EEEvPT0_PfPT_PKfiPKii
    .private_segment_fixed_size: 0
    .sgpr_count:     20
    .sgpr_spill_count: 0
    .symbol:         _ZN5aiter37dynamic_per_token_scaled_quant_kernelIDF16_DB8_Li8EEEvPT0_PfPT_PKfiPKii.kd
    .uniform_work_group_size: 1
    .uses_dynamic_stack: false
    .vgpr_count:     14
    .vgpr_spill_count: 0
    .wavefront_size: 64
  - .agpr_count:     0
    .args:
      - .actual_access:  write_only
        .address_space:  global
        .offset:         0
        .size:           8
        .value_kind:     global_buffer
      - .actual_access:  write_only
        .address_space:  global
        .offset:         8
        .size:           8
        .value_kind:     global_buffer
      - .actual_access:  read_only
        .address_space:  global
        .offset:         16
        .size:           8
        .value_kind:     global_buffer
      - .actual_access:  read_only
        .address_space:  global
        .offset:         24
        .size:           8
        .value_kind:     global_buffer
      - .offset:         32
        .size:           4
        .value_kind:     by_value
      - .actual_access:  read_only
        .address_space:  global
        .offset:         40
        .size:           8
        .value_kind:     global_buffer
      - .offset:         48
        .size:           4
        .value_kind:     by_value
    .group_segment_fixed_size: 16
    .kernarg_segment_align: 8
    .kernarg_segment_size: 52
    .language:       OpenCL C
    .language_version:
      - 2
      - 0
    .max_flat_workgroup_size: 1024
    .name:           _ZN5aiter37dynamic_per_token_scaled_quant_kernelItDB8_Li8EEEvPT0_PfPT_PKfiPKii
    .private_segment_fixed_size: 0
    .sgpr_count:     20
    .sgpr_spill_count: 0
    .symbol:         _ZN5aiter37dynamic_per_token_scaled_quant_kernelItDB8_Li8EEEvPT0_PfPT_PKfiPKii.kd
    .uniform_work_group_size: 1
    .uses_dynamic_stack: false
    .vgpr_count:     14
    .vgpr_spill_count: 0
    .wavefront_size: 64
  - .agpr_count:     0
    .args:
      - .actual_access:  write_only
        .address_space:  global
        .offset:         0
        .size:           8
        .value_kind:     global_buffer
      - .actual_access:  write_only
        .address_space:  global
        .offset:         8
        .size:           8
        .value_kind:     global_buffer
      - .actual_access:  read_only
        .address_space:  global
        .offset:         16
        .size:           8
        .value_kind:     global_buffer
      - .actual_access:  read_only
        .address_space:  global
        .offset:         24
        .size:           8
        .value_kind:     global_buffer
      - .offset:         32
        .size:           4
        .value_kind:     by_value
      - .actual_access:  read_only
        .address_space:  global
        .offset:         40
        .size:           8
        .value_kind:     global_buffer
      - .offset:         48
        .size:           4
        .value_kind:     by_value
    .group_segment_fixed_size: 16
    .kernarg_segment_align: 8
    .kernarg_segment_size: 52
    .language:       OpenCL C
    .language_version:
      - 2
      - 0
    .max_flat_workgroup_size: 1024
    .name:           _ZN5aiter37dynamic_per_token_scaled_quant_kernelIDF16_DB8_Li16EEEvPT0_PfPT_PKfiPKii
    .private_segment_fixed_size: 0
    .sgpr_count:     20
    .sgpr_spill_count: 0
    .symbol:         _ZN5aiter37dynamic_per_token_scaled_quant_kernelIDF16_DB8_Li16EEEvPT0_PfPT_PKfiPKii.kd
    .uniform_work_group_size: 1
    .uses_dynamic_stack: false
    .vgpr_count:     25
    .vgpr_spill_count: 0
    .wavefront_size: 64
  - .agpr_count:     0
    .args:
      - .actual_access:  write_only
        .address_space:  global
        .offset:         0
        .size:           8
        .value_kind:     global_buffer
      - .actual_access:  write_only
        .address_space:  global
        .offset:         8
        .size:           8
        .value_kind:     global_buffer
      - .actual_access:  read_only
        .address_space:  global
        .offset:         16
        .size:           8
        .value_kind:     global_buffer
      - .actual_access:  read_only
        .address_space:  global
        .offset:         24
        .size:           8
        .value_kind:     global_buffer
      - .offset:         32
        .size:           4
        .value_kind:     by_value
      - .actual_access:  read_only
        .address_space:  global
        .offset:         40
        .size:           8
        .value_kind:     global_buffer
      - .offset:         48
        .size:           4
        .value_kind:     by_value
    .group_segment_fixed_size: 16
    .kernarg_segment_align: 8
    .kernarg_segment_size: 52
    .language:       OpenCL C
    .language_version:
      - 2
      - 0
    .max_flat_workgroup_size: 1024
    .name:           _ZN5aiter37dynamic_per_token_scaled_quant_kernelItDB8_Li16EEEvPT0_PfPT_PKfiPKii
    .private_segment_fixed_size: 0
    .sgpr_count:     20
    .sgpr_spill_count: 0
    .symbol:         _ZN5aiter37dynamic_per_token_scaled_quant_kernelItDB8_Li16EEEvPT0_PfPT_PKfiPKii.kd
    .uniform_work_group_size: 1
    .uses_dynamic_stack: false
    .vgpr_count:     25
    .vgpr_spill_count: 0
    .wavefront_size: 64
  - .agpr_count:     0
    .args:
      - .actual_access:  write_only
        .address_space:  global
        .offset:         0
        .size:           8
        .value_kind:     global_buffer
      - .actual_access:  write_only
        .address_space:  global
        .offset:         8
        .size:           8
        .value_kind:     global_buffer
      - .actual_access:  read_only
        .address_space:  global
        .offset:         16
        .size:           8
        .value_kind:     global_buffer
      - .actual_access:  read_only
        .address_space:  global
        .offset:         24
        .size:           8
        .value_kind:     global_buffer
      - .offset:         32
        .size:           4
        .value_kind:     by_value
      - .actual_access:  read_only
        .address_space:  global
        .offset:         40
        .size:           8
        .value_kind:     global_buffer
      - .offset:         48
        .size:           4
        .value_kind:     by_value
    .group_segment_fixed_size: 16
    .kernarg_segment_align: 8
    .kernarg_segment_size: 52
    .language:       OpenCL C
    .language_version:
      - 2
      - 0
    .max_flat_workgroup_size: 1024
    .name:           _ZN5aiter37dynamic_per_token_scaled_quant_kernelIDF16_DB8_Li32EEEvPT0_PfPT_PKfiPKii
    .private_segment_fixed_size: 0
    .sgpr_count:     20
    .sgpr_spill_count: 0
    .symbol:         _ZN5aiter37dynamic_per_token_scaled_quant_kernelIDF16_DB8_Li32EEEvPT0_PfPT_PKfiPKii.kd
    .uniform_work_group_size: 1
    .uses_dynamic_stack: false
    .vgpr_count:     48
    .vgpr_spill_count: 0
    .wavefront_size: 64
  - .agpr_count:     0
    .args:
      - .actual_access:  write_only
        .address_space:  global
        .offset:         0
        .size:           8
        .value_kind:     global_buffer
      - .actual_access:  write_only
        .address_space:  global
        .offset:         8
        .size:           8
        .value_kind:     global_buffer
      - .actual_access:  read_only
        .address_space:  global
        .offset:         16
        .size:           8
        .value_kind:     global_buffer
      - .actual_access:  read_only
        .address_space:  global
        .offset:         24
        .size:           8
        .value_kind:     global_buffer
      - .offset:         32
        .size:           4
        .value_kind:     by_value
      - .actual_access:  read_only
        .address_space:  global
        .offset:         40
        .size:           8
        .value_kind:     global_buffer
      - .offset:         48
        .size:           4
        .value_kind:     by_value
    .group_segment_fixed_size: 16
    .kernarg_segment_align: 8
    .kernarg_segment_size: 52
    .language:       OpenCL C
    .language_version:
      - 2
      - 0
    .max_flat_workgroup_size: 1024
    .name:           _ZN5aiter37dynamic_per_token_scaled_quant_kernelItDB8_Li32EEEvPT0_PfPT_PKfiPKii
    .private_segment_fixed_size: 0
    .sgpr_count:     20
    .sgpr_spill_count: 0
    .symbol:         _ZN5aiter37dynamic_per_token_scaled_quant_kernelItDB8_Li32EEEvPT0_PfPT_PKfiPKii.kd
    .uniform_work_group_size: 1
    .uses_dynamic_stack: false
    .vgpr_count:     48
    .vgpr_spill_count: 0
    .wavefront_size: 64
  - .agpr_count:     0
    .args:
      - .actual_access:  write_only
        .address_space:  global
        .offset:         0
        .size:           8
        .value_kind:     global_buffer
      - .actual_access:  write_only
        .address_space:  global
        .offset:         8
        .size:           8
        .value_kind:     global_buffer
      - .actual_access:  read_only
        .address_space:  global
        .offset:         16
        .size:           8
        .value_kind:     global_buffer
      - .actual_access:  read_only
        .address_space:  global
        .offset:         24
        .size:           8
        .value_kind:     global_buffer
      - .offset:         32
        .size:           4
        .value_kind:     by_value
      - .actual_access:  read_only
        .address_space:  global
        .offset:         40
        .size:           8
        .value_kind:     global_buffer
      - .offset:         48
        .size:           4
        .value_kind:     by_value
    .group_segment_fixed_size: 16
    .kernarg_segment_align: 8
    .kernarg_segment_size: 52
    .language:       OpenCL C
    .language_version:
      - 2
      - 0
    .max_flat_workgroup_size: 1024
    .name:           _ZN5aiter37dynamic_per_token_scaled_quant_kernelIDF16_DB8_Li0EEEvPT0_PfPT_PKfiPKii
    .private_segment_fixed_size: 0
    .sgpr_count:     27
    .sgpr_spill_count: 0
    .symbol:         _ZN5aiter37dynamic_per_token_scaled_quant_kernelIDF16_DB8_Li0EEEvPT0_PfPT_PKfiPKii.kd
    .uniform_work_group_size: 1
    .uses_dynamic_stack: false
    .vgpr_count:     34
    .vgpr_spill_count: 0
    .wavefront_size: 64
  - .agpr_count:     0
    .args:
      - .actual_access:  write_only
        .address_space:  global
        .offset:         0
        .size:           8
        .value_kind:     global_buffer
      - .actual_access:  write_only
        .address_space:  global
        .offset:         8
        .size:           8
        .value_kind:     global_buffer
      - .actual_access:  read_only
        .address_space:  global
        .offset:         16
        .size:           8
        .value_kind:     global_buffer
      - .actual_access:  read_only
        .address_space:  global
        .offset:         24
        .size:           8
        .value_kind:     global_buffer
      - .offset:         32
        .size:           4
        .value_kind:     by_value
      - .actual_access:  read_only
        .address_space:  global
        .offset:         40
        .size:           8
        .value_kind:     global_buffer
      - .offset:         48
        .size:           4
        .value_kind:     by_value
    .group_segment_fixed_size: 16
    .kernarg_segment_align: 8
    .kernarg_segment_size: 52
    .language:       OpenCL C
    .language_version:
      - 2
      - 0
    .max_flat_workgroup_size: 1024
    .name:           _ZN5aiter37dynamic_per_token_scaled_quant_kernelItDB8_Li0EEEvPT0_PfPT_PKfiPKii
    .private_segment_fixed_size: 0
    .sgpr_count:     27
    .sgpr_spill_count: 0
    .symbol:         _ZN5aiter37dynamic_per_token_scaled_quant_kernelItDB8_Li0EEEvPT0_PfPT_PKfiPKii.kd
    .uniform_work_group_size: 1
    .uses_dynamic_stack: false
    .vgpr_count:     34
    .vgpr_spill_count: 0
    .wavefront_size: 64
  - .agpr_count:     0
    .args:
      - .actual_access:  write_only
        .address_space:  global
        .offset:         0
        .size:           8
        .value_kind:     global_buffer
      - .actual_access:  write_only
        .address_space:  global
        .offset:         8
        .size:           8
        .value_kind:     global_buffer
      - .actual_access:  read_only
        .address_space:  global
        .offset:         16
        .size:           8
        .value_kind:     global_buffer
      - .actual_access:  read_only
        .address_space:  global
        .offset:         24
        .size:           8
        .value_kind:     global_buffer
      - .offset:         32
        .size:           4
        .value_kind:     by_value
      - .actual_access:  read_only
        .address_space:  global
        .offset:         40
        .size:           8
        .value_kind:     global_buffer
      - .offset:         48
        .size:           4
        .value_kind:     by_value
    .group_segment_fixed_size: 16
    .kernarg_segment_align: 8
    .kernarg_segment_size: 52
    .language:       OpenCL C
    .language_version:
      - 2
      - 0
    .max_flat_workgroup_size: 1024
    .name:           _ZN5aiter37dynamic_per_token_scaled_quant_kernelIDF16_aLi8EEEvPT0_PfPT_PKfiPKii
    .private_segment_fixed_size: 0
    .sgpr_count:     20
    .sgpr_spill_count: 0
    .symbol:         _ZN5aiter37dynamic_per_token_scaled_quant_kernelIDF16_aLi8EEEvPT0_PfPT_PKfiPKii.kd
    .uniform_work_group_size: 1
    .uses_dynamic_stack: false
    .vgpr_count:     13
    .vgpr_spill_count: 0
    .wavefront_size: 64
  - .agpr_count:     0
    .args:
      - .actual_access:  write_only
        .address_space:  global
        .offset:         0
        .size:           8
        .value_kind:     global_buffer
      - .actual_access:  write_only
        .address_space:  global
        .offset:         8
        .size:           8
        .value_kind:     global_buffer
      - .actual_access:  read_only
        .address_space:  global
        .offset:         16
        .size:           8
        .value_kind:     global_buffer
      - .actual_access:  read_only
        .address_space:  global
        .offset:         24
        .size:           8
        .value_kind:     global_buffer
      - .offset:         32
        .size:           4
        .value_kind:     by_value
      - .actual_access:  read_only
        .address_space:  global
        .offset:         40
        .size:           8
        .value_kind:     global_buffer
      - .offset:         48
        .size:           4
        .value_kind:     by_value
    .group_segment_fixed_size: 16
    .kernarg_segment_align: 8
    .kernarg_segment_size: 52
    .language:       OpenCL C
    .language_version:
      - 2
      - 0
    .max_flat_workgroup_size: 1024
    .name:           _ZN5aiter37dynamic_per_token_scaled_quant_kernelItaLi8EEEvPT0_PfPT_PKfiPKii
    .private_segment_fixed_size: 0
    .sgpr_count:     20
    .sgpr_spill_count: 0
    .symbol:         _ZN5aiter37dynamic_per_token_scaled_quant_kernelItaLi8EEEvPT0_PfPT_PKfiPKii.kd
    .uniform_work_group_size: 1
    .uses_dynamic_stack: false
    .vgpr_count:     13
    .vgpr_spill_count: 0
    .wavefront_size: 64
  - .agpr_count:     0
    .args:
      - .actual_access:  write_only
        .address_space:  global
        .offset:         0
        .size:           8
        .value_kind:     global_buffer
      - .actual_access:  write_only
        .address_space:  global
        .offset:         8
        .size:           8
        .value_kind:     global_buffer
      - .actual_access:  read_only
        .address_space:  global
        .offset:         16
        .size:           8
        .value_kind:     global_buffer
      - .actual_access:  read_only
        .address_space:  global
        .offset:         24
        .size:           8
        .value_kind:     global_buffer
      - .offset:         32
        .size:           4
        .value_kind:     by_value
      - .actual_access:  read_only
        .address_space:  global
        .offset:         40
        .size:           8
        .value_kind:     global_buffer
      - .offset:         48
        .size:           4
        .value_kind:     by_value
    .group_segment_fixed_size: 16
    .kernarg_segment_align: 8
    .kernarg_segment_size: 52
    .language:       OpenCL C
    .language_version:
      - 2
      - 0
    .max_flat_workgroup_size: 1024
    .name:           _ZN5aiter37dynamic_per_token_scaled_quant_kernelIDF16_aLi16EEEvPT0_PfPT_PKfiPKii
    .private_segment_fixed_size: 0
    .sgpr_count:     20
    .sgpr_spill_count: 0
    .symbol:         _ZN5aiter37dynamic_per_token_scaled_quant_kernelIDF16_aLi16EEEvPT0_PfPT_PKfiPKii.kd
    .uniform_work_group_size: 1
    .uses_dynamic_stack: false
    .vgpr_count:     24
    .vgpr_spill_count: 0
    .wavefront_size: 64
  - .agpr_count:     0
    .args:
      - .actual_access:  write_only
        .address_space:  global
        .offset:         0
        .size:           8
        .value_kind:     global_buffer
      - .actual_access:  write_only
        .address_space:  global
        .offset:         8
        .size:           8
        .value_kind:     global_buffer
      - .actual_access:  read_only
        .address_space:  global
        .offset:         16
        .size:           8
        .value_kind:     global_buffer
      - .actual_access:  read_only
        .address_space:  global
        .offset:         24
        .size:           8
        .value_kind:     global_buffer
      - .offset:         32
        .size:           4
        .value_kind:     by_value
      - .actual_access:  read_only
        .address_space:  global
        .offset:         40
        .size:           8
        .value_kind:     global_buffer
      - .offset:         48
        .size:           4
        .value_kind:     by_value
    .group_segment_fixed_size: 16
    .kernarg_segment_align: 8
    .kernarg_segment_size: 52
    .language:       OpenCL C
    .language_version:
      - 2
      - 0
    .max_flat_workgroup_size: 1024
    .name:           _ZN5aiter37dynamic_per_token_scaled_quant_kernelItaLi16EEEvPT0_PfPT_PKfiPKii
    .private_segment_fixed_size: 0
    .sgpr_count:     20
    .sgpr_spill_count: 0
    .symbol:         _ZN5aiter37dynamic_per_token_scaled_quant_kernelItaLi16EEEvPT0_PfPT_PKfiPKii.kd
    .uniform_work_group_size: 1
    .uses_dynamic_stack: false
    .vgpr_count:     24
    .vgpr_spill_count: 0
    .wavefront_size: 64
  - .agpr_count:     0
    .args:
      - .actual_access:  write_only
        .address_space:  global
        .offset:         0
        .size:           8
        .value_kind:     global_buffer
      - .actual_access:  write_only
        .address_space:  global
        .offset:         8
        .size:           8
        .value_kind:     global_buffer
      - .actual_access:  read_only
        .address_space:  global
        .offset:         16
        .size:           8
        .value_kind:     global_buffer
      - .actual_access:  read_only
        .address_space:  global
        .offset:         24
        .size:           8
        .value_kind:     global_buffer
      - .offset:         32
        .size:           4
        .value_kind:     by_value
      - .actual_access:  read_only
        .address_space:  global
        .offset:         40
        .size:           8
        .value_kind:     global_buffer
      - .offset:         48
        .size:           4
        .value_kind:     by_value
    .group_segment_fixed_size: 16
    .kernarg_segment_align: 8
    .kernarg_segment_size: 52
    .language:       OpenCL C
    .language_version:
      - 2
      - 0
    .max_flat_workgroup_size: 1024
    .name:           _ZN5aiter37dynamic_per_token_scaled_quant_kernelIDF16_aLi32EEEvPT0_PfPT_PKfiPKii
    .private_segment_fixed_size: 0
    .sgpr_count:     20
    .sgpr_spill_count: 0
    .symbol:         _ZN5aiter37dynamic_per_token_scaled_quant_kernelIDF16_aLi32EEEvPT0_PfPT_PKfiPKii.kd
    .uniform_work_group_size: 1
    .uses_dynamic_stack: false
    .vgpr_count:     48
    .vgpr_spill_count: 0
    .wavefront_size: 64
  - .agpr_count:     0
    .args:
      - .actual_access:  write_only
        .address_space:  global
        .offset:         0
        .size:           8
        .value_kind:     global_buffer
      - .actual_access:  write_only
        .address_space:  global
        .offset:         8
        .size:           8
        .value_kind:     global_buffer
      - .actual_access:  read_only
        .address_space:  global
        .offset:         16
        .size:           8
        .value_kind:     global_buffer
      - .actual_access:  read_only
        .address_space:  global
        .offset:         24
        .size:           8
        .value_kind:     global_buffer
      - .offset:         32
        .size:           4
        .value_kind:     by_value
      - .actual_access:  read_only
        .address_space:  global
        .offset:         40
        .size:           8
        .value_kind:     global_buffer
      - .offset:         48
        .size:           4
        .value_kind:     by_value
    .group_segment_fixed_size: 16
    .kernarg_segment_align: 8
    .kernarg_segment_size: 52
    .language:       OpenCL C
    .language_version:
      - 2
      - 0
    .max_flat_workgroup_size: 1024
    .name:           _ZN5aiter37dynamic_per_token_scaled_quant_kernelItaLi32EEEvPT0_PfPT_PKfiPKii
    .private_segment_fixed_size: 0
    .sgpr_count:     20
    .sgpr_spill_count: 0
    .symbol:         _ZN5aiter37dynamic_per_token_scaled_quant_kernelItaLi32EEEvPT0_PfPT_PKfiPKii.kd
    .uniform_work_group_size: 1
    .uses_dynamic_stack: false
    .vgpr_count:     48
    .vgpr_spill_count: 0
    .wavefront_size: 64
  - .agpr_count:     0
    .args:
      - .actual_access:  write_only
        .address_space:  global
        .offset:         0
        .size:           8
        .value_kind:     global_buffer
      - .actual_access:  write_only
        .address_space:  global
        .offset:         8
        .size:           8
        .value_kind:     global_buffer
      - .actual_access:  read_only
        .address_space:  global
        .offset:         16
        .size:           8
        .value_kind:     global_buffer
      - .actual_access:  read_only
        .address_space:  global
        .offset:         24
        .size:           8
        .value_kind:     global_buffer
      - .offset:         32
        .size:           4
        .value_kind:     by_value
      - .actual_access:  read_only
        .address_space:  global
        .offset:         40
        .size:           8
        .value_kind:     global_buffer
      - .offset:         48
        .size:           4
        .value_kind:     by_value
    .group_segment_fixed_size: 16
    .kernarg_segment_align: 8
    .kernarg_segment_size: 52
    .language:       OpenCL C
    .language_version:
      - 2
      - 0
    .max_flat_workgroup_size: 1024
    .name:           _ZN5aiter37dynamic_per_token_scaled_quant_kernelIDF16_aLi0EEEvPT0_PfPT_PKfiPKii
    .private_segment_fixed_size: 0
    .sgpr_count:     27
    .sgpr_spill_count: 0
    .symbol:         _ZN5aiter37dynamic_per_token_scaled_quant_kernelIDF16_aLi0EEEvPT0_PfPT_PKfiPKii.kd
    .uniform_work_group_size: 1
    .uses_dynamic_stack: false
    .vgpr_count:     32
    .vgpr_spill_count: 0
    .wavefront_size: 64
  - .agpr_count:     0
    .args:
      - .actual_access:  write_only
        .address_space:  global
        .offset:         0
        .size:           8
        .value_kind:     global_buffer
      - .actual_access:  write_only
        .address_space:  global
        .offset:         8
        .size:           8
        .value_kind:     global_buffer
      - .actual_access:  read_only
        .address_space:  global
        .offset:         16
        .size:           8
        .value_kind:     global_buffer
      - .actual_access:  read_only
        .address_space:  global
        .offset:         24
        .size:           8
        .value_kind:     global_buffer
      - .offset:         32
        .size:           4
        .value_kind:     by_value
      - .actual_access:  read_only
        .address_space:  global
        .offset:         40
        .size:           8
        .value_kind:     global_buffer
      - .offset:         48
        .size:           4
        .value_kind:     by_value
    .group_segment_fixed_size: 16
    .kernarg_segment_align: 8
    .kernarg_segment_size: 52
    .language:       OpenCL C
    .language_version:
      - 2
      - 0
    .max_flat_workgroup_size: 1024
    .name:           _ZN5aiter37dynamic_per_token_scaled_quant_kernelItaLi0EEEvPT0_PfPT_PKfiPKii
    .private_segment_fixed_size: 0
    .sgpr_count:     27
    .sgpr_spill_count: 0
    .symbol:         _ZN5aiter37dynamic_per_token_scaled_quant_kernelItaLi0EEEvPT0_PfPT_PKfiPKii.kd
    .uniform_work_group_size: 1
    .uses_dynamic_stack: false
    .vgpr_count:     32
    .vgpr_spill_count: 0
    .wavefront_size: 64
  - .agpr_count:     0
    .args:
      - .actual_access:  write_only
        .address_space:  global
        .offset:         0
        .size:           8
        .value_kind:     global_buffer
      - .actual_access:  write_only
        .address_space:  global
        .offset:         8
        .size:           8
        .value_kind:     global_buffer
      - .actual_access:  read_only
        .address_space:  global
        .offset:         16
        .size:           8
        .value_kind:     global_buffer
      - .actual_access:  read_only
        .address_space:  global
        .offset:         24
        .size:           8
        .value_kind:     global_buffer
      - .offset:         32
        .size:           8
        .value_kind:     by_value
      - .offset:         40
        .size:           4
        .value_kind:     by_value
      - .offset:         44
        .size:           4
        .value_kind:     by_value
      - .offset:         48
        .size:           8
        .value_kind:     by_value
      - .actual_access:  read_only
        .address_space:  global
        .offset:         56
        .size:           8
        .value_kind:     global_buffer
      - .offset:         64
        .size:           4
        .value_kind:     by_value
    .group_segment_fixed_size: 0
    .kernarg_segment_align: 8
    .kernarg_segment_size: 68
    .language:       OpenCL C
    .language_version:
      - 2
      - 0
    .max_flat_workgroup_size: 64
    .name:           _ZN5aiter37dynamic_per_group_scaled_quant_kernelIDF16_DB8_Li32ELi32ELb1ELi64ELb1EEEvPT0_PfPKT_PKfliilPKii
    .private_segment_fixed_size: 0
    .sgpr_count:     24
    .sgpr_spill_count: 0
    .symbol:         _ZN5aiter37dynamic_per_group_scaled_quant_kernelIDF16_DB8_Li32ELi32ELb1ELi64ELb1EEEvPT0_PfPKT_PKfliilPKii.kd
    .uniform_work_group_size: 1
    .uses_dynamic_stack: false
    .vgpr_count:     50
    .vgpr_spill_count: 0
    .wavefront_size: 64
  - .agpr_count:     0
    .args:
      - .actual_access:  write_only
        .address_space:  global
        .offset:         0
        .size:           8
        .value_kind:     global_buffer
      - .actual_access:  write_only
        .address_space:  global
        .offset:         8
        .size:           8
        .value_kind:     global_buffer
      - .actual_access:  read_only
        .address_space:  global
        .offset:         16
        .size:           8
        .value_kind:     global_buffer
      - .actual_access:  read_only
        .address_space:  global
        .offset:         24
        .size:           8
        .value_kind:     global_buffer
      - .offset:         32
        .size:           8
        .value_kind:     by_value
      - .offset:         40
        .size:           4
        .value_kind:     by_value
      - .offset:         44
        .size:           4
        .value_kind:     by_value
      - .offset:         48
        .size:           8
        .value_kind:     by_value
      - .actual_access:  read_only
        .address_space:  global
        .offset:         56
        .size:           8
        .value_kind:     global_buffer
      - .offset:         64
        .size:           4
        .value_kind:     by_value
    .group_segment_fixed_size: 0
    .kernarg_segment_align: 8
    .kernarg_segment_size: 68
    .language:       OpenCL C
    .language_version:
      - 2
      - 0
    .max_flat_workgroup_size: 64
    .name:           _ZN5aiter37dynamic_per_group_scaled_quant_kernelItDB8_Li32ELi32ELb1ELi64ELb1EEEvPT0_PfPKT_PKfliilPKii
    .private_segment_fixed_size: 0
    .sgpr_count:     24
    .sgpr_spill_count: 0
    .symbol:         _ZN5aiter37dynamic_per_group_scaled_quant_kernelItDB8_Li32ELi32ELb1ELi64ELb1EEEvPT0_PfPKT_PKfliilPKii.kd
    .uniform_work_group_size: 1
    .uses_dynamic_stack: false
    .vgpr_count:     41
    .vgpr_spill_count: 0
    .wavefront_size: 64
  - .agpr_count:     0
    .args:
      - .actual_access:  write_only
        .address_space:  global
        .offset:         0
        .size:           8
        .value_kind:     global_buffer
      - .actual_access:  write_only
        .address_space:  global
        .offset:         8
        .size:           8
        .value_kind:     global_buffer
      - .actual_access:  read_only
        .address_space:  global
        .offset:         16
        .size:           8
        .value_kind:     global_buffer
      - .actual_access:  read_only
        .address_space:  global
        .offset:         24
        .size:           8
        .value_kind:     global_buffer
      - .offset:         32
        .size:           8
        .value_kind:     by_value
      - .offset:         40
        .size:           4
        .value_kind:     by_value
      - .offset:         44
        .size:           4
        .value_kind:     by_value
      - .offset:         48
        .size:           8
        .value_kind:     by_value
      - .actual_access:  read_only
        .address_space:  global
        .offset:         56
        .size:           8
        .value_kind:     global_buffer
      - .offset:         64
        .size:           4
        .value_kind:     by_value
    .group_segment_fixed_size: 0
    .kernarg_segment_align: 8
    .kernarg_segment_size: 68
    .language:       OpenCL C
    .language_version:
      - 2
      - 0
    .max_flat_workgroup_size: 64
    .name:           _ZN5aiter37dynamic_per_group_scaled_quant_kernelIDF16_DB8_Li32ELi32ELb0ELi64ELb1EEEvPT0_PfPKT_PKfliilPKii
    .private_segment_fixed_size: 0
    .sgpr_count:     22
    .sgpr_spill_count: 0
    .symbol:         _ZN5aiter37dynamic_per_group_scaled_quant_kernelIDF16_DB8_Li32ELi32ELb0ELi64ELb1EEEvPT0_PfPKT_PKfliilPKii.kd
    .uniform_work_group_size: 1
    .uses_dynamic_stack: false
    .vgpr_count:     59
    .vgpr_spill_count: 0
    .wavefront_size: 64
  - .agpr_count:     0
    .args:
      - .actual_access:  write_only
        .address_space:  global
        .offset:         0
        .size:           8
        .value_kind:     global_buffer
      - .actual_access:  write_only
        .address_space:  global
        .offset:         8
        .size:           8
        .value_kind:     global_buffer
      - .actual_access:  read_only
        .address_space:  global
        .offset:         16
        .size:           8
        .value_kind:     global_buffer
      - .actual_access:  read_only
        .address_space:  global
        .offset:         24
        .size:           8
        .value_kind:     global_buffer
      - .offset:         32
        .size:           8
        .value_kind:     by_value
      - .offset:         40
        .size:           4
        .value_kind:     by_value
      - .offset:         44
        .size:           4
        .value_kind:     by_value
      - .offset:         48
        .size:           8
        .value_kind:     by_value
      - .actual_access:  read_only
        .address_space:  global
        .offset:         56
        .size:           8
        .value_kind:     global_buffer
      - .offset:         64
        .size:           4
        .value_kind:     by_value
    .group_segment_fixed_size: 0
    .kernarg_segment_align: 8
    .kernarg_segment_size: 68
    .language:       OpenCL C
    .language_version:
      - 2
      - 0
    .max_flat_workgroup_size: 64
    .name:           _ZN5aiter37dynamic_per_group_scaled_quant_kernelItDB8_Li32ELi32ELb0ELi64ELb1EEEvPT0_PfPKT_PKfliilPKii
    .private_segment_fixed_size: 0
    .sgpr_count:     22
    .sgpr_spill_count: 0
    .symbol:         _ZN5aiter37dynamic_per_group_scaled_quant_kernelItDB8_Li32ELi32ELb0ELi64ELb1EEEvPT0_PfPKT_PKfliilPKii.kd
    .uniform_work_group_size: 1
    .uses_dynamic_stack: false
    .vgpr_count:     41
    .vgpr_spill_count: 0
    .wavefront_size: 64
  - .agpr_count:     0
    .args:
      - .actual_access:  write_only
        .address_space:  global
        .offset:         0
        .size:           8
        .value_kind:     global_buffer
      - .actual_access:  write_only
        .address_space:  global
        .offset:         8
        .size:           8
        .value_kind:     global_buffer
      - .actual_access:  read_only
        .address_space:  global
        .offset:         16
        .size:           8
        .value_kind:     global_buffer
      - .actual_access:  read_only
        .address_space:  global
        .offset:         24
        .size:           8
        .value_kind:     global_buffer
      - .offset:         32
        .size:           8
        .value_kind:     by_value
      - .offset:         40
        .size:           4
        .value_kind:     by_value
      - .offset:         44
        .size:           4
        .value_kind:     by_value
      - .offset:         48
        .size:           8
        .value_kind:     by_value
      - .actual_access:  read_only
        .address_space:  global
        .offset:         56
        .size:           8
        .value_kind:     global_buffer
      - .offset:         64
        .size:           4
        .value_kind:     by_value
    .group_segment_fixed_size: 0
    .kernarg_segment_align: 8
    .kernarg_segment_size: 68
    .language:       OpenCL C
    .language_version:
      - 2
      - 0
    .max_flat_workgroup_size: 64
    .name:           _ZN5aiter37dynamic_per_group_scaled_quant_kernelIDF16_DB8_Li32ELi64ELb1ELi64ELb1EEEvPT0_PfPKT_PKfliilPKii
    .private_segment_fixed_size: 0
    .sgpr_count:     20
    .sgpr_spill_count: 0
    .symbol:         _ZN5aiter37dynamic_per_group_scaled_quant_kernelIDF16_DB8_Li32ELi64ELb1ELi64ELb1EEEvPT0_PfPKT_PKfliilPKii.kd
    .uniform_work_group_size: 1
    .uses_dynamic_stack: false
    .vgpr_count:     54
    .vgpr_spill_count: 0
    .wavefront_size: 64
  - .agpr_count:     0
    .args:
      - .actual_access:  write_only
        .address_space:  global
        .offset:         0
        .size:           8
        .value_kind:     global_buffer
      - .actual_access:  write_only
        .address_space:  global
        .offset:         8
        .size:           8
        .value_kind:     global_buffer
      - .actual_access:  read_only
        .address_space:  global
        .offset:         16
        .size:           8
        .value_kind:     global_buffer
      - .actual_access:  read_only
        .address_space:  global
        .offset:         24
        .size:           8
        .value_kind:     global_buffer
      - .offset:         32
        .size:           8
        .value_kind:     by_value
      - .offset:         40
        .size:           4
        .value_kind:     by_value
      - .offset:         44
        .size:           4
        .value_kind:     by_value
      - .offset:         48
        .size:           8
        .value_kind:     by_value
      - .actual_access:  read_only
        .address_space:  global
        .offset:         56
        .size:           8
        .value_kind:     global_buffer
      - .offset:         64
        .size:           4
        .value_kind:     by_value
    .group_segment_fixed_size: 0
    .kernarg_segment_align: 8
    .kernarg_segment_size: 68
    .language:       OpenCL C
    .language_version:
      - 2
      - 0
    .max_flat_workgroup_size: 64
    .name:           _ZN5aiter37dynamic_per_group_scaled_quant_kernelItDB8_Li32ELi64ELb1ELi64ELb1EEEvPT0_PfPKT_PKfliilPKii
    .private_segment_fixed_size: 0
    .sgpr_count:     20
    .sgpr_spill_count: 0
    .symbol:         _ZN5aiter37dynamic_per_group_scaled_quant_kernelItDB8_Li32ELi64ELb1ELi64ELb1EEEvPT0_PfPKT_PKfliilPKii.kd
    .uniform_work_group_size: 1
    .uses_dynamic_stack: false
    .vgpr_count:     48
    .vgpr_spill_count: 0
    .wavefront_size: 64
  - .agpr_count:     0
    .args:
      - .actual_access:  write_only
        .address_space:  global
        .offset:         0
        .size:           8
        .value_kind:     global_buffer
      - .actual_access:  write_only
        .address_space:  global
        .offset:         8
        .size:           8
        .value_kind:     global_buffer
      - .actual_access:  read_only
        .address_space:  global
        .offset:         16
        .size:           8
        .value_kind:     global_buffer
      - .actual_access:  read_only
        .address_space:  global
        .offset:         24
        .size:           8
        .value_kind:     global_buffer
      - .offset:         32
        .size:           8
        .value_kind:     by_value
      - .offset:         40
        .size:           4
        .value_kind:     by_value
      - .offset:         44
        .size:           4
        .value_kind:     by_value
      - .offset:         48
        .size:           8
        .value_kind:     by_value
      - .actual_access:  read_only
        .address_space:  global
        .offset:         56
        .size:           8
        .value_kind:     global_buffer
      - .offset:         64
        .size:           4
        .value_kind:     by_value
    .group_segment_fixed_size: 0
    .kernarg_segment_align: 8
    .kernarg_segment_size: 68
    .language:       OpenCL C
    .language_version:
      - 2
      - 0
    .max_flat_workgroup_size: 64
    .name:           _ZN5aiter37dynamic_per_group_scaled_quant_kernelIDF16_DB8_Li32ELi64ELb0ELi64ELb1EEEvPT0_PfPKT_PKfliilPKii
    .private_segment_fixed_size: 0
    .sgpr_count:     18
    .sgpr_spill_count: 0
    .symbol:         _ZN5aiter37dynamic_per_group_scaled_quant_kernelIDF16_DB8_Li32ELi64ELb0ELi64ELb1EEEvPT0_PfPKT_PKfliilPKii.kd
    .uniform_work_group_size: 1
    .uses_dynamic_stack: false
    .vgpr_count:     52
    .vgpr_spill_count: 0
    .wavefront_size: 64
  - .agpr_count:     0
    .args:
      - .actual_access:  write_only
        .address_space:  global
        .offset:         0
        .size:           8
        .value_kind:     global_buffer
      - .actual_access:  write_only
        .address_space:  global
        .offset:         8
        .size:           8
        .value_kind:     global_buffer
      - .actual_access:  read_only
        .address_space:  global
        .offset:         16
        .size:           8
        .value_kind:     global_buffer
      - .actual_access:  read_only
        .address_space:  global
        .offset:         24
        .size:           8
        .value_kind:     global_buffer
      - .offset:         32
        .size:           8
        .value_kind:     by_value
      - .offset:         40
        .size:           4
        .value_kind:     by_value
      - .offset:         44
        .size:           4
        .value_kind:     by_value
      - .offset:         48
        .size:           8
        .value_kind:     by_value
      - .actual_access:  read_only
        .address_space:  global
        .offset:         56
        .size:           8
        .value_kind:     global_buffer
      - .offset:         64
        .size:           4
        .value_kind:     by_value
    .group_segment_fixed_size: 0
    .kernarg_segment_align: 8
    .kernarg_segment_size: 68
    .language:       OpenCL C
    .language_version:
      - 2
      - 0
    .max_flat_workgroup_size: 64
    .name:           _ZN5aiter37dynamic_per_group_scaled_quant_kernelItDB8_Li32ELi64ELb0ELi64ELb1EEEvPT0_PfPKT_PKfliilPKii
    .private_segment_fixed_size: 0
    .sgpr_count:     18
    .sgpr_spill_count: 0
    .symbol:         _ZN5aiter37dynamic_per_group_scaled_quant_kernelItDB8_Li32ELi64ELb0ELi64ELb1EEEvPT0_PfPKT_PKfliilPKii.kd
    .uniform_work_group_size: 1
    .uses_dynamic_stack: false
    .vgpr_count:     45
    .vgpr_spill_count: 0
    .wavefront_size: 64
  - .agpr_count:     0
    .args:
      - .actual_access:  write_only
        .address_space:  global
        .offset:         0
        .size:           8
        .value_kind:     global_buffer
      - .actual_access:  write_only
        .address_space:  global
        .offset:         8
        .size:           8
        .value_kind:     global_buffer
      - .actual_access:  read_only
        .address_space:  global
        .offset:         16
        .size:           8
        .value_kind:     global_buffer
      - .actual_access:  read_only
        .address_space:  global
        .offset:         24
        .size:           8
        .value_kind:     global_buffer
      - .offset:         32
        .size:           8
        .value_kind:     by_value
      - .offset:         40
        .size:           4
        .value_kind:     by_value
      - .offset:         44
        .size:           4
        .value_kind:     by_value
      - .offset:         48
        .size:           8
        .value_kind:     by_value
      - .actual_access:  read_only
        .address_space:  global
        .offset:         56
        .size:           8
        .value_kind:     global_buffer
      - .offset:         64
        .size:           4
        .value_kind:     by_value
    .group_segment_fixed_size: 0
    .kernarg_segment_align: 8
    .kernarg_segment_size: 68
    .language:       OpenCL C
    .language_version:
      - 2
      - 0
    .max_flat_workgroup_size: 64
    .name:           _ZN5aiter37dynamic_per_group_scaled_quant_kernelIDF16_DB8_Li32ELi128ELb1ELi64ELb1EEEvPT0_PfPKT_PKfliilPKii
    .private_segment_fixed_size: 0
    .sgpr_count:     20
    .sgpr_spill_count: 0
    .symbol:         _ZN5aiter37dynamic_per_group_scaled_quant_kernelIDF16_DB8_Li32ELi128ELb1ELi64ELb1EEEvPT0_PfPKT_PKfliilPKii.kd
    .uniform_work_group_size: 1
    .uses_dynamic_stack: false
    .vgpr_count:     53
    .vgpr_spill_count: 0
    .wavefront_size: 64
  - .agpr_count:     0
    .args:
      - .actual_access:  write_only
        .address_space:  global
        .offset:         0
        .size:           8
        .value_kind:     global_buffer
      - .actual_access:  write_only
        .address_space:  global
        .offset:         8
        .size:           8
        .value_kind:     global_buffer
      - .actual_access:  read_only
        .address_space:  global
        .offset:         16
        .size:           8
        .value_kind:     global_buffer
      - .actual_access:  read_only
        .address_space:  global
        .offset:         24
        .size:           8
        .value_kind:     global_buffer
      - .offset:         32
        .size:           8
        .value_kind:     by_value
      - .offset:         40
        .size:           4
        .value_kind:     by_value
      - .offset:         44
        .size:           4
        .value_kind:     by_value
      - .offset:         48
        .size:           8
        .value_kind:     by_value
      - .actual_access:  read_only
        .address_space:  global
        .offset:         56
        .size:           8
        .value_kind:     global_buffer
      - .offset:         64
        .size:           4
        .value_kind:     by_value
    .group_segment_fixed_size: 0
    .kernarg_segment_align: 8
    .kernarg_segment_size: 68
    .language:       OpenCL C
    .language_version:
      - 2
      - 0
    .max_flat_workgroup_size: 64
    .name:           _ZN5aiter37dynamic_per_group_scaled_quant_kernelItDB8_Li32ELi128ELb1ELi64ELb1EEEvPT0_PfPKT_PKfliilPKii
    .private_segment_fixed_size: 0
    .sgpr_count:     20
    .sgpr_spill_count: 0
    .symbol:         _ZN5aiter37dynamic_per_group_scaled_quant_kernelItDB8_Li32ELi128ELb1ELi64ELb1EEEvPT0_PfPKT_PKfliilPKii.kd
    .uniform_work_group_size: 1
    .uses_dynamic_stack: false
    .vgpr_count:     47
    .vgpr_spill_count: 0
    .wavefront_size: 64
  - .agpr_count:     0
    .args:
      - .actual_access:  write_only
        .address_space:  global
        .offset:         0
        .size:           8
        .value_kind:     global_buffer
      - .actual_access:  write_only
        .address_space:  global
        .offset:         8
        .size:           8
        .value_kind:     global_buffer
      - .actual_access:  read_only
        .address_space:  global
        .offset:         16
        .size:           8
        .value_kind:     global_buffer
      - .actual_access:  read_only
        .address_space:  global
        .offset:         24
        .size:           8
        .value_kind:     global_buffer
      - .offset:         32
        .size:           8
        .value_kind:     by_value
      - .offset:         40
        .size:           4
        .value_kind:     by_value
      - .offset:         44
        .size:           4
        .value_kind:     by_value
      - .offset:         48
        .size:           8
        .value_kind:     by_value
      - .actual_access:  read_only
        .address_space:  global
        .offset:         56
        .size:           8
        .value_kind:     global_buffer
      - .offset:         64
        .size:           4
        .value_kind:     by_value
    .group_segment_fixed_size: 0
    .kernarg_segment_align: 8
    .kernarg_segment_size: 68
    .language:       OpenCL C
    .language_version:
      - 2
      - 0
    .max_flat_workgroup_size: 64
    .name:           _ZN5aiter37dynamic_per_group_scaled_quant_kernelIDF16_DB8_Li32ELi128ELb0ELi64ELb1EEEvPT0_PfPKT_PKfliilPKii
    .private_segment_fixed_size: 0
    .sgpr_count:     18
    .sgpr_spill_count: 0
    .symbol:         _ZN5aiter37dynamic_per_group_scaled_quant_kernelIDF16_DB8_Li32ELi128ELb0ELi64ELb1EEEvPT0_PfPKT_PKfliilPKii.kd
    .uniform_work_group_size: 1
    .uses_dynamic_stack: false
    .vgpr_count:     52
    .vgpr_spill_count: 0
    .wavefront_size: 64
  - .agpr_count:     0
    .args:
      - .actual_access:  write_only
        .address_space:  global
        .offset:         0
        .size:           8
        .value_kind:     global_buffer
      - .actual_access:  write_only
        .address_space:  global
        .offset:         8
        .size:           8
        .value_kind:     global_buffer
      - .actual_access:  read_only
        .address_space:  global
        .offset:         16
        .size:           8
        .value_kind:     global_buffer
      - .actual_access:  read_only
        .address_space:  global
        .offset:         24
        .size:           8
        .value_kind:     global_buffer
      - .offset:         32
        .size:           8
        .value_kind:     by_value
      - .offset:         40
        .size:           4
        .value_kind:     by_value
      - .offset:         44
        .size:           4
        .value_kind:     by_value
      - .offset:         48
        .size:           8
        .value_kind:     by_value
      - .actual_access:  read_only
        .address_space:  global
        .offset:         56
        .size:           8
        .value_kind:     global_buffer
      - .offset:         64
        .size:           4
        .value_kind:     by_value
    .group_segment_fixed_size: 0
    .kernarg_segment_align: 8
    .kernarg_segment_size: 68
    .language:       OpenCL C
    .language_version:
      - 2
      - 0
    .max_flat_workgroup_size: 64
    .name:           _ZN5aiter37dynamic_per_group_scaled_quant_kernelItDB8_Li32ELi128ELb0ELi64ELb1EEEvPT0_PfPKT_PKfliilPKii
    .private_segment_fixed_size: 0
    .sgpr_count:     18
    .sgpr_spill_count: 0
    .symbol:         _ZN5aiter37dynamic_per_group_scaled_quant_kernelItDB8_Li32ELi128ELb0ELi64ELb1EEEvPT0_PfPKT_PKfliilPKii.kd
    .uniform_work_group_size: 1
    .uses_dynamic_stack: false
    .vgpr_count:     45
    .vgpr_spill_count: 0
    .wavefront_size: 64
  - .agpr_count:     0
    .args:
      - .actual_access:  write_only
        .address_space:  global
        .offset:         0
        .size:           8
        .value_kind:     global_buffer
      - .actual_access:  write_only
        .address_space:  global
        .offset:         8
        .size:           8
        .value_kind:     global_buffer
      - .actual_access:  read_only
        .address_space:  global
        .offset:         16
        .size:           8
        .value_kind:     global_buffer
      - .actual_access:  read_only
        .address_space:  global
        .offset:         24
        .size:           8
        .value_kind:     global_buffer
      - .actual_access:  read_only
        .address_space:  global
        .offset:         32
        .size:           8
        .value_kind:     global_buffer
      - .address_space:  global
        .offset:         40
        .size:           8
        .value_kind:     global_buffer
      - .offset:         48
        .size:           4
        .value_kind:     by_value
      - .offset:         52
        .size:           4
        .value_kind:     by_value
      - .actual_access:  read_only
        .address_space:  global
        .offset:         56
        .size:           8
        .value_kind:     global_buffer
      - .offset:         64
        .size:           4
        .value_kind:     by_value
      - .offset:         68
        .size:           4
        .value_kind:     by_value
      - .offset:         72
        .size:           4
        .value_kind:     by_value
      - .offset:         76
        .size:           4
        .value_kind:     by_value
      - .offset:         80
        .size:           4
        .value_kind:     by_value
      - .offset:         84
        .size:           4
        .value_kind:     by_value
      - .offset:         88
        .size:           4
        .value_kind:     by_value
      - .offset:         92
        .size:           4
        .value_kind:     by_value
    .group_segment_fixed_size: 4112
    .kernarg_segment_align: 8
    .kernarg_segment_size: 96
    .language:       OpenCL C
    .language_version:
      - 2
      - 0
    .max_flat_workgroup_size: 1024
    .name:           _ZN5aiter36smooth_per_token_scaled_quant_kernelIDF16_DB8_Li256ELi8ELb1ELb1ELb1ELi1024EEEvPT0_PfPT_S4_PiS7_iiPKiiiiiiiii
    .private_segment_fixed_size: 0
    .sgpr_count:     55
    .sgpr_spill_count: 0
    .symbol:         _ZN5aiter36smooth_per_token_scaled_quant_kernelIDF16_DB8_Li256ELi8ELb1ELb1ELb1ELi1024EEEvPT0_PfPT_S4_PiS7_iiPKiiiiiiiii.kd
    .uniform_work_group_size: 1
    .uses_dynamic_stack: false
    .vgpr_count:     30
    .vgpr_spill_count: 0
    .wavefront_size: 64
  - .agpr_count:     0
    .args:
      - .actual_access:  write_only
        .address_space:  global
        .offset:         0
        .size:           8
        .value_kind:     global_buffer
      - .actual_access:  write_only
        .address_space:  global
        .offset:         8
        .size:           8
        .value_kind:     global_buffer
      - .actual_access:  read_only
        .address_space:  global
        .offset:         16
        .size:           8
        .value_kind:     global_buffer
      - .actual_access:  read_only
        .address_space:  global
        .offset:         24
        .size:           8
        .value_kind:     global_buffer
      - .actual_access:  read_only
        .address_space:  global
        .offset:         32
        .size:           8
        .value_kind:     global_buffer
      - .address_space:  global
        .offset:         40
        .size:           8
        .value_kind:     global_buffer
      - .offset:         48
        .size:           4
        .value_kind:     by_value
      - .offset:         52
        .size:           4
        .value_kind:     by_value
      - .actual_access:  read_only
        .address_space:  global
        .offset:         56
        .size:           8
        .value_kind:     global_buffer
      - .offset:         64
        .size:           4
        .value_kind:     by_value
      - .offset:         68
        .size:           4
        .value_kind:     by_value
      - .offset:         72
        .size:           4
        .value_kind:     by_value
      - .offset:         76
        .size:           4
        .value_kind:     by_value
      - .offset:         80
        .size:           4
        .value_kind:     by_value
      - .offset:         84
        .size:           4
        .value_kind:     by_value
      - .offset:         88
        .size:           4
        .value_kind:     by_value
      - .offset:         92
        .size:           4
        .value_kind:     by_value
    .group_segment_fixed_size: 4112
    .kernarg_segment_align: 8
    .kernarg_segment_size: 96
    .language:       OpenCL C
    .language_version:
      - 2
      - 0
    .max_flat_workgroup_size: 1024
    .name:           _ZN5aiter36smooth_per_token_scaled_quant_kernelItDB8_Li256ELi8ELb1ELb1ELb1ELi1024EEEvPT0_PfPT_S4_PiS7_iiPKiiiiiiiii
    .private_segment_fixed_size: 0
    .sgpr_count:     55
    .sgpr_spill_count: 0
    .symbol:         _ZN5aiter36smooth_per_token_scaled_quant_kernelItDB8_Li256ELi8ELb1ELb1ELb1ELi1024EEEvPT0_PfPT_S4_PiS7_iiPKiiiiiiiii.kd
    .uniform_work_group_size: 1
    .uses_dynamic_stack: false
    .vgpr_count:     30
    .vgpr_spill_count: 0
    .wavefront_size: 64
  - .agpr_count:     0
    .args:
      - .actual_access:  write_only
        .address_space:  global
        .offset:         0
        .size:           8
        .value_kind:     global_buffer
      - .actual_access:  write_only
        .address_space:  global
        .offset:         8
        .size:           8
        .value_kind:     global_buffer
      - .actual_access:  read_only
        .address_space:  global
        .offset:         16
        .size:           8
        .value_kind:     global_buffer
      - .actual_access:  read_only
        .address_space:  global
        .offset:         24
        .size:           8
        .value_kind:     global_buffer
      - .actual_access:  read_only
        .address_space:  global
        .offset:         32
        .size:           8
        .value_kind:     global_buffer
      - .actual_access:  read_only
        .address_space:  global
        .offset:         40
        .size:           8
        .value_kind:     global_buffer
      - .offset:         48
        .size:           4
        .value_kind:     by_value
      - .offset:         52
        .size:           4
        .value_kind:     by_value
      - .actual_access:  read_only
        .address_space:  global
        .offset:         56
        .size:           8
        .value_kind:     global_buffer
      - .offset:         64
        .size:           4
        .value_kind:     by_value
      - .offset:         68
        .size:           4
        .value_kind:     by_value
      - .offset:         72
        .size:           4
        .value_kind:     by_value
      - .offset:         76
        .size:           4
        .value_kind:     by_value
      - .offset:         80
        .size:           4
        .value_kind:     by_value
      - .offset:         84
        .size:           4
        .value_kind:     by_value
      - .offset:         88
        .size:           4
        .value_kind:     by_value
      - .offset:         92
        .size:           4
        .value_kind:     by_value
    .group_segment_fixed_size: 16
    .kernarg_segment_align: 8
    .kernarg_segment_size: 96
    .language:       OpenCL C
    .language_version:
      - 2
      - 0
    .max_flat_workgroup_size: 1024
    .name:           _ZN5aiter36smooth_per_token_scaled_quant_kernelIDF16_DB8_Li256ELi8ELb1ELb1ELb0ELi1024EEEvPT0_PfPT_S4_PiS7_iiPKiiiiiiiii
    .private_segment_fixed_size: 0
    .sgpr_count:     55
    .sgpr_spill_count: 0
    .symbol:         _ZN5aiter36smooth_per_token_scaled_quant_kernelIDF16_DB8_Li256ELi8ELb1ELb1ELb0ELi1024EEEvPT0_PfPT_S4_PiS7_iiPKiiiiiiiii.kd
    .uniform_work_group_size: 1
    .uses_dynamic_stack: false
    .vgpr_count:     30
    .vgpr_spill_count: 0
    .wavefront_size: 64
  - .agpr_count:     0
    .args:
      - .actual_access:  write_only
        .address_space:  global
        .offset:         0
        .size:           8
        .value_kind:     global_buffer
      - .actual_access:  write_only
        .address_space:  global
        .offset:         8
        .size:           8
        .value_kind:     global_buffer
      - .actual_access:  read_only
        .address_space:  global
        .offset:         16
        .size:           8
        .value_kind:     global_buffer
      - .actual_access:  read_only
        .address_space:  global
        .offset:         24
        .size:           8
        .value_kind:     global_buffer
      - .actual_access:  read_only
        .address_space:  global
        .offset:         32
        .size:           8
        .value_kind:     global_buffer
      - .actual_access:  read_only
        .address_space:  global
        .offset:         40
        .size:           8
        .value_kind:     global_buffer
      - .offset:         48
        .size:           4
        .value_kind:     by_value
      - .offset:         52
        .size:           4
        .value_kind:     by_value
      - .actual_access:  read_only
        .address_space:  global
        .offset:         56
        .size:           8
        .value_kind:     global_buffer
      - .offset:         64
        .size:           4
        .value_kind:     by_value
      - .offset:         68
        .size:           4
        .value_kind:     by_value
      - .offset:         72
        .size:           4
        .value_kind:     by_value
      - .offset:         76
        .size:           4
        .value_kind:     by_value
      - .offset:         80
        .size:           4
        .value_kind:     by_value
      - .offset:         84
        .size:           4
        .value_kind:     by_value
      - .offset:         88
        .size:           4
        .value_kind:     by_value
      - .offset:         92
        .size:           4
        .value_kind:     by_value
    .group_segment_fixed_size: 16
    .kernarg_segment_align: 8
    .kernarg_segment_size: 96
    .language:       OpenCL C
    .language_version:
      - 2
      - 0
    .max_flat_workgroup_size: 1024
    .name:           _ZN5aiter36smooth_per_token_scaled_quant_kernelItDB8_Li256ELi8ELb1ELb1ELb0ELi1024EEEvPT0_PfPT_S4_PiS7_iiPKiiiiiiiii
    .private_segment_fixed_size: 0
    .sgpr_count:     55
    .sgpr_spill_count: 0
    .symbol:         _ZN5aiter36smooth_per_token_scaled_quant_kernelItDB8_Li256ELi8ELb1ELb1ELb0ELi1024EEEvPT0_PfPT_S4_PiS7_iiPKiiiiiiiii.kd
    .uniform_work_group_size: 1
    .uses_dynamic_stack: false
    .vgpr_count:     30
    .vgpr_spill_count: 0
    .wavefront_size: 64
  - .agpr_count:     0
    .args:
      - .actual_access:  write_only
        .address_space:  global
        .offset:         0
        .size:           8
        .value_kind:     global_buffer
      - .actual_access:  write_only
        .address_space:  global
        .offset:         8
        .size:           8
        .value_kind:     global_buffer
      - .actual_access:  read_only
        .address_space:  global
        .offset:         16
        .size:           8
        .value_kind:     global_buffer
      - .actual_access:  read_only
        .address_space:  global
        .offset:         24
        .size:           8
        .value_kind:     global_buffer
      - .actual_access:  read_only
        .address_space:  global
        .offset:         32
        .size:           8
        .value_kind:     global_buffer
      - .actual_access:  read_only
        .address_space:  global
        .offset:         40
        .size:           8
        .value_kind:     global_buffer
      - .offset:         48
        .size:           4
        .value_kind:     by_value
      - .offset:         52
        .size:           4
        .value_kind:     by_value
      - .actual_access:  read_only
        .address_space:  global
        .offset:         56
        .size:           8
        .value_kind:     global_buffer
      - .offset:         64
        .size:           4
        .value_kind:     by_value
      - .offset:         68
        .size:           4
        .value_kind:     by_value
      - .offset:         72
        .size:           4
        .value_kind:     by_value
      - .offset:         76
        .size:           4
        .value_kind:     by_value
      - .offset:         80
        .size:           4
        .value_kind:     by_value
      - .offset:         84
        .size:           4
        .value_kind:     by_value
      - .offset:         88
        .size:           4
        .value_kind:     by_value
      - .offset:         92
        .size:           4
        .value_kind:     by_value
    .group_segment_fixed_size: 16
    .kernarg_segment_align: 8
    .kernarg_segment_size: 96
    .language:       OpenCL C
    .language_version:
      - 2
      - 0
    .max_flat_workgroup_size: 1024
    .name:           _ZN5aiter36smooth_per_token_scaled_quant_kernelIDF16_DB8_Li256ELi8ELb1ELb0ELb0ELi1024EEEvPT0_PfPT_S4_PiS7_iiPKiiiiiiiii
    .private_segment_fixed_size: 0
    .sgpr_count:     49
    .sgpr_spill_count: 0
    .symbol:         _ZN5aiter36smooth_per_token_scaled_quant_kernelIDF16_DB8_Li256ELi8ELb1ELb0ELb0ELi1024EEEvPT0_PfPT_S4_PiS7_iiPKiiiiiiiii.kd
    .uniform_work_group_size: 1
    .uses_dynamic_stack: false
    .vgpr_count:     28
    .vgpr_spill_count: 0
    .wavefront_size: 64
  - .agpr_count:     0
    .args:
      - .actual_access:  write_only
        .address_space:  global
        .offset:         0
        .size:           8
        .value_kind:     global_buffer
      - .actual_access:  write_only
        .address_space:  global
        .offset:         8
        .size:           8
        .value_kind:     global_buffer
      - .actual_access:  read_only
        .address_space:  global
        .offset:         16
        .size:           8
        .value_kind:     global_buffer
      - .actual_access:  read_only
        .address_space:  global
        .offset:         24
        .size:           8
        .value_kind:     global_buffer
      - .actual_access:  read_only
        .address_space:  global
        .offset:         32
        .size:           8
        .value_kind:     global_buffer
      - .actual_access:  read_only
        .address_space:  global
        .offset:         40
        .size:           8
        .value_kind:     global_buffer
      - .offset:         48
        .size:           4
        .value_kind:     by_value
      - .offset:         52
        .size:           4
        .value_kind:     by_value
      - .actual_access:  read_only
        .address_space:  global
        .offset:         56
        .size:           8
        .value_kind:     global_buffer
      - .offset:         64
        .size:           4
        .value_kind:     by_value
      - .offset:         68
        .size:           4
        .value_kind:     by_value
      - .offset:         72
        .size:           4
        .value_kind:     by_value
      - .offset:         76
        .size:           4
        .value_kind:     by_value
      - .offset:         80
        .size:           4
        .value_kind:     by_value
      - .offset:         84
        .size:           4
        .value_kind:     by_value
      - .offset:         88
        .size:           4
        .value_kind:     by_value
      - .offset:         92
        .size:           4
        .value_kind:     by_value
    .group_segment_fixed_size: 16
    .kernarg_segment_align: 8
    .kernarg_segment_size: 96
    .language:       OpenCL C
    .language_version:
      - 2
      - 0
    .max_flat_workgroup_size: 1024
    .name:           _ZN5aiter36smooth_per_token_scaled_quant_kernelItDB8_Li256ELi8ELb1ELb0ELb0ELi1024EEEvPT0_PfPT_S4_PiS7_iiPKiiiiiiiii
    .private_segment_fixed_size: 0
    .sgpr_count:     49
    .sgpr_spill_count: 0
    .symbol:         _ZN5aiter36smooth_per_token_scaled_quant_kernelItDB8_Li256ELi8ELb1ELb0ELb0ELi1024EEEvPT0_PfPT_S4_PiS7_iiPKiiiiiiiii.kd
    .uniform_work_group_size: 1
    .uses_dynamic_stack: false
    .vgpr_count:     28
    .vgpr_spill_count: 0
    .wavefront_size: 64
  - .agpr_count:     0
    .args:
      - .actual_access:  write_only
        .address_space:  global
        .offset:         0
        .size:           8
        .value_kind:     global_buffer
      - .actual_access:  write_only
        .address_space:  global
        .offset:         8
        .size:           8
        .value_kind:     global_buffer
      - .actual_access:  read_only
        .address_space:  global
        .offset:         16
        .size:           8
        .value_kind:     global_buffer
      - .actual_access:  read_only
        .address_space:  global
        .offset:         24
        .size:           8
        .value_kind:     global_buffer
      - .actual_access:  read_only
        .address_space:  global
        .offset:         32
        .size:           8
        .value_kind:     global_buffer
      - .address_space:  global
        .offset:         40
        .size:           8
        .value_kind:     global_buffer
      - .offset:         48
        .size:           4
        .value_kind:     by_value
      - .offset:         52
        .size:           4
        .value_kind:     by_value
      - .actual_access:  read_only
        .address_space:  global
        .offset:         56
        .size:           8
        .value_kind:     global_buffer
      - .offset:         64
        .size:           4
        .value_kind:     by_value
      - .offset:         68
        .size:           4
        .value_kind:     by_value
      - .offset:         72
        .size:           4
        .value_kind:     by_value
      - .offset:         76
        .size:           4
        .value_kind:     by_value
      - .offset:         80
        .size:           4
        .value_kind:     by_value
      - .offset:         84
        .size:           4
        .value_kind:     by_value
      - .offset:         88
        .size:           4
        .value_kind:     by_value
      - .offset:         92
        .size:           4
        .value_kind:     by_value
    .group_segment_fixed_size: 4112
    .kernarg_segment_align: 8
    .kernarg_segment_size: 96
    .language:       OpenCL C
    .language_version:
      - 2
      - 0
    .max_flat_workgroup_size: 1024
    .name:           _ZN5aiter36smooth_per_token_scaled_quant_kernelIDF16_DB8_Li256ELi8ELb0ELb1ELb1ELi1024EEEvPT0_PfPT_S4_PiS7_iiPKiiiiiiiii
    .private_segment_fixed_size: 0
    .sgpr_count:     51
    .sgpr_spill_count: 0
    .symbol:         _ZN5aiter36smooth_per_token_scaled_quant_kernelIDF16_DB8_Li256ELi8ELb0ELb1ELb1ELi1024EEEvPT0_PfPT_S4_PiS7_iiPKiiiiiiiii.kd
    .uniform_work_group_size: 1
    .uses_dynamic_stack: false
    .vgpr_count:     30
    .vgpr_spill_count: 0
    .wavefront_size: 64
  - .agpr_count:     0
    .args:
      - .actual_access:  write_only
        .address_space:  global
        .offset:         0
        .size:           8
        .value_kind:     global_buffer
      - .actual_access:  write_only
        .address_space:  global
        .offset:         8
        .size:           8
        .value_kind:     global_buffer
      - .actual_access:  read_only
        .address_space:  global
        .offset:         16
        .size:           8
        .value_kind:     global_buffer
      - .actual_access:  read_only
        .address_space:  global
        .offset:         24
        .size:           8
        .value_kind:     global_buffer
      - .actual_access:  read_only
        .address_space:  global
        .offset:         32
        .size:           8
        .value_kind:     global_buffer
      - .address_space:  global
        .offset:         40
        .size:           8
        .value_kind:     global_buffer
      - .offset:         48
        .size:           4
        .value_kind:     by_value
      - .offset:         52
        .size:           4
        .value_kind:     by_value
      - .actual_access:  read_only
        .address_space:  global
        .offset:         56
        .size:           8
        .value_kind:     global_buffer
      - .offset:         64
        .size:           4
        .value_kind:     by_value
      - .offset:         68
        .size:           4
        .value_kind:     by_value
      - .offset:         72
        .size:           4
        .value_kind:     by_value
      - .offset:         76
        .size:           4
        .value_kind:     by_value
      - .offset:         80
        .size:           4
        .value_kind:     by_value
      - .offset:         84
        .size:           4
        .value_kind:     by_value
      - .offset:         88
        .size:           4
        .value_kind:     by_value
      - .offset:         92
        .size:           4
        .value_kind:     by_value
    .group_segment_fixed_size: 4112
    .kernarg_segment_align: 8
    .kernarg_segment_size: 96
    .language:       OpenCL C
    .language_version:
      - 2
      - 0
    .max_flat_workgroup_size: 1024
    .name:           _ZN5aiter36smooth_per_token_scaled_quant_kernelItDB8_Li256ELi8ELb0ELb1ELb1ELi1024EEEvPT0_PfPT_S4_PiS7_iiPKiiiiiiiii
    .private_segment_fixed_size: 0
    .sgpr_count:     51
    .sgpr_spill_count: 0
    .symbol:         _ZN5aiter36smooth_per_token_scaled_quant_kernelItDB8_Li256ELi8ELb0ELb1ELb1ELi1024EEEvPT0_PfPT_S4_PiS7_iiPKiiiiiiiii.kd
    .uniform_work_group_size: 1
    .uses_dynamic_stack: false
    .vgpr_count:     30
    .vgpr_spill_count: 0
    .wavefront_size: 64
  - .agpr_count:     0
    .args:
      - .actual_access:  write_only
        .address_space:  global
        .offset:         0
        .size:           8
        .value_kind:     global_buffer
      - .actual_access:  write_only
        .address_space:  global
        .offset:         8
        .size:           8
        .value_kind:     global_buffer
      - .actual_access:  read_only
        .address_space:  global
        .offset:         16
        .size:           8
        .value_kind:     global_buffer
      - .actual_access:  read_only
        .address_space:  global
        .offset:         24
        .size:           8
        .value_kind:     global_buffer
      - .actual_access:  read_only
        .address_space:  global
        .offset:         32
        .size:           8
        .value_kind:     global_buffer
      - .actual_access:  read_only
        .address_space:  global
        .offset:         40
        .size:           8
        .value_kind:     global_buffer
      - .offset:         48
        .size:           4
        .value_kind:     by_value
      - .offset:         52
        .size:           4
        .value_kind:     by_value
      - .actual_access:  read_only
        .address_space:  global
        .offset:         56
        .size:           8
        .value_kind:     global_buffer
      - .offset:         64
        .size:           4
        .value_kind:     by_value
      - .offset:         68
        .size:           4
        .value_kind:     by_value
      - .offset:         72
        .size:           4
        .value_kind:     by_value
      - .offset:         76
        .size:           4
        .value_kind:     by_value
      - .offset:         80
        .size:           4
        .value_kind:     by_value
      - .offset:         84
        .size:           4
        .value_kind:     by_value
      - .offset:         88
        .size:           4
        .value_kind:     by_value
      - .offset:         92
        .size:           4
        .value_kind:     by_value
    .group_segment_fixed_size: 16
    .kernarg_segment_align: 8
    .kernarg_segment_size: 96
    .language:       OpenCL C
    .language_version:
      - 2
      - 0
    .max_flat_workgroup_size: 1024
    .name:           _ZN5aiter36smooth_per_token_scaled_quant_kernelIDF16_DB8_Li256ELi8ELb0ELb1ELb0ELi1024EEEvPT0_PfPT_S4_PiS7_iiPKiiiiiiiii
    .private_segment_fixed_size: 0
    .sgpr_count:     51
    .sgpr_spill_count: 0
    .symbol:         _ZN5aiter36smooth_per_token_scaled_quant_kernelIDF16_DB8_Li256ELi8ELb0ELb1ELb0ELi1024EEEvPT0_PfPT_S4_PiS7_iiPKiiiiiiiii.kd
    .uniform_work_group_size: 1
    .uses_dynamic_stack: false
    .vgpr_count:     30
    .vgpr_spill_count: 0
    .wavefront_size: 64
  - .agpr_count:     0
    .args:
      - .actual_access:  write_only
        .address_space:  global
        .offset:         0
        .size:           8
        .value_kind:     global_buffer
      - .actual_access:  write_only
        .address_space:  global
        .offset:         8
        .size:           8
        .value_kind:     global_buffer
      - .actual_access:  read_only
        .address_space:  global
        .offset:         16
        .size:           8
        .value_kind:     global_buffer
      - .actual_access:  read_only
        .address_space:  global
        .offset:         24
        .size:           8
        .value_kind:     global_buffer
      - .actual_access:  read_only
        .address_space:  global
        .offset:         32
        .size:           8
        .value_kind:     global_buffer
      - .actual_access:  read_only
        .address_space:  global
        .offset:         40
        .size:           8
        .value_kind:     global_buffer
      - .offset:         48
        .size:           4
        .value_kind:     by_value
      - .offset:         52
        .size:           4
        .value_kind:     by_value
      - .actual_access:  read_only
        .address_space:  global
        .offset:         56
        .size:           8
        .value_kind:     global_buffer
      - .offset:         64
        .size:           4
        .value_kind:     by_value
      - .offset:         68
        .size:           4
        .value_kind:     by_value
      - .offset:         72
        .size:           4
        .value_kind:     by_value
      - .offset:         76
        .size:           4
        .value_kind:     by_value
      - .offset:         80
        .size:           4
        .value_kind:     by_value
      - .offset:         84
        .size:           4
        .value_kind:     by_value
      - .offset:         88
        .size:           4
        .value_kind:     by_value
      - .offset:         92
        .size:           4
        .value_kind:     by_value
    .group_segment_fixed_size: 16
    .kernarg_segment_align: 8
    .kernarg_segment_size: 96
    .language:       OpenCL C
    .language_version:
      - 2
      - 0
    .max_flat_workgroup_size: 1024
    .name:           _ZN5aiter36smooth_per_token_scaled_quant_kernelItDB8_Li256ELi8ELb0ELb1ELb0ELi1024EEEvPT0_PfPT_S4_PiS7_iiPKiiiiiiiii
    .private_segment_fixed_size: 0
    .sgpr_count:     51
    .sgpr_spill_count: 0
    .symbol:         _ZN5aiter36smooth_per_token_scaled_quant_kernelItDB8_Li256ELi8ELb0ELb1ELb0ELi1024EEEvPT0_PfPT_S4_PiS7_iiPKiiiiiiiii.kd
    .uniform_work_group_size: 1
    .uses_dynamic_stack: false
    .vgpr_count:     30
    .vgpr_spill_count: 0
    .wavefront_size: 64
  - .agpr_count:     0
    .args:
      - .actual_access:  write_only
        .address_space:  global
        .offset:         0
        .size:           8
        .value_kind:     global_buffer
      - .actual_access:  write_only
        .address_space:  global
        .offset:         8
        .size:           8
        .value_kind:     global_buffer
      - .actual_access:  read_only
        .address_space:  global
        .offset:         16
        .size:           8
        .value_kind:     global_buffer
      - .actual_access:  read_only
        .address_space:  global
        .offset:         24
        .size:           8
        .value_kind:     global_buffer
      - .actual_access:  read_only
        .address_space:  global
        .offset:         32
        .size:           8
        .value_kind:     global_buffer
      - .actual_access:  read_only
        .address_space:  global
        .offset:         40
        .size:           8
        .value_kind:     global_buffer
      - .offset:         48
        .size:           4
        .value_kind:     by_value
      - .offset:         52
        .size:           4
        .value_kind:     by_value
      - .actual_access:  read_only
        .address_space:  global
        .offset:         56
        .size:           8
        .value_kind:     global_buffer
      - .offset:         64
        .size:           4
        .value_kind:     by_value
      - .offset:         68
        .size:           4
        .value_kind:     by_value
      - .offset:         72
        .size:           4
        .value_kind:     by_value
      - .offset:         76
        .size:           4
        .value_kind:     by_value
      - .offset:         80
        .size:           4
        .value_kind:     by_value
      - .offset:         84
        .size:           4
        .value_kind:     by_value
      - .offset:         88
        .size:           4
        .value_kind:     by_value
      - .offset:         92
        .size:           4
        .value_kind:     by_value
    .group_segment_fixed_size: 16
    .kernarg_segment_align: 8
    .kernarg_segment_size: 96
    .language:       OpenCL C
    .language_version:
      - 2
      - 0
    .max_flat_workgroup_size: 1024
    .name:           _ZN5aiter36smooth_per_token_scaled_quant_kernelIDF16_DB8_Li256ELi8ELb0ELb0ELb0ELi1024EEEvPT0_PfPT_S4_PiS7_iiPKiiiiiiiii
    .private_segment_fixed_size: 0
    .sgpr_count:     45
    .sgpr_spill_count: 0
    .symbol:         _ZN5aiter36smooth_per_token_scaled_quant_kernelIDF16_DB8_Li256ELi8ELb0ELb0ELb0ELi1024EEEvPT0_PfPT_S4_PiS7_iiPKiiiiiiiii.kd
    .uniform_work_group_size: 1
    .uses_dynamic_stack: false
    .vgpr_count:     28
    .vgpr_spill_count: 0
    .wavefront_size: 64
  - .agpr_count:     0
    .args:
      - .actual_access:  write_only
        .address_space:  global
        .offset:         0
        .size:           8
        .value_kind:     global_buffer
      - .actual_access:  write_only
        .address_space:  global
        .offset:         8
        .size:           8
        .value_kind:     global_buffer
      - .actual_access:  read_only
        .address_space:  global
        .offset:         16
        .size:           8
        .value_kind:     global_buffer
      - .actual_access:  read_only
        .address_space:  global
        .offset:         24
        .size:           8
        .value_kind:     global_buffer
      - .actual_access:  read_only
        .address_space:  global
        .offset:         32
        .size:           8
        .value_kind:     global_buffer
      - .actual_access:  read_only
        .address_space:  global
        .offset:         40
        .size:           8
        .value_kind:     global_buffer
      - .offset:         48
        .size:           4
        .value_kind:     by_value
      - .offset:         52
        .size:           4
        .value_kind:     by_value
      - .actual_access:  read_only
        .address_space:  global
        .offset:         56
        .size:           8
        .value_kind:     global_buffer
      - .offset:         64
        .size:           4
        .value_kind:     by_value
      - .offset:         68
        .size:           4
        .value_kind:     by_value
      - .offset:         72
        .size:           4
        .value_kind:     by_value
      - .offset:         76
        .size:           4
        .value_kind:     by_value
      - .offset:         80
        .size:           4
        .value_kind:     by_value
      - .offset:         84
        .size:           4
        .value_kind:     by_value
      - .offset:         88
        .size:           4
        .value_kind:     by_value
      - .offset:         92
        .size:           4
        .value_kind:     by_value
    .group_segment_fixed_size: 16
    .kernarg_segment_align: 8
    .kernarg_segment_size: 96
    .language:       OpenCL C
    .language_version:
      - 2
      - 0
    .max_flat_workgroup_size: 1024
    .name:           _ZN5aiter36smooth_per_token_scaled_quant_kernelItDB8_Li256ELi8ELb0ELb0ELb0ELi1024EEEvPT0_PfPT_S4_PiS7_iiPKiiiiiiiii
    .private_segment_fixed_size: 0
    .sgpr_count:     45
    .sgpr_spill_count: 0
    .symbol:         _ZN5aiter36smooth_per_token_scaled_quant_kernelItDB8_Li256ELi8ELb0ELb0ELb0ELi1024EEEvPT0_PfPT_S4_PiS7_iiPKiiiiiiiii.kd
    .uniform_work_group_size: 1
    .uses_dynamic_stack: false
    .vgpr_count:     28
    .vgpr_spill_count: 0
    .wavefront_size: 64
  - .agpr_count:     0
    .args:
      - .actual_access:  write_only
        .address_space:  global
        .offset:         0
        .size:           8
        .value_kind:     global_buffer
      - .actual_access:  write_only
        .address_space:  global
        .offset:         8
        .size:           8
        .value_kind:     global_buffer
      - .actual_access:  read_only
        .address_space:  global
        .offset:         16
        .size:           8
        .value_kind:     global_buffer
      - .actual_access:  read_only
        .address_space:  global
        .offset:         24
        .size:           8
        .value_kind:     global_buffer
      - .actual_access:  read_only
        .address_space:  global
        .offset:         32
        .size:           8
        .value_kind:     global_buffer
      - .address_space:  global
        .offset:         40
        .size:           8
        .value_kind:     global_buffer
      - .offset:         48
        .size:           4
        .value_kind:     by_value
      - .offset:         52
        .size:           4
        .value_kind:     by_value
      - .actual_access:  read_only
        .address_space:  global
        .offset:         56
        .size:           8
        .value_kind:     global_buffer
      - .offset:         64
        .size:           4
        .value_kind:     by_value
      - .offset:         68
        .size:           4
        .value_kind:     by_value
      - .offset:         72
        .size:           4
        .value_kind:     by_value
      - .offset:         76
        .size:           4
        .value_kind:     by_value
      - .offset:         80
        .size:           4
        .value_kind:     by_value
      - .offset:         84
        .size:           4
        .value_kind:     by_value
      - .offset:         88
        .size:           4
        .value_kind:     by_value
      - .offset:         92
        .size:           4
        .value_kind:     by_value
    .group_segment_fixed_size: 4112
    .kernarg_segment_align: 8
    .kernarg_segment_size: 96
    .language:       OpenCL C
    .language_version:
      - 2
      - 0
    .max_flat_workgroup_size: 1024
    .name:           _ZN5aiter36smooth_per_token_scaled_quant_kernelIDF16_DB8_Li256ELi16ELb1ELb1ELb1ELi1024EEEvPT0_PfPT_S4_PiS7_iiPKiiiiiiiii
    .private_segment_fixed_size: 0
    .sgpr_count:     55
    .sgpr_spill_count: 0
    .symbol:         _ZN5aiter36smooth_per_token_scaled_quant_kernelIDF16_DB8_Li256ELi16ELb1ELb1ELb1ELi1024EEEvPT0_PfPT_S4_PiS7_iiPKiiiiiiiii.kd
    .uniform_work_group_size: 1
    .uses_dynamic_stack: false
    .vgpr_count:     50
    .vgpr_spill_count: 0
    .wavefront_size: 64
  - .agpr_count:     0
    .args:
      - .actual_access:  write_only
        .address_space:  global
        .offset:         0
        .size:           8
        .value_kind:     global_buffer
      - .actual_access:  write_only
        .address_space:  global
        .offset:         8
        .size:           8
        .value_kind:     global_buffer
      - .actual_access:  read_only
        .address_space:  global
        .offset:         16
        .size:           8
        .value_kind:     global_buffer
      - .actual_access:  read_only
        .address_space:  global
        .offset:         24
        .size:           8
        .value_kind:     global_buffer
      - .actual_access:  read_only
        .address_space:  global
        .offset:         32
        .size:           8
        .value_kind:     global_buffer
      - .address_space:  global
        .offset:         40
        .size:           8
        .value_kind:     global_buffer
      - .offset:         48
        .size:           4
        .value_kind:     by_value
      - .offset:         52
        .size:           4
        .value_kind:     by_value
      - .actual_access:  read_only
        .address_space:  global
        .offset:         56
        .size:           8
        .value_kind:     global_buffer
      - .offset:         64
        .size:           4
        .value_kind:     by_value
      - .offset:         68
        .size:           4
        .value_kind:     by_value
      - .offset:         72
        .size:           4
        .value_kind:     by_value
      - .offset:         76
        .size:           4
        .value_kind:     by_value
      - .offset:         80
        .size:           4
        .value_kind:     by_value
      - .offset:         84
        .size:           4
        .value_kind:     by_value
      - .offset:         88
        .size:           4
        .value_kind:     by_value
      - .offset:         92
        .size:           4
        .value_kind:     by_value
    .group_segment_fixed_size: 4112
    .kernarg_segment_align: 8
    .kernarg_segment_size: 96
    .language:       OpenCL C
    .language_version:
      - 2
      - 0
    .max_flat_workgroup_size: 1024
    .name:           _ZN5aiter36smooth_per_token_scaled_quant_kernelItDB8_Li256ELi16ELb1ELb1ELb1ELi1024EEEvPT0_PfPT_S4_PiS7_iiPKiiiiiiiii
    .private_segment_fixed_size: 0
    .sgpr_count:     55
    .sgpr_spill_count: 0
    .symbol:         _ZN5aiter36smooth_per_token_scaled_quant_kernelItDB8_Li256ELi16ELb1ELb1ELb1ELi1024EEEvPT0_PfPT_S4_PiS7_iiPKiiiiiiiii.kd
    .uniform_work_group_size: 1
    .uses_dynamic_stack: false
    .vgpr_count:     50
    .vgpr_spill_count: 0
    .wavefront_size: 64
  - .agpr_count:     0
    .args:
      - .actual_access:  write_only
        .address_space:  global
        .offset:         0
        .size:           8
        .value_kind:     global_buffer
      - .actual_access:  write_only
        .address_space:  global
        .offset:         8
        .size:           8
        .value_kind:     global_buffer
      - .actual_access:  read_only
        .address_space:  global
        .offset:         16
        .size:           8
        .value_kind:     global_buffer
      - .actual_access:  read_only
        .address_space:  global
        .offset:         24
        .size:           8
        .value_kind:     global_buffer
      - .actual_access:  read_only
        .address_space:  global
        .offset:         32
        .size:           8
        .value_kind:     global_buffer
      - .actual_access:  read_only
        .address_space:  global
        .offset:         40
        .size:           8
        .value_kind:     global_buffer
      - .offset:         48
        .size:           4
        .value_kind:     by_value
      - .offset:         52
        .size:           4
        .value_kind:     by_value
      - .actual_access:  read_only
        .address_space:  global
        .offset:         56
        .size:           8
        .value_kind:     global_buffer
      - .offset:         64
        .size:           4
        .value_kind:     by_value
      - .offset:         68
        .size:           4
        .value_kind:     by_value
      - .offset:         72
        .size:           4
        .value_kind:     by_value
      - .offset:         76
        .size:           4
        .value_kind:     by_value
      - .offset:         80
        .size:           4
        .value_kind:     by_value
      - .offset:         84
        .size:           4
        .value_kind:     by_value
      - .offset:         88
        .size:           4
        .value_kind:     by_value
      - .offset:         92
        .size:           4
        .value_kind:     by_value
    .group_segment_fixed_size: 16
    .kernarg_segment_align: 8
    .kernarg_segment_size: 96
    .language:       OpenCL C
    .language_version:
      - 2
      - 0
    .max_flat_workgroup_size: 1024
    .name:           _ZN5aiter36smooth_per_token_scaled_quant_kernelIDF16_DB8_Li256ELi16ELb1ELb1ELb0ELi1024EEEvPT0_PfPT_S4_PiS7_iiPKiiiiiiiii
    .private_segment_fixed_size: 0
    .sgpr_count:     56
    .sgpr_spill_count: 0
    .symbol:         _ZN5aiter36smooth_per_token_scaled_quant_kernelIDF16_DB8_Li256ELi16ELb1ELb1ELb0ELi1024EEEvPT0_PfPT_S4_PiS7_iiPKiiiiiiiii.kd
    .uniform_work_group_size: 1
    .uses_dynamic_stack: false
    .vgpr_count:     82
    .vgpr_spill_count: 0
    .wavefront_size: 64
  - .agpr_count:     0
    .args:
      - .actual_access:  write_only
        .address_space:  global
        .offset:         0
        .size:           8
        .value_kind:     global_buffer
      - .actual_access:  write_only
        .address_space:  global
        .offset:         8
        .size:           8
        .value_kind:     global_buffer
      - .actual_access:  read_only
        .address_space:  global
        .offset:         16
        .size:           8
        .value_kind:     global_buffer
      - .actual_access:  read_only
        .address_space:  global
        .offset:         24
        .size:           8
        .value_kind:     global_buffer
      - .actual_access:  read_only
        .address_space:  global
        .offset:         32
        .size:           8
        .value_kind:     global_buffer
      - .actual_access:  read_only
        .address_space:  global
        .offset:         40
        .size:           8
        .value_kind:     global_buffer
      - .offset:         48
        .size:           4
        .value_kind:     by_value
      - .offset:         52
        .size:           4
        .value_kind:     by_value
      - .actual_access:  read_only
        .address_space:  global
        .offset:         56
        .size:           8
        .value_kind:     global_buffer
      - .offset:         64
        .size:           4
        .value_kind:     by_value
      - .offset:         68
        .size:           4
        .value_kind:     by_value
      - .offset:         72
        .size:           4
        .value_kind:     by_value
      - .offset:         76
        .size:           4
        .value_kind:     by_value
      - .offset:         80
        .size:           4
        .value_kind:     by_value
      - .offset:         84
        .size:           4
        .value_kind:     by_value
      - .offset:         88
        .size:           4
        .value_kind:     by_value
      - .offset:         92
        .size:           4
        .value_kind:     by_value
    .group_segment_fixed_size: 16
    .kernarg_segment_align: 8
    .kernarg_segment_size: 96
    .language:       OpenCL C
    .language_version:
      - 2
      - 0
    .max_flat_workgroup_size: 1024
    .name:           _ZN5aiter36smooth_per_token_scaled_quant_kernelItDB8_Li256ELi16ELb1ELb1ELb0ELi1024EEEvPT0_PfPT_S4_PiS7_iiPKiiiiiiiii
    .private_segment_fixed_size: 0
    .sgpr_count:     56
    .sgpr_spill_count: 0
    .symbol:         _ZN5aiter36smooth_per_token_scaled_quant_kernelItDB8_Li256ELi16ELb1ELb1ELb0ELi1024EEEvPT0_PfPT_S4_PiS7_iiPKiiiiiiiii.kd
    .uniform_work_group_size: 1
    .uses_dynamic_stack: false
    .vgpr_count:     82
    .vgpr_spill_count: 0
    .wavefront_size: 64
  - .agpr_count:     0
    .args:
      - .actual_access:  write_only
        .address_space:  global
        .offset:         0
        .size:           8
        .value_kind:     global_buffer
      - .actual_access:  write_only
        .address_space:  global
        .offset:         8
        .size:           8
        .value_kind:     global_buffer
      - .actual_access:  read_only
        .address_space:  global
        .offset:         16
        .size:           8
        .value_kind:     global_buffer
      - .actual_access:  read_only
        .address_space:  global
        .offset:         24
        .size:           8
        .value_kind:     global_buffer
      - .actual_access:  read_only
        .address_space:  global
        .offset:         32
        .size:           8
        .value_kind:     global_buffer
      - .actual_access:  read_only
        .address_space:  global
        .offset:         40
        .size:           8
        .value_kind:     global_buffer
      - .offset:         48
        .size:           4
        .value_kind:     by_value
      - .offset:         52
        .size:           4
        .value_kind:     by_value
      - .actual_access:  read_only
        .address_space:  global
        .offset:         56
        .size:           8
        .value_kind:     global_buffer
      - .offset:         64
        .size:           4
        .value_kind:     by_value
      - .offset:         68
        .size:           4
        .value_kind:     by_value
      - .offset:         72
        .size:           4
        .value_kind:     by_value
      - .offset:         76
        .size:           4
        .value_kind:     by_value
      - .offset:         80
        .size:           4
        .value_kind:     by_value
      - .offset:         84
        .size:           4
        .value_kind:     by_value
      - .offset:         88
        .size:           4
        .value_kind:     by_value
      - .offset:         92
        .size:           4
        .value_kind:     by_value
    .group_segment_fixed_size: 16
    .kernarg_segment_align: 8
    .kernarg_segment_size: 96
    .language:       OpenCL C
    .language_version:
      - 2
      - 0
    .max_flat_workgroup_size: 1024
    .name:           _ZN5aiter36smooth_per_token_scaled_quant_kernelIDF16_DB8_Li256ELi16ELb1ELb0ELb0ELi1024EEEvPT0_PfPT_S4_PiS7_iiPKiiiiiiiii
    .private_segment_fixed_size: 0
    .sgpr_count:     49
    .sgpr_spill_count: 0
    .symbol:         _ZN5aiter36smooth_per_token_scaled_quant_kernelIDF16_DB8_Li256ELi16ELb1ELb0ELb0ELi1024EEEvPT0_PfPT_S4_PiS7_iiPKiiiiiiiii.kd
    .uniform_work_group_size: 1
    .uses_dynamic_stack: false
    .vgpr_count:     80
    .vgpr_spill_count: 0
    .wavefront_size: 64
  - .agpr_count:     0
    .args:
      - .actual_access:  write_only
        .address_space:  global
        .offset:         0
        .size:           8
        .value_kind:     global_buffer
      - .actual_access:  write_only
        .address_space:  global
        .offset:         8
        .size:           8
        .value_kind:     global_buffer
      - .actual_access:  read_only
        .address_space:  global
        .offset:         16
        .size:           8
        .value_kind:     global_buffer
      - .actual_access:  read_only
        .address_space:  global
        .offset:         24
        .size:           8
        .value_kind:     global_buffer
      - .actual_access:  read_only
        .address_space:  global
        .offset:         32
        .size:           8
        .value_kind:     global_buffer
      - .actual_access:  read_only
        .address_space:  global
        .offset:         40
        .size:           8
        .value_kind:     global_buffer
      - .offset:         48
        .size:           4
        .value_kind:     by_value
      - .offset:         52
        .size:           4
        .value_kind:     by_value
      - .actual_access:  read_only
        .address_space:  global
        .offset:         56
        .size:           8
        .value_kind:     global_buffer
      - .offset:         64
        .size:           4
        .value_kind:     by_value
      - .offset:         68
        .size:           4
        .value_kind:     by_value
      - .offset:         72
        .size:           4
        .value_kind:     by_value
      - .offset:         76
        .size:           4
        .value_kind:     by_value
      - .offset:         80
        .size:           4
        .value_kind:     by_value
      - .offset:         84
        .size:           4
        .value_kind:     by_value
      - .offset:         88
        .size:           4
        .value_kind:     by_value
      - .offset:         92
        .size:           4
        .value_kind:     by_value
    .group_segment_fixed_size: 16
    .kernarg_segment_align: 8
    .kernarg_segment_size: 96
    .language:       OpenCL C
    .language_version:
      - 2
      - 0
    .max_flat_workgroup_size: 1024
    .name:           _ZN5aiter36smooth_per_token_scaled_quant_kernelItDB8_Li256ELi16ELb1ELb0ELb0ELi1024EEEvPT0_PfPT_S4_PiS7_iiPKiiiiiiiii
    .private_segment_fixed_size: 0
    .sgpr_count:     49
    .sgpr_spill_count: 0
    .symbol:         _ZN5aiter36smooth_per_token_scaled_quant_kernelItDB8_Li256ELi16ELb1ELb0ELb0ELi1024EEEvPT0_PfPT_S4_PiS7_iiPKiiiiiiiii.kd
    .uniform_work_group_size: 1
    .uses_dynamic_stack: false
    .vgpr_count:     80
    .vgpr_spill_count: 0
    .wavefront_size: 64
  - .agpr_count:     0
    .args:
      - .actual_access:  write_only
        .address_space:  global
        .offset:         0
        .size:           8
        .value_kind:     global_buffer
      - .actual_access:  write_only
        .address_space:  global
        .offset:         8
        .size:           8
        .value_kind:     global_buffer
      - .actual_access:  read_only
        .address_space:  global
        .offset:         16
        .size:           8
        .value_kind:     global_buffer
      - .actual_access:  read_only
        .address_space:  global
        .offset:         24
        .size:           8
        .value_kind:     global_buffer
      - .actual_access:  read_only
        .address_space:  global
        .offset:         32
        .size:           8
        .value_kind:     global_buffer
      - .address_space:  global
        .offset:         40
        .size:           8
        .value_kind:     global_buffer
      - .offset:         48
        .size:           4
        .value_kind:     by_value
      - .offset:         52
        .size:           4
        .value_kind:     by_value
      - .actual_access:  read_only
        .address_space:  global
        .offset:         56
        .size:           8
        .value_kind:     global_buffer
      - .offset:         64
        .size:           4
        .value_kind:     by_value
      - .offset:         68
        .size:           4
        .value_kind:     by_value
      - .offset:         72
        .size:           4
        .value_kind:     by_value
      - .offset:         76
        .size:           4
        .value_kind:     by_value
      - .offset:         80
        .size:           4
        .value_kind:     by_value
      - .offset:         84
        .size:           4
        .value_kind:     by_value
      - .offset:         88
        .size:           4
        .value_kind:     by_value
      - .offset:         92
        .size:           4
        .value_kind:     by_value
    .group_segment_fixed_size: 4112
    .kernarg_segment_align: 8
    .kernarg_segment_size: 96
    .language:       OpenCL C
    .language_version:
      - 2
      - 0
    .max_flat_workgroup_size: 1024
    .name:           _ZN5aiter36smooth_per_token_scaled_quant_kernelIDF16_DB8_Li256ELi16ELb0ELb1ELb1ELi1024EEEvPT0_PfPT_S4_PiS7_iiPKiiiiiiiii
    .private_segment_fixed_size: 0
    .sgpr_count:     51
    .sgpr_spill_count: 0
    .symbol:         _ZN5aiter36smooth_per_token_scaled_quant_kernelIDF16_DB8_Li256ELi16ELb0ELb1ELb1ELi1024EEEvPT0_PfPT_S4_PiS7_iiPKiiiiiiiii.kd
    .uniform_work_group_size: 1
    .uses_dynamic_stack: false
    .vgpr_count:     50
    .vgpr_spill_count: 0
    .wavefront_size: 64
  - .agpr_count:     0
    .args:
      - .actual_access:  write_only
        .address_space:  global
        .offset:         0
        .size:           8
        .value_kind:     global_buffer
      - .actual_access:  write_only
        .address_space:  global
        .offset:         8
        .size:           8
        .value_kind:     global_buffer
      - .actual_access:  read_only
        .address_space:  global
        .offset:         16
        .size:           8
        .value_kind:     global_buffer
      - .actual_access:  read_only
        .address_space:  global
        .offset:         24
        .size:           8
        .value_kind:     global_buffer
      - .actual_access:  read_only
        .address_space:  global
        .offset:         32
        .size:           8
        .value_kind:     global_buffer
      - .address_space:  global
        .offset:         40
        .size:           8
        .value_kind:     global_buffer
      - .offset:         48
        .size:           4
        .value_kind:     by_value
      - .offset:         52
        .size:           4
        .value_kind:     by_value
      - .actual_access:  read_only
        .address_space:  global
        .offset:         56
        .size:           8
        .value_kind:     global_buffer
      - .offset:         64
        .size:           4
        .value_kind:     by_value
      - .offset:         68
        .size:           4
        .value_kind:     by_value
      - .offset:         72
        .size:           4
        .value_kind:     by_value
      - .offset:         76
        .size:           4
        .value_kind:     by_value
      - .offset:         80
        .size:           4
        .value_kind:     by_value
      - .offset:         84
        .size:           4
        .value_kind:     by_value
      - .offset:         88
        .size:           4
        .value_kind:     by_value
      - .offset:         92
        .size:           4
        .value_kind:     by_value
    .group_segment_fixed_size: 4112
    .kernarg_segment_align: 8
    .kernarg_segment_size: 96
    .language:       OpenCL C
    .language_version:
      - 2
      - 0
    .max_flat_workgroup_size: 1024
    .name:           _ZN5aiter36smooth_per_token_scaled_quant_kernelItDB8_Li256ELi16ELb0ELb1ELb1ELi1024EEEvPT0_PfPT_S4_PiS7_iiPKiiiiiiiii
    .private_segment_fixed_size: 0
    .sgpr_count:     51
    .sgpr_spill_count: 0
    .symbol:         _ZN5aiter36smooth_per_token_scaled_quant_kernelItDB8_Li256ELi16ELb0ELb1ELb1ELi1024EEEvPT0_PfPT_S4_PiS7_iiPKiiiiiiiii.kd
    .uniform_work_group_size: 1
    .uses_dynamic_stack: false
    .vgpr_count:     50
    .vgpr_spill_count: 0
    .wavefront_size: 64
  - .agpr_count:     0
    .args:
      - .actual_access:  write_only
        .address_space:  global
        .offset:         0
        .size:           8
        .value_kind:     global_buffer
      - .actual_access:  write_only
        .address_space:  global
        .offset:         8
        .size:           8
        .value_kind:     global_buffer
      - .actual_access:  read_only
        .address_space:  global
        .offset:         16
        .size:           8
        .value_kind:     global_buffer
      - .actual_access:  read_only
        .address_space:  global
        .offset:         24
        .size:           8
        .value_kind:     global_buffer
      - .actual_access:  read_only
        .address_space:  global
        .offset:         32
        .size:           8
        .value_kind:     global_buffer
      - .actual_access:  read_only
        .address_space:  global
        .offset:         40
        .size:           8
        .value_kind:     global_buffer
      - .offset:         48
        .size:           4
        .value_kind:     by_value
      - .offset:         52
        .size:           4
        .value_kind:     by_value
      - .actual_access:  read_only
        .address_space:  global
        .offset:         56
        .size:           8
        .value_kind:     global_buffer
      - .offset:         64
        .size:           4
        .value_kind:     by_value
      - .offset:         68
        .size:           4
        .value_kind:     by_value
      - .offset:         72
        .size:           4
        .value_kind:     by_value
      - .offset:         76
        .size:           4
        .value_kind:     by_value
      - .offset:         80
        .size:           4
        .value_kind:     by_value
      - .offset:         84
        .size:           4
        .value_kind:     by_value
      - .offset:         88
        .size:           4
        .value_kind:     by_value
      - .offset:         92
        .size:           4
        .value_kind:     by_value
    .group_segment_fixed_size: 16
    .kernarg_segment_align: 8
    .kernarg_segment_size: 96
    .language:       OpenCL C
    .language_version:
      - 2
      - 0
    .max_flat_workgroup_size: 1024
    .name:           _ZN5aiter36smooth_per_token_scaled_quant_kernelIDF16_DB8_Li256ELi16ELb0ELb1ELb0ELi1024EEEvPT0_PfPT_S4_PiS7_iiPKiiiiiiiii
    .private_segment_fixed_size: 0
    .sgpr_count:     50
    .sgpr_spill_count: 0
    .symbol:         _ZN5aiter36smooth_per_token_scaled_quant_kernelIDF16_DB8_Li256ELi16ELb0ELb1ELb0ELi1024EEEvPT0_PfPT_S4_PiS7_iiPKiiiiiiiii.kd
    .uniform_work_group_size: 1
    .uses_dynamic_stack: false
    .vgpr_count:     82
    .vgpr_spill_count: 0
    .wavefront_size: 64
  - .agpr_count:     0
    .args:
      - .actual_access:  write_only
        .address_space:  global
        .offset:         0
        .size:           8
        .value_kind:     global_buffer
      - .actual_access:  write_only
        .address_space:  global
        .offset:         8
        .size:           8
        .value_kind:     global_buffer
      - .actual_access:  read_only
        .address_space:  global
        .offset:         16
        .size:           8
        .value_kind:     global_buffer
      - .actual_access:  read_only
        .address_space:  global
        .offset:         24
        .size:           8
        .value_kind:     global_buffer
      - .actual_access:  read_only
        .address_space:  global
        .offset:         32
        .size:           8
        .value_kind:     global_buffer
      - .actual_access:  read_only
        .address_space:  global
        .offset:         40
        .size:           8
        .value_kind:     global_buffer
      - .offset:         48
        .size:           4
        .value_kind:     by_value
      - .offset:         52
        .size:           4
        .value_kind:     by_value
      - .actual_access:  read_only
        .address_space:  global
        .offset:         56
        .size:           8
        .value_kind:     global_buffer
      - .offset:         64
        .size:           4
        .value_kind:     by_value
      - .offset:         68
        .size:           4
        .value_kind:     by_value
      - .offset:         72
        .size:           4
        .value_kind:     by_value
      - .offset:         76
        .size:           4
        .value_kind:     by_value
      - .offset:         80
        .size:           4
        .value_kind:     by_value
      - .offset:         84
        .size:           4
        .value_kind:     by_value
      - .offset:         88
        .size:           4
        .value_kind:     by_value
      - .offset:         92
        .size:           4
        .value_kind:     by_value
    .group_segment_fixed_size: 16
    .kernarg_segment_align: 8
    .kernarg_segment_size: 96
    .language:       OpenCL C
    .language_version:
      - 2
      - 0
    .max_flat_workgroup_size: 1024
    .name:           _ZN5aiter36smooth_per_token_scaled_quant_kernelItDB8_Li256ELi16ELb0ELb1ELb0ELi1024EEEvPT0_PfPT_S4_PiS7_iiPKiiiiiiiii
    .private_segment_fixed_size: 0
    .sgpr_count:     50
    .sgpr_spill_count: 0
    .symbol:         _ZN5aiter36smooth_per_token_scaled_quant_kernelItDB8_Li256ELi16ELb0ELb1ELb0ELi1024EEEvPT0_PfPT_S4_PiS7_iiPKiiiiiiiii.kd
    .uniform_work_group_size: 1
    .uses_dynamic_stack: false
    .vgpr_count:     50
    .vgpr_spill_count: 0
    .wavefront_size: 64
  - .agpr_count:     0
    .args:
      - .actual_access:  write_only
        .address_space:  global
        .offset:         0
        .size:           8
        .value_kind:     global_buffer
      - .actual_access:  write_only
        .address_space:  global
        .offset:         8
        .size:           8
        .value_kind:     global_buffer
      - .actual_access:  read_only
        .address_space:  global
        .offset:         16
        .size:           8
        .value_kind:     global_buffer
      - .actual_access:  read_only
        .address_space:  global
        .offset:         24
        .size:           8
        .value_kind:     global_buffer
      - .actual_access:  read_only
        .address_space:  global
        .offset:         32
        .size:           8
        .value_kind:     global_buffer
      - .actual_access:  read_only
        .address_space:  global
        .offset:         40
        .size:           8
        .value_kind:     global_buffer
      - .offset:         48
        .size:           4
        .value_kind:     by_value
      - .offset:         52
        .size:           4
        .value_kind:     by_value
      - .actual_access:  read_only
        .address_space:  global
        .offset:         56
        .size:           8
        .value_kind:     global_buffer
      - .offset:         64
        .size:           4
        .value_kind:     by_value
      - .offset:         68
        .size:           4
        .value_kind:     by_value
      - .offset:         72
        .size:           4
        .value_kind:     by_value
      - .offset:         76
        .size:           4
        .value_kind:     by_value
      - .offset:         80
        .size:           4
        .value_kind:     by_value
      - .offset:         84
        .size:           4
        .value_kind:     by_value
      - .offset:         88
        .size:           4
        .value_kind:     by_value
      - .offset:         92
        .size:           4
        .value_kind:     by_value
    .group_segment_fixed_size: 16
    .kernarg_segment_align: 8
    .kernarg_segment_size: 96
    .language:       OpenCL C
    .language_version:
      - 2
      - 0
    .max_flat_workgroup_size: 1024
    .name:           _ZN5aiter36smooth_per_token_scaled_quant_kernelIDF16_DB8_Li256ELi16ELb0ELb0ELb0ELi1024EEEvPT0_PfPT_S4_PiS7_iiPKiiiiiiiii
    .private_segment_fixed_size: 0
    .sgpr_count:     45
    .sgpr_spill_count: 0
    .symbol:         _ZN5aiter36smooth_per_token_scaled_quant_kernelIDF16_DB8_Li256ELi16ELb0ELb0ELb0ELi1024EEEvPT0_PfPT_S4_PiS7_iiPKiiiiiiiii.kd
    .uniform_work_group_size: 1
    .uses_dynamic_stack: false
    .vgpr_count:     80
    .vgpr_spill_count: 0
    .wavefront_size: 64
  - .agpr_count:     0
    .args:
      - .actual_access:  write_only
        .address_space:  global
        .offset:         0
        .size:           8
        .value_kind:     global_buffer
      - .actual_access:  write_only
        .address_space:  global
        .offset:         8
        .size:           8
        .value_kind:     global_buffer
      - .actual_access:  read_only
        .address_space:  global
        .offset:         16
        .size:           8
        .value_kind:     global_buffer
      - .actual_access:  read_only
        .address_space:  global
        .offset:         24
        .size:           8
        .value_kind:     global_buffer
      - .actual_access:  read_only
        .address_space:  global
        .offset:         32
        .size:           8
        .value_kind:     global_buffer
      - .actual_access:  read_only
        .address_space:  global
        .offset:         40
        .size:           8
        .value_kind:     global_buffer
      - .offset:         48
        .size:           4
        .value_kind:     by_value
      - .offset:         52
        .size:           4
        .value_kind:     by_value
      - .actual_access:  read_only
        .address_space:  global
        .offset:         56
        .size:           8
        .value_kind:     global_buffer
      - .offset:         64
        .size:           4
        .value_kind:     by_value
      - .offset:         68
        .size:           4
        .value_kind:     by_value
      - .offset:         72
        .size:           4
        .value_kind:     by_value
      - .offset:         76
        .size:           4
        .value_kind:     by_value
      - .offset:         80
        .size:           4
        .value_kind:     by_value
      - .offset:         84
        .size:           4
        .value_kind:     by_value
      - .offset:         88
        .size:           4
        .value_kind:     by_value
      - .offset:         92
        .size:           4
        .value_kind:     by_value
    .group_segment_fixed_size: 16
    .kernarg_segment_align: 8
    .kernarg_segment_size: 96
    .language:       OpenCL C
    .language_version:
      - 2
      - 0
    .max_flat_workgroup_size: 1024
    .name:           _ZN5aiter36smooth_per_token_scaled_quant_kernelItDB8_Li256ELi16ELb0ELb0ELb0ELi1024EEEvPT0_PfPT_S4_PiS7_iiPKiiiiiiiii
    .private_segment_fixed_size: 0
    .sgpr_count:     45
    .sgpr_spill_count: 0
    .symbol:         _ZN5aiter36smooth_per_token_scaled_quant_kernelItDB8_Li256ELi16ELb0ELb0ELb0ELi1024EEEvPT0_PfPT_S4_PiS7_iiPKiiiiiiiii.kd
    .uniform_work_group_size: 1
    .uses_dynamic_stack: false
    .vgpr_count:     80
    .vgpr_spill_count: 0
    .wavefront_size: 64
  - .agpr_count:     0
    .args:
      - .actual_access:  write_only
        .address_space:  global
        .offset:         0
        .size:           8
        .value_kind:     global_buffer
      - .actual_access:  write_only
        .address_space:  global
        .offset:         8
        .size:           8
        .value_kind:     global_buffer
      - .actual_access:  read_only
        .address_space:  global
        .offset:         16
        .size:           8
        .value_kind:     global_buffer
      - .actual_access:  read_only
        .address_space:  global
        .offset:         24
        .size:           8
        .value_kind:     global_buffer
      - .actual_access:  read_only
        .address_space:  global
        .offset:         32
        .size:           8
        .value_kind:     global_buffer
      - .address_space:  global
        .offset:         40
        .size:           8
        .value_kind:     global_buffer
      - .offset:         48
        .size:           4
        .value_kind:     by_value
      - .offset:         52
        .size:           4
        .value_kind:     by_value
      - .actual_access:  read_only
        .address_space:  global
        .offset:         56
        .size:           8
        .value_kind:     global_buffer
      - .offset:         64
        .size:           4
        .value_kind:     by_value
      - .offset:         68
        .size:           4
        .value_kind:     by_value
      - .offset:         72
        .size:           4
        .value_kind:     by_value
      - .offset:         76
        .size:           4
        .value_kind:     by_value
      - .offset:         80
        .size:           4
        .value_kind:     by_value
      - .offset:         84
        .size:           4
        .value_kind:     by_value
      - .offset:         88
        .size:           4
        .value_kind:     by_value
      - .offset:         92
        .size:           4
        .value_kind:     by_value
    .group_segment_fixed_size: 4128
    .kernarg_segment_align: 8
    .kernarg_segment_size: 96
    .language:       OpenCL C
    .language_version:
      - 2
      - 0
    .max_flat_workgroup_size: 1024
    .name:           _ZN5aiter36smooth_per_token_scaled_quant_kernelIDF16_DB8_Li512ELi16ELb1ELb1ELb1ELi1024EEEvPT0_PfPT_S4_PiS7_iiPKiiiiiiiii
    .private_segment_fixed_size: 0
    .sgpr_count:     55
    .sgpr_spill_count: 0
    .symbol:         _ZN5aiter36smooth_per_token_scaled_quant_kernelIDF16_DB8_Li512ELi16ELb1ELb1ELb1ELi1024EEEvPT0_PfPT_S4_PiS7_iiPKiiiiiiiii.kd
    .uniform_work_group_size: 1
    .uses_dynamic_stack: false
    .vgpr_count:     50
    .vgpr_spill_count: 0
    .wavefront_size: 64
  - .agpr_count:     0
    .args:
      - .actual_access:  write_only
        .address_space:  global
        .offset:         0
        .size:           8
        .value_kind:     global_buffer
      - .actual_access:  write_only
        .address_space:  global
        .offset:         8
        .size:           8
        .value_kind:     global_buffer
      - .actual_access:  read_only
        .address_space:  global
        .offset:         16
        .size:           8
        .value_kind:     global_buffer
      - .actual_access:  read_only
        .address_space:  global
        .offset:         24
        .size:           8
        .value_kind:     global_buffer
      - .actual_access:  read_only
        .address_space:  global
        .offset:         32
        .size:           8
        .value_kind:     global_buffer
      - .address_space:  global
        .offset:         40
        .size:           8
        .value_kind:     global_buffer
      - .offset:         48
        .size:           4
        .value_kind:     by_value
      - .offset:         52
        .size:           4
        .value_kind:     by_value
      - .actual_access:  read_only
        .address_space:  global
        .offset:         56
        .size:           8
        .value_kind:     global_buffer
      - .offset:         64
        .size:           4
        .value_kind:     by_value
      - .offset:         68
        .size:           4
        .value_kind:     by_value
      - .offset:         72
        .size:           4
        .value_kind:     by_value
      - .offset:         76
        .size:           4
        .value_kind:     by_value
      - .offset:         80
        .size:           4
        .value_kind:     by_value
      - .offset:         84
        .size:           4
        .value_kind:     by_value
      - .offset:         88
        .size:           4
        .value_kind:     by_value
      - .offset:         92
        .size:           4
        .value_kind:     by_value
    .group_segment_fixed_size: 4128
    .kernarg_segment_align: 8
    .kernarg_segment_size: 96
    .language:       OpenCL C
    .language_version:
      - 2
      - 0
    .max_flat_workgroup_size: 1024
    .name:           _ZN5aiter36smooth_per_token_scaled_quant_kernelItDB8_Li512ELi16ELb1ELb1ELb1ELi1024EEEvPT0_PfPT_S4_PiS7_iiPKiiiiiiiii
    .private_segment_fixed_size: 0
    .sgpr_count:     55
    .sgpr_spill_count: 0
    .symbol:         _ZN5aiter36smooth_per_token_scaled_quant_kernelItDB8_Li512ELi16ELb1ELb1ELb1ELi1024EEEvPT0_PfPT_S4_PiS7_iiPKiiiiiiiii.kd
    .uniform_work_group_size: 1
    .uses_dynamic_stack: false
    .vgpr_count:     50
    .vgpr_spill_count: 0
    .wavefront_size: 64
  - .agpr_count:     0
    .args:
      - .actual_access:  write_only
        .address_space:  global
        .offset:         0
        .size:           8
        .value_kind:     global_buffer
      - .actual_access:  write_only
        .address_space:  global
        .offset:         8
        .size:           8
        .value_kind:     global_buffer
      - .actual_access:  read_only
        .address_space:  global
        .offset:         16
        .size:           8
        .value_kind:     global_buffer
      - .actual_access:  read_only
        .address_space:  global
        .offset:         24
        .size:           8
        .value_kind:     global_buffer
      - .actual_access:  read_only
        .address_space:  global
        .offset:         32
        .size:           8
        .value_kind:     global_buffer
      - .actual_access:  read_only
        .address_space:  global
        .offset:         40
        .size:           8
        .value_kind:     global_buffer
      - .offset:         48
        .size:           4
        .value_kind:     by_value
      - .offset:         52
        .size:           4
        .value_kind:     by_value
      - .actual_access:  read_only
        .address_space:  global
        .offset:         56
        .size:           8
        .value_kind:     global_buffer
      - .offset:         64
        .size:           4
        .value_kind:     by_value
      - .offset:         68
        .size:           4
        .value_kind:     by_value
      - .offset:         72
        .size:           4
        .value_kind:     by_value
      - .offset:         76
        .size:           4
        .value_kind:     by_value
      - .offset:         80
        .size:           4
        .value_kind:     by_value
      - .offset:         84
        .size:           4
        .value_kind:     by_value
      - .offset:         88
        .size:           4
        .value_kind:     by_value
      - .offset:         92
        .size:           4
        .value_kind:     by_value
    .group_segment_fixed_size: 32
    .kernarg_segment_align: 8
    .kernarg_segment_size: 96
    .language:       OpenCL C
    .language_version:
      - 2
      - 0
    .max_flat_workgroup_size: 1024
    .name:           _ZN5aiter36smooth_per_token_scaled_quant_kernelIDF16_DB8_Li512ELi16ELb1ELb1ELb0ELi1024EEEvPT0_PfPT_S4_PiS7_iiPKiiiiiiiii
    .private_segment_fixed_size: 0
    .sgpr_count:     56
    .sgpr_spill_count: 0
    .symbol:         _ZN5aiter36smooth_per_token_scaled_quant_kernelIDF16_DB8_Li512ELi16ELb1ELb1ELb0ELi1024EEEvPT0_PfPT_S4_PiS7_iiPKiiiiiiiii.kd
    .uniform_work_group_size: 1
    .uses_dynamic_stack: false
    .vgpr_count:     82
    .vgpr_spill_count: 0
    .wavefront_size: 64
  - .agpr_count:     0
    .args:
      - .actual_access:  write_only
        .address_space:  global
        .offset:         0
        .size:           8
        .value_kind:     global_buffer
      - .actual_access:  write_only
        .address_space:  global
        .offset:         8
        .size:           8
        .value_kind:     global_buffer
      - .actual_access:  read_only
        .address_space:  global
        .offset:         16
        .size:           8
        .value_kind:     global_buffer
      - .actual_access:  read_only
        .address_space:  global
        .offset:         24
        .size:           8
        .value_kind:     global_buffer
      - .actual_access:  read_only
        .address_space:  global
        .offset:         32
        .size:           8
        .value_kind:     global_buffer
      - .actual_access:  read_only
        .address_space:  global
        .offset:         40
        .size:           8
        .value_kind:     global_buffer
      - .offset:         48
        .size:           4
        .value_kind:     by_value
      - .offset:         52
        .size:           4
        .value_kind:     by_value
      - .actual_access:  read_only
        .address_space:  global
        .offset:         56
        .size:           8
        .value_kind:     global_buffer
      - .offset:         64
        .size:           4
        .value_kind:     by_value
      - .offset:         68
        .size:           4
        .value_kind:     by_value
      - .offset:         72
        .size:           4
        .value_kind:     by_value
      - .offset:         76
        .size:           4
        .value_kind:     by_value
      - .offset:         80
        .size:           4
        .value_kind:     by_value
      - .offset:         84
        .size:           4
        .value_kind:     by_value
      - .offset:         88
        .size:           4
        .value_kind:     by_value
      - .offset:         92
        .size:           4
        .value_kind:     by_value
    .group_segment_fixed_size: 32
    .kernarg_segment_align: 8
    .kernarg_segment_size: 96
    .language:       OpenCL C
    .language_version:
      - 2
      - 0
    .max_flat_workgroup_size: 1024
    .name:           _ZN5aiter36smooth_per_token_scaled_quant_kernelItDB8_Li512ELi16ELb1ELb1ELb0ELi1024EEEvPT0_PfPT_S4_PiS7_iiPKiiiiiiiii
    .private_segment_fixed_size: 0
    .sgpr_count:     56
    .sgpr_spill_count: 0
    .symbol:         _ZN5aiter36smooth_per_token_scaled_quant_kernelItDB8_Li512ELi16ELb1ELb1ELb0ELi1024EEEvPT0_PfPT_S4_PiS7_iiPKiiiiiiiii.kd
    .uniform_work_group_size: 1
    .uses_dynamic_stack: false
    .vgpr_count:     82
    .vgpr_spill_count: 0
    .wavefront_size: 64
  - .agpr_count:     0
    .args:
      - .actual_access:  write_only
        .address_space:  global
        .offset:         0
        .size:           8
        .value_kind:     global_buffer
      - .actual_access:  write_only
        .address_space:  global
        .offset:         8
        .size:           8
        .value_kind:     global_buffer
      - .actual_access:  read_only
        .address_space:  global
        .offset:         16
        .size:           8
        .value_kind:     global_buffer
      - .actual_access:  read_only
        .address_space:  global
        .offset:         24
        .size:           8
        .value_kind:     global_buffer
      - .actual_access:  read_only
        .address_space:  global
        .offset:         32
        .size:           8
        .value_kind:     global_buffer
      - .actual_access:  read_only
        .address_space:  global
        .offset:         40
        .size:           8
        .value_kind:     global_buffer
      - .offset:         48
        .size:           4
        .value_kind:     by_value
      - .offset:         52
        .size:           4
        .value_kind:     by_value
      - .actual_access:  read_only
        .address_space:  global
        .offset:         56
        .size:           8
        .value_kind:     global_buffer
      - .offset:         64
        .size:           4
        .value_kind:     by_value
      - .offset:         68
        .size:           4
        .value_kind:     by_value
      - .offset:         72
        .size:           4
        .value_kind:     by_value
      - .offset:         76
        .size:           4
        .value_kind:     by_value
      - .offset:         80
        .size:           4
        .value_kind:     by_value
      - .offset:         84
        .size:           4
        .value_kind:     by_value
      - .offset:         88
        .size:           4
        .value_kind:     by_value
      - .offset:         92
        .size:           4
        .value_kind:     by_value
    .group_segment_fixed_size: 32
    .kernarg_segment_align: 8
    .kernarg_segment_size: 96
    .language:       OpenCL C
    .language_version:
      - 2
      - 0
    .max_flat_workgroup_size: 1024
    .name:           _ZN5aiter36smooth_per_token_scaled_quant_kernelIDF16_DB8_Li512ELi16ELb1ELb0ELb0ELi1024EEEvPT0_PfPT_S4_PiS7_iiPKiiiiiiiii
    .private_segment_fixed_size: 0
    .sgpr_count:     49
    .sgpr_spill_count: 0
    .symbol:         _ZN5aiter36smooth_per_token_scaled_quant_kernelIDF16_DB8_Li512ELi16ELb1ELb0ELb0ELi1024EEEvPT0_PfPT_S4_PiS7_iiPKiiiiiiiii.kd
    .uniform_work_group_size: 1
    .uses_dynamic_stack: false
    .vgpr_count:     80
    .vgpr_spill_count: 0
    .wavefront_size: 64
  - .agpr_count:     0
    .args:
      - .actual_access:  write_only
        .address_space:  global
        .offset:         0
        .size:           8
        .value_kind:     global_buffer
      - .actual_access:  write_only
        .address_space:  global
        .offset:         8
        .size:           8
        .value_kind:     global_buffer
      - .actual_access:  read_only
        .address_space:  global
        .offset:         16
        .size:           8
        .value_kind:     global_buffer
      - .actual_access:  read_only
        .address_space:  global
        .offset:         24
        .size:           8
        .value_kind:     global_buffer
      - .actual_access:  read_only
        .address_space:  global
        .offset:         32
        .size:           8
        .value_kind:     global_buffer
      - .actual_access:  read_only
        .address_space:  global
        .offset:         40
        .size:           8
        .value_kind:     global_buffer
      - .offset:         48
        .size:           4
        .value_kind:     by_value
      - .offset:         52
        .size:           4
        .value_kind:     by_value
      - .actual_access:  read_only
        .address_space:  global
        .offset:         56
        .size:           8
        .value_kind:     global_buffer
      - .offset:         64
        .size:           4
        .value_kind:     by_value
      - .offset:         68
        .size:           4
        .value_kind:     by_value
      - .offset:         72
        .size:           4
        .value_kind:     by_value
      - .offset:         76
        .size:           4
        .value_kind:     by_value
      - .offset:         80
        .size:           4
        .value_kind:     by_value
      - .offset:         84
        .size:           4
        .value_kind:     by_value
      - .offset:         88
        .size:           4
        .value_kind:     by_value
      - .offset:         92
        .size:           4
        .value_kind:     by_value
    .group_segment_fixed_size: 32
    .kernarg_segment_align: 8
    .kernarg_segment_size: 96
    .language:       OpenCL C
    .language_version:
      - 2
      - 0
    .max_flat_workgroup_size: 1024
    .name:           _ZN5aiter36smooth_per_token_scaled_quant_kernelItDB8_Li512ELi16ELb1ELb0ELb0ELi1024EEEvPT0_PfPT_S4_PiS7_iiPKiiiiiiiii
    .private_segment_fixed_size: 0
    .sgpr_count:     49
    .sgpr_spill_count: 0
    .symbol:         _ZN5aiter36smooth_per_token_scaled_quant_kernelItDB8_Li512ELi16ELb1ELb0ELb0ELi1024EEEvPT0_PfPT_S4_PiS7_iiPKiiiiiiiii.kd
    .uniform_work_group_size: 1
    .uses_dynamic_stack: false
    .vgpr_count:     80
    .vgpr_spill_count: 0
    .wavefront_size: 64
  - .agpr_count:     0
    .args:
      - .actual_access:  write_only
        .address_space:  global
        .offset:         0
        .size:           8
        .value_kind:     global_buffer
      - .actual_access:  write_only
        .address_space:  global
        .offset:         8
        .size:           8
        .value_kind:     global_buffer
      - .actual_access:  read_only
        .address_space:  global
        .offset:         16
        .size:           8
        .value_kind:     global_buffer
      - .actual_access:  read_only
        .address_space:  global
        .offset:         24
        .size:           8
        .value_kind:     global_buffer
      - .actual_access:  read_only
        .address_space:  global
        .offset:         32
        .size:           8
        .value_kind:     global_buffer
      - .address_space:  global
        .offset:         40
        .size:           8
        .value_kind:     global_buffer
      - .offset:         48
        .size:           4
        .value_kind:     by_value
      - .offset:         52
        .size:           4
        .value_kind:     by_value
      - .actual_access:  read_only
        .address_space:  global
        .offset:         56
        .size:           8
        .value_kind:     global_buffer
      - .offset:         64
        .size:           4
        .value_kind:     by_value
      - .offset:         68
        .size:           4
        .value_kind:     by_value
      - .offset:         72
        .size:           4
        .value_kind:     by_value
      - .offset:         76
        .size:           4
        .value_kind:     by_value
      - .offset:         80
        .size:           4
        .value_kind:     by_value
      - .offset:         84
        .size:           4
        .value_kind:     by_value
      - .offset:         88
        .size:           4
        .value_kind:     by_value
      - .offset:         92
        .size:           4
        .value_kind:     by_value
    .group_segment_fixed_size: 4128
    .kernarg_segment_align: 8
    .kernarg_segment_size: 96
    .language:       OpenCL C
    .language_version:
      - 2
      - 0
    .max_flat_workgroup_size: 1024
    .name:           _ZN5aiter36smooth_per_token_scaled_quant_kernelIDF16_DB8_Li512ELi16ELb0ELb1ELb1ELi1024EEEvPT0_PfPT_S4_PiS7_iiPKiiiiiiiii
    .private_segment_fixed_size: 0
    .sgpr_count:     51
    .sgpr_spill_count: 0
    .symbol:         _ZN5aiter36smooth_per_token_scaled_quant_kernelIDF16_DB8_Li512ELi16ELb0ELb1ELb1ELi1024EEEvPT0_PfPT_S4_PiS7_iiPKiiiiiiiii.kd
    .uniform_work_group_size: 1
    .uses_dynamic_stack: false
    .vgpr_count:     50
    .vgpr_spill_count: 0
    .wavefront_size: 64
  - .agpr_count:     0
    .args:
      - .actual_access:  write_only
        .address_space:  global
        .offset:         0
        .size:           8
        .value_kind:     global_buffer
      - .actual_access:  write_only
        .address_space:  global
        .offset:         8
        .size:           8
        .value_kind:     global_buffer
      - .actual_access:  read_only
        .address_space:  global
        .offset:         16
        .size:           8
        .value_kind:     global_buffer
      - .actual_access:  read_only
        .address_space:  global
        .offset:         24
        .size:           8
        .value_kind:     global_buffer
      - .actual_access:  read_only
        .address_space:  global
        .offset:         32
        .size:           8
        .value_kind:     global_buffer
      - .address_space:  global
        .offset:         40
        .size:           8
        .value_kind:     global_buffer
      - .offset:         48
        .size:           4
        .value_kind:     by_value
      - .offset:         52
        .size:           4
        .value_kind:     by_value
      - .actual_access:  read_only
        .address_space:  global
        .offset:         56
        .size:           8
        .value_kind:     global_buffer
      - .offset:         64
        .size:           4
        .value_kind:     by_value
      - .offset:         68
        .size:           4
        .value_kind:     by_value
      - .offset:         72
        .size:           4
        .value_kind:     by_value
      - .offset:         76
        .size:           4
        .value_kind:     by_value
      - .offset:         80
        .size:           4
        .value_kind:     by_value
      - .offset:         84
        .size:           4
        .value_kind:     by_value
      - .offset:         88
        .size:           4
        .value_kind:     by_value
      - .offset:         92
        .size:           4
        .value_kind:     by_value
    .group_segment_fixed_size: 4128
    .kernarg_segment_align: 8
    .kernarg_segment_size: 96
    .language:       OpenCL C
    .language_version:
      - 2
      - 0
    .max_flat_workgroup_size: 1024
    .name:           _ZN5aiter36smooth_per_token_scaled_quant_kernelItDB8_Li512ELi16ELb0ELb1ELb1ELi1024EEEvPT0_PfPT_S4_PiS7_iiPKiiiiiiiii
    .private_segment_fixed_size: 0
    .sgpr_count:     51
    .sgpr_spill_count: 0
    .symbol:         _ZN5aiter36smooth_per_token_scaled_quant_kernelItDB8_Li512ELi16ELb0ELb1ELb1ELi1024EEEvPT0_PfPT_S4_PiS7_iiPKiiiiiiiii.kd
    .uniform_work_group_size: 1
    .uses_dynamic_stack: false
    .vgpr_count:     50
    .vgpr_spill_count: 0
    .wavefront_size: 64
  - .agpr_count:     0
    .args:
      - .actual_access:  write_only
        .address_space:  global
        .offset:         0
        .size:           8
        .value_kind:     global_buffer
      - .actual_access:  write_only
        .address_space:  global
        .offset:         8
        .size:           8
        .value_kind:     global_buffer
      - .actual_access:  read_only
        .address_space:  global
        .offset:         16
        .size:           8
        .value_kind:     global_buffer
      - .actual_access:  read_only
        .address_space:  global
        .offset:         24
        .size:           8
        .value_kind:     global_buffer
      - .actual_access:  read_only
        .address_space:  global
        .offset:         32
        .size:           8
        .value_kind:     global_buffer
      - .actual_access:  read_only
        .address_space:  global
        .offset:         40
        .size:           8
        .value_kind:     global_buffer
      - .offset:         48
        .size:           4
        .value_kind:     by_value
      - .offset:         52
        .size:           4
        .value_kind:     by_value
      - .actual_access:  read_only
        .address_space:  global
        .offset:         56
        .size:           8
        .value_kind:     global_buffer
      - .offset:         64
        .size:           4
        .value_kind:     by_value
      - .offset:         68
        .size:           4
        .value_kind:     by_value
      - .offset:         72
        .size:           4
        .value_kind:     by_value
      - .offset:         76
        .size:           4
        .value_kind:     by_value
      - .offset:         80
        .size:           4
        .value_kind:     by_value
      - .offset:         84
        .size:           4
        .value_kind:     by_value
      - .offset:         88
        .size:           4
        .value_kind:     by_value
      - .offset:         92
        .size:           4
        .value_kind:     by_value
    .group_segment_fixed_size: 32
    .kernarg_segment_align: 8
    .kernarg_segment_size: 96
    .language:       OpenCL C
    .language_version:
      - 2
      - 0
    .max_flat_workgroup_size: 1024
    .name:           _ZN5aiter36smooth_per_token_scaled_quant_kernelIDF16_DB8_Li512ELi16ELb0ELb1ELb0ELi1024EEEvPT0_PfPT_S4_PiS7_iiPKiiiiiiiii
    .private_segment_fixed_size: 0
    .sgpr_count:     50
    .sgpr_spill_count: 0
    .symbol:         _ZN5aiter36smooth_per_token_scaled_quant_kernelIDF16_DB8_Li512ELi16ELb0ELb1ELb0ELi1024EEEvPT0_PfPT_S4_PiS7_iiPKiiiiiiiii.kd
    .uniform_work_group_size: 1
    .uses_dynamic_stack: false
    .vgpr_count:     82
    .vgpr_spill_count: 0
    .wavefront_size: 64
  - .agpr_count:     0
    .args:
      - .actual_access:  write_only
        .address_space:  global
        .offset:         0
        .size:           8
        .value_kind:     global_buffer
      - .actual_access:  write_only
        .address_space:  global
        .offset:         8
        .size:           8
        .value_kind:     global_buffer
      - .actual_access:  read_only
        .address_space:  global
        .offset:         16
        .size:           8
        .value_kind:     global_buffer
      - .actual_access:  read_only
        .address_space:  global
        .offset:         24
        .size:           8
        .value_kind:     global_buffer
      - .actual_access:  read_only
        .address_space:  global
        .offset:         32
        .size:           8
        .value_kind:     global_buffer
      - .actual_access:  read_only
        .address_space:  global
        .offset:         40
        .size:           8
        .value_kind:     global_buffer
      - .offset:         48
        .size:           4
        .value_kind:     by_value
      - .offset:         52
        .size:           4
        .value_kind:     by_value
      - .actual_access:  read_only
        .address_space:  global
        .offset:         56
        .size:           8
        .value_kind:     global_buffer
      - .offset:         64
        .size:           4
        .value_kind:     by_value
      - .offset:         68
        .size:           4
        .value_kind:     by_value
      - .offset:         72
        .size:           4
        .value_kind:     by_value
      - .offset:         76
        .size:           4
        .value_kind:     by_value
      - .offset:         80
        .size:           4
        .value_kind:     by_value
      - .offset:         84
        .size:           4
        .value_kind:     by_value
      - .offset:         88
        .size:           4
        .value_kind:     by_value
      - .offset:         92
        .size:           4
        .value_kind:     by_value
    .group_segment_fixed_size: 32
    .kernarg_segment_align: 8
    .kernarg_segment_size: 96
    .language:       OpenCL C
    .language_version:
      - 2
      - 0
    .max_flat_workgroup_size: 1024
    .name:           _ZN5aiter36smooth_per_token_scaled_quant_kernelItDB8_Li512ELi16ELb0ELb1ELb0ELi1024EEEvPT0_PfPT_S4_PiS7_iiPKiiiiiiiii
    .private_segment_fixed_size: 0
    .sgpr_count:     50
    .sgpr_spill_count: 0
    .symbol:         _ZN5aiter36smooth_per_token_scaled_quant_kernelItDB8_Li512ELi16ELb0ELb1ELb0ELi1024EEEvPT0_PfPT_S4_PiS7_iiPKiiiiiiiii.kd
    .uniform_work_group_size: 1
    .uses_dynamic_stack: false
    .vgpr_count:     82
    .vgpr_spill_count: 0
    .wavefront_size: 64
  - .agpr_count:     0
    .args:
      - .actual_access:  write_only
        .address_space:  global
        .offset:         0
        .size:           8
        .value_kind:     global_buffer
      - .actual_access:  write_only
        .address_space:  global
        .offset:         8
        .size:           8
        .value_kind:     global_buffer
      - .actual_access:  read_only
        .address_space:  global
        .offset:         16
        .size:           8
        .value_kind:     global_buffer
      - .actual_access:  read_only
        .address_space:  global
        .offset:         24
        .size:           8
        .value_kind:     global_buffer
      - .actual_access:  read_only
        .address_space:  global
        .offset:         32
        .size:           8
        .value_kind:     global_buffer
      - .actual_access:  read_only
        .address_space:  global
        .offset:         40
        .size:           8
        .value_kind:     global_buffer
      - .offset:         48
        .size:           4
        .value_kind:     by_value
      - .offset:         52
        .size:           4
        .value_kind:     by_value
      - .actual_access:  read_only
        .address_space:  global
        .offset:         56
        .size:           8
        .value_kind:     global_buffer
      - .offset:         64
        .size:           4
        .value_kind:     by_value
      - .offset:         68
        .size:           4
        .value_kind:     by_value
      - .offset:         72
        .size:           4
        .value_kind:     by_value
      - .offset:         76
        .size:           4
        .value_kind:     by_value
      - .offset:         80
        .size:           4
        .value_kind:     by_value
      - .offset:         84
        .size:           4
        .value_kind:     by_value
      - .offset:         88
        .size:           4
        .value_kind:     by_value
      - .offset:         92
        .size:           4
        .value_kind:     by_value
    .group_segment_fixed_size: 32
    .kernarg_segment_align: 8
    .kernarg_segment_size: 96
    .language:       OpenCL C
    .language_version:
      - 2
      - 0
    .max_flat_workgroup_size: 1024
    .name:           _ZN5aiter36smooth_per_token_scaled_quant_kernelIDF16_DB8_Li512ELi16ELb0ELb0ELb0ELi1024EEEvPT0_PfPT_S4_PiS7_iiPKiiiiiiiii
    .private_segment_fixed_size: 0
    .sgpr_count:     45
    .sgpr_spill_count: 0
    .symbol:         _ZN5aiter36smooth_per_token_scaled_quant_kernelIDF16_DB8_Li512ELi16ELb0ELb0ELb0ELi1024EEEvPT0_PfPT_S4_PiS7_iiPKiiiiiiiii.kd
    .uniform_work_group_size: 1
    .uses_dynamic_stack: false
    .vgpr_count:     80
    .vgpr_spill_count: 0
    .wavefront_size: 64
  - .agpr_count:     0
    .args:
      - .actual_access:  write_only
        .address_space:  global
        .offset:         0
        .size:           8
        .value_kind:     global_buffer
      - .actual_access:  write_only
        .address_space:  global
        .offset:         8
        .size:           8
        .value_kind:     global_buffer
      - .actual_access:  read_only
        .address_space:  global
        .offset:         16
        .size:           8
        .value_kind:     global_buffer
      - .actual_access:  read_only
        .address_space:  global
        .offset:         24
        .size:           8
        .value_kind:     global_buffer
      - .actual_access:  read_only
        .address_space:  global
        .offset:         32
        .size:           8
        .value_kind:     global_buffer
      - .actual_access:  read_only
        .address_space:  global
        .offset:         40
        .size:           8
        .value_kind:     global_buffer
      - .offset:         48
        .size:           4
        .value_kind:     by_value
      - .offset:         52
        .size:           4
        .value_kind:     by_value
      - .actual_access:  read_only
        .address_space:  global
        .offset:         56
        .size:           8
        .value_kind:     global_buffer
      - .offset:         64
        .size:           4
        .value_kind:     by_value
      - .offset:         68
        .size:           4
        .value_kind:     by_value
      - .offset:         72
        .size:           4
        .value_kind:     by_value
      - .offset:         76
        .size:           4
        .value_kind:     by_value
      - .offset:         80
        .size:           4
        .value_kind:     by_value
      - .offset:         84
        .size:           4
        .value_kind:     by_value
      - .offset:         88
        .size:           4
        .value_kind:     by_value
      - .offset:         92
        .size:           4
        .value_kind:     by_value
    .group_segment_fixed_size: 32
    .kernarg_segment_align: 8
    .kernarg_segment_size: 96
    .language:       OpenCL C
    .language_version:
      - 2
      - 0
    .max_flat_workgroup_size: 1024
    .name:           _ZN5aiter36smooth_per_token_scaled_quant_kernelItDB8_Li512ELi16ELb0ELb0ELb0ELi1024EEEvPT0_PfPT_S4_PiS7_iiPKiiiiiiiii
    .private_segment_fixed_size: 0
    .sgpr_count:     45
    .sgpr_spill_count: 0
    .symbol:         _ZN5aiter36smooth_per_token_scaled_quant_kernelItDB8_Li512ELi16ELb0ELb0ELb0ELi1024EEEvPT0_PfPT_S4_PiS7_iiPKiiiiiiiii.kd
    .uniform_work_group_size: 1
    .uses_dynamic_stack: false
    .vgpr_count:     80
    .vgpr_spill_count: 0
    .wavefront_size: 64
  - .agpr_count:     0
    .args:
      - .actual_access:  write_only
        .address_space:  global
        .offset:         0
        .size:           8
        .value_kind:     global_buffer
      - .actual_access:  write_only
        .address_space:  global
        .offset:         8
        .size:           8
        .value_kind:     global_buffer
      - .actual_access:  read_only
        .address_space:  global
        .offset:         16
        .size:           8
        .value_kind:     global_buffer
      - .actual_access:  read_only
        .address_space:  global
        .offset:         24
        .size:           8
        .value_kind:     global_buffer
      - .actual_access:  read_only
        .address_space:  global
        .offset:         32
        .size:           8
        .value_kind:     global_buffer
      - .address_space:  global
        .offset:         40
        .size:           8
        .value_kind:     global_buffer
      - .offset:         48
        .size:           4
        .value_kind:     by_value
      - .offset:         52
        .size:           4
        .value_kind:     by_value
      - .actual_access:  read_only
        .address_space:  global
        .offset:         56
        .size:           8
        .value_kind:     global_buffer
      - .offset:         64
        .size:           4
        .value_kind:     by_value
      - .offset:         68
        .size:           4
        .value_kind:     by_value
      - .offset:         72
        .size:           4
        .value_kind:     by_value
      - .offset:         76
        .size:           4
        .value_kind:     by_value
      - .offset:         80
        .size:           4
        .value_kind:     by_value
      - .offset:         84
        .size:           4
        .value_kind:     by_value
      - .offset:         88
        .size:           4
        .value_kind:     by_value
      - .offset:         92
        .size:           4
        .value_kind:     by_value
    .group_segment_fixed_size: 4112
    .kernarg_segment_align: 8
    .kernarg_segment_size: 96
    .language:       OpenCL C
    .language_version:
      - 2
      - 0
    .max_flat_workgroup_size: 1024
    .name:           _ZN5aiter36smooth_per_token_scaled_quant_kernelIDF16_aLi256ELi8ELb1ELb1ELb1ELi1024EEEvPT0_PfPT_S3_PiS6_iiPKiiiiiiiii
    .private_segment_fixed_size: 0
    .sgpr_count:     52
    .sgpr_spill_count: 0
    .symbol:         _ZN5aiter36smooth_per_token_scaled_quant_kernelIDF16_aLi256ELi8ELb1ELb1ELb1ELi1024EEEvPT0_PfPT_S3_PiS6_iiPKiiiiiiiii.kd
    .uniform_work_group_size: 1
    .uses_dynamic_stack: false
    .vgpr_count:     28
    .vgpr_spill_count: 0
    .wavefront_size: 64
  - .agpr_count:     0
    .args:
      - .actual_access:  write_only
        .address_space:  global
        .offset:         0
        .size:           8
        .value_kind:     global_buffer
      - .actual_access:  write_only
        .address_space:  global
        .offset:         8
        .size:           8
        .value_kind:     global_buffer
      - .actual_access:  read_only
        .address_space:  global
        .offset:         16
        .size:           8
        .value_kind:     global_buffer
      - .actual_access:  read_only
        .address_space:  global
        .offset:         24
        .size:           8
        .value_kind:     global_buffer
      - .actual_access:  read_only
        .address_space:  global
        .offset:         32
        .size:           8
        .value_kind:     global_buffer
      - .address_space:  global
        .offset:         40
        .size:           8
        .value_kind:     global_buffer
      - .offset:         48
        .size:           4
        .value_kind:     by_value
      - .offset:         52
        .size:           4
        .value_kind:     by_value
      - .actual_access:  read_only
        .address_space:  global
        .offset:         56
        .size:           8
        .value_kind:     global_buffer
      - .offset:         64
        .size:           4
        .value_kind:     by_value
      - .offset:         68
        .size:           4
        .value_kind:     by_value
      - .offset:         72
        .size:           4
        .value_kind:     by_value
      - .offset:         76
        .size:           4
        .value_kind:     by_value
      - .offset:         80
        .size:           4
        .value_kind:     by_value
      - .offset:         84
        .size:           4
        .value_kind:     by_value
      - .offset:         88
        .size:           4
        .value_kind:     by_value
      - .offset:         92
        .size:           4
        .value_kind:     by_value
    .group_segment_fixed_size: 4112
    .kernarg_segment_align: 8
    .kernarg_segment_size: 96
    .language:       OpenCL C
    .language_version:
      - 2
      - 0
    .max_flat_workgroup_size: 1024
    .name:           _ZN5aiter36smooth_per_token_scaled_quant_kernelItaLi256ELi8ELb1ELb1ELb1ELi1024EEEvPT0_PfPT_S3_PiS6_iiPKiiiiiiiii
    .private_segment_fixed_size: 0
    .sgpr_count:     52
    .sgpr_spill_count: 0
    .symbol:         _ZN5aiter36smooth_per_token_scaled_quant_kernelItaLi256ELi8ELb1ELb1ELb1ELi1024EEEvPT0_PfPT_S3_PiS6_iiPKiiiiiiiii.kd
    .uniform_work_group_size: 1
    .uses_dynamic_stack: false
    .vgpr_count:     28
    .vgpr_spill_count: 0
    .wavefront_size: 64
  - .agpr_count:     0
    .args:
      - .actual_access:  write_only
        .address_space:  global
        .offset:         0
        .size:           8
        .value_kind:     global_buffer
      - .actual_access:  write_only
        .address_space:  global
        .offset:         8
        .size:           8
        .value_kind:     global_buffer
      - .actual_access:  read_only
        .address_space:  global
        .offset:         16
        .size:           8
        .value_kind:     global_buffer
      - .actual_access:  read_only
        .address_space:  global
        .offset:         24
        .size:           8
        .value_kind:     global_buffer
      - .actual_access:  read_only
        .address_space:  global
        .offset:         32
        .size:           8
        .value_kind:     global_buffer
      - .actual_access:  read_only
        .address_space:  global
        .offset:         40
        .size:           8
        .value_kind:     global_buffer
      - .offset:         48
        .size:           4
        .value_kind:     by_value
      - .offset:         52
        .size:           4
        .value_kind:     by_value
      - .actual_access:  read_only
        .address_space:  global
        .offset:         56
        .size:           8
        .value_kind:     global_buffer
      - .offset:         64
        .size:           4
        .value_kind:     by_value
      - .offset:         68
        .size:           4
        .value_kind:     by_value
      - .offset:         72
        .size:           4
        .value_kind:     by_value
      - .offset:         76
        .size:           4
        .value_kind:     by_value
      - .offset:         80
        .size:           4
        .value_kind:     by_value
      - .offset:         84
        .size:           4
        .value_kind:     by_value
      - .offset:         88
        .size:           4
        .value_kind:     by_value
      - .offset:         92
        .size:           4
        .value_kind:     by_value
    .group_segment_fixed_size: 16
    .kernarg_segment_align: 8
    .kernarg_segment_size: 96
    .language:       OpenCL C
    .language_version:
      - 2
      - 0
    .max_flat_workgroup_size: 1024
    .name:           _ZN5aiter36smooth_per_token_scaled_quant_kernelIDF16_aLi256ELi8ELb1ELb1ELb0ELi1024EEEvPT0_PfPT_S3_PiS6_iiPKiiiiiiiii
    .private_segment_fixed_size: 0
    .sgpr_count:     52
    .sgpr_spill_count: 0
    .symbol:         _ZN5aiter36smooth_per_token_scaled_quant_kernelIDF16_aLi256ELi8ELb1ELb1ELb0ELi1024EEEvPT0_PfPT_S3_PiS6_iiPKiiiiiiiii.kd
    .uniform_work_group_size: 1
    .uses_dynamic_stack: false
    .vgpr_count:     28
    .vgpr_spill_count: 0
    .wavefront_size: 64
  - .agpr_count:     0
    .args:
      - .actual_access:  write_only
        .address_space:  global
        .offset:         0
        .size:           8
        .value_kind:     global_buffer
      - .actual_access:  write_only
        .address_space:  global
        .offset:         8
        .size:           8
        .value_kind:     global_buffer
      - .actual_access:  read_only
        .address_space:  global
        .offset:         16
        .size:           8
        .value_kind:     global_buffer
      - .actual_access:  read_only
        .address_space:  global
        .offset:         24
        .size:           8
        .value_kind:     global_buffer
      - .actual_access:  read_only
        .address_space:  global
        .offset:         32
        .size:           8
        .value_kind:     global_buffer
      - .actual_access:  read_only
        .address_space:  global
        .offset:         40
        .size:           8
        .value_kind:     global_buffer
      - .offset:         48
        .size:           4
        .value_kind:     by_value
      - .offset:         52
        .size:           4
        .value_kind:     by_value
      - .actual_access:  read_only
        .address_space:  global
        .offset:         56
        .size:           8
        .value_kind:     global_buffer
      - .offset:         64
        .size:           4
        .value_kind:     by_value
      - .offset:         68
        .size:           4
        .value_kind:     by_value
      - .offset:         72
        .size:           4
        .value_kind:     by_value
      - .offset:         76
        .size:           4
        .value_kind:     by_value
      - .offset:         80
        .size:           4
        .value_kind:     by_value
      - .offset:         84
        .size:           4
        .value_kind:     by_value
      - .offset:         88
        .size:           4
        .value_kind:     by_value
      - .offset:         92
        .size:           4
        .value_kind:     by_value
    .group_segment_fixed_size: 16
    .kernarg_segment_align: 8
    .kernarg_segment_size: 96
    .language:       OpenCL C
    .language_version:
      - 2
      - 0
    .max_flat_workgroup_size: 1024
    .name:           _ZN5aiter36smooth_per_token_scaled_quant_kernelItaLi256ELi8ELb1ELb1ELb0ELi1024EEEvPT0_PfPT_S3_PiS6_iiPKiiiiiiiii
    .private_segment_fixed_size: 0
    .sgpr_count:     52
    .sgpr_spill_count: 0
    .symbol:         _ZN5aiter36smooth_per_token_scaled_quant_kernelItaLi256ELi8ELb1ELb1ELb0ELi1024EEEvPT0_PfPT_S3_PiS6_iiPKiiiiiiiii.kd
    .uniform_work_group_size: 1
    .uses_dynamic_stack: false
    .vgpr_count:     28
    .vgpr_spill_count: 0
    .wavefront_size: 64
  - .agpr_count:     0
    .args:
      - .actual_access:  write_only
        .address_space:  global
        .offset:         0
        .size:           8
        .value_kind:     global_buffer
      - .actual_access:  write_only
        .address_space:  global
        .offset:         8
        .size:           8
        .value_kind:     global_buffer
      - .actual_access:  read_only
        .address_space:  global
        .offset:         16
        .size:           8
        .value_kind:     global_buffer
      - .actual_access:  read_only
        .address_space:  global
        .offset:         24
        .size:           8
        .value_kind:     global_buffer
      - .actual_access:  read_only
        .address_space:  global
        .offset:         32
        .size:           8
        .value_kind:     global_buffer
      - .actual_access:  read_only
        .address_space:  global
        .offset:         40
        .size:           8
        .value_kind:     global_buffer
      - .offset:         48
        .size:           4
        .value_kind:     by_value
      - .offset:         52
        .size:           4
        .value_kind:     by_value
      - .actual_access:  read_only
        .address_space:  global
        .offset:         56
        .size:           8
        .value_kind:     global_buffer
      - .offset:         64
        .size:           4
        .value_kind:     by_value
      - .offset:         68
        .size:           4
        .value_kind:     by_value
      - .offset:         72
        .size:           4
        .value_kind:     by_value
      - .offset:         76
        .size:           4
        .value_kind:     by_value
      - .offset:         80
        .size:           4
        .value_kind:     by_value
      - .offset:         84
        .size:           4
        .value_kind:     by_value
      - .offset:         88
        .size:           4
        .value_kind:     by_value
      - .offset:         92
        .size:           4
        .value_kind:     by_value
    .group_segment_fixed_size: 16
    .kernarg_segment_align: 8
    .kernarg_segment_size: 96
    .language:       OpenCL C
    .language_version:
      - 2
      - 0
    .max_flat_workgroup_size: 1024
    .name:           _ZN5aiter36smooth_per_token_scaled_quant_kernelIDF16_aLi256ELi8ELb1ELb0ELb0ELi1024EEEvPT0_PfPT_S3_PiS6_iiPKiiiiiiiii
    .private_segment_fixed_size: 0
    .sgpr_count:     46
    .sgpr_spill_count: 0
    .symbol:         _ZN5aiter36smooth_per_token_scaled_quant_kernelIDF16_aLi256ELi8ELb1ELb0ELb0ELi1024EEEvPT0_PfPT_S3_PiS6_iiPKiiiiiiiii.kd
    .uniform_work_group_size: 1
    .uses_dynamic_stack: false
    .vgpr_count:     26
    .vgpr_spill_count: 0
    .wavefront_size: 64
  - .agpr_count:     0
    .args:
      - .actual_access:  write_only
        .address_space:  global
        .offset:         0
        .size:           8
        .value_kind:     global_buffer
      - .actual_access:  write_only
        .address_space:  global
        .offset:         8
        .size:           8
        .value_kind:     global_buffer
      - .actual_access:  read_only
        .address_space:  global
        .offset:         16
        .size:           8
        .value_kind:     global_buffer
      - .actual_access:  read_only
        .address_space:  global
        .offset:         24
        .size:           8
        .value_kind:     global_buffer
      - .actual_access:  read_only
        .address_space:  global
        .offset:         32
        .size:           8
        .value_kind:     global_buffer
      - .actual_access:  read_only
        .address_space:  global
        .offset:         40
        .size:           8
        .value_kind:     global_buffer
      - .offset:         48
        .size:           4
        .value_kind:     by_value
      - .offset:         52
        .size:           4
        .value_kind:     by_value
      - .actual_access:  read_only
        .address_space:  global
        .offset:         56
        .size:           8
        .value_kind:     global_buffer
      - .offset:         64
        .size:           4
        .value_kind:     by_value
      - .offset:         68
        .size:           4
        .value_kind:     by_value
      - .offset:         72
        .size:           4
        .value_kind:     by_value
      - .offset:         76
        .size:           4
        .value_kind:     by_value
      - .offset:         80
        .size:           4
        .value_kind:     by_value
      - .offset:         84
        .size:           4
        .value_kind:     by_value
      - .offset:         88
        .size:           4
        .value_kind:     by_value
      - .offset:         92
        .size:           4
        .value_kind:     by_value
    .group_segment_fixed_size: 16
    .kernarg_segment_align: 8
    .kernarg_segment_size: 96
    .language:       OpenCL C
    .language_version:
      - 2
      - 0
    .max_flat_workgroup_size: 1024
    .name:           _ZN5aiter36smooth_per_token_scaled_quant_kernelItaLi256ELi8ELb1ELb0ELb0ELi1024EEEvPT0_PfPT_S3_PiS6_iiPKiiiiiiiii
    .private_segment_fixed_size: 0
    .sgpr_count:     46
    .sgpr_spill_count: 0
    .symbol:         _ZN5aiter36smooth_per_token_scaled_quant_kernelItaLi256ELi8ELb1ELb0ELb0ELi1024EEEvPT0_PfPT_S3_PiS6_iiPKiiiiiiiii.kd
    .uniform_work_group_size: 1
    .uses_dynamic_stack: false
    .vgpr_count:     26
    .vgpr_spill_count: 0
    .wavefront_size: 64
  - .agpr_count:     0
    .args:
      - .actual_access:  write_only
        .address_space:  global
        .offset:         0
        .size:           8
        .value_kind:     global_buffer
      - .actual_access:  write_only
        .address_space:  global
        .offset:         8
        .size:           8
        .value_kind:     global_buffer
      - .actual_access:  read_only
        .address_space:  global
        .offset:         16
        .size:           8
        .value_kind:     global_buffer
      - .actual_access:  read_only
        .address_space:  global
        .offset:         24
        .size:           8
        .value_kind:     global_buffer
      - .actual_access:  read_only
        .address_space:  global
        .offset:         32
        .size:           8
        .value_kind:     global_buffer
      - .address_space:  global
        .offset:         40
        .size:           8
        .value_kind:     global_buffer
      - .offset:         48
        .size:           4
        .value_kind:     by_value
      - .offset:         52
        .size:           4
        .value_kind:     by_value
      - .actual_access:  read_only
        .address_space:  global
        .offset:         56
        .size:           8
        .value_kind:     global_buffer
      - .offset:         64
        .size:           4
        .value_kind:     by_value
      - .offset:         68
        .size:           4
        .value_kind:     by_value
      - .offset:         72
        .size:           4
        .value_kind:     by_value
      - .offset:         76
        .size:           4
        .value_kind:     by_value
      - .offset:         80
        .size:           4
        .value_kind:     by_value
      - .offset:         84
        .size:           4
        .value_kind:     by_value
      - .offset:         88
        .size:           4
        .value_kind:     by_value
      - .offset:         92
        .size:           4
        .value_kind:     by_value
    .group_segment_fixed_size: 4112
    .kernarg_segment_align: 8
    .kernarg_segment_size: 96
    .language:       OpenCL C
    .language_version:
      - 2
      - 0
    .max_flat_workgroup_size: 1024
    .name:           _ZN5aiter36smooth_per_token_scaled_quant_kernelIDF16_aLi256ELi8ELb0ELb1ELb1ELi1024EEEvPT0_PfPT_S3_PiS6_iiPKiiiiiiiii
    .private_segment_fixed_size: 0
    .sgpr_count:     48
    .sgpr_spill_count: 0
    .symbol:         _ZN5aiter36smooth_per_token_scaled_quant_kernelIDF16_aLi256ELi8ELb0ELb1ELb1ELi1024EEEvPT0_PfPT_S3_PiS6_iiPKiiiiiiiii.kd
    .uniform_work_group_size: 1
    .uses_dynamic_stack: false
    .vgpr_count:     28
    .vgpr_spill_count: 0
    .wavefront_size: 64
  - .agpr_count:     0
    .args:
      - .actual_access:  write_only
        .address_space:  global
        .offset:         0
        .size:           8
        .value_kind:     global_buffer
      - .actual_access:  write_only
        .address_space:  global
        .offset:         8
        .size:           8
        .value_kind:     global_buffer
      - .actual_access:  read_only
        .address_space:  global
        .offset:         16
        .size:           8
        .value_kind:     global_buffer
      - .actual_access:  read_only
        .address_space:  global
        .offset:         24
        .size:           8
        .value_kind:     global_buffer
      - .actual_access:  read_only
        .address_space:  global
        .offset:         32
        .size:           8
        .value_kind:     global_buffer
      - .address_space:  global
        .offset:         40
        .size:           8
        .value_kind:     global_buffer
      - .offset:         48
        .size:           4
        .value_kind:     by_value
      - .offset:         52
        .size:           4
        .value_kind:     by_value
      - .actual_access:  read_only
        .address_space:  global
        .offset:         56
        .size:           8
        .value_kind:     global_buffer
      - .offset:         64
        .size:           4
        .value_kind:     by_value
      - .offset:         68
        .size:           4
        .value_kind:     by_value
      - .offset:         72
        .size:           4
        .value_kind:     by_value
      - .offset:         76
        .size:           4
        .value_kind:     by_value
      - .offset:         80
        .size:           4
        .value_kind:     by_value
      - .offset:         84
        .size:           4
        .value_kind:     by_value
      - .offset:         88
        .size:           4
        .value_kind:     by_value
      - .offset:         92
        .size:           4
        .value_kind:     by_value
    .group_segment_fixed_size: 4112
    .kernarg_segment_align: 8
    .kernarg_segment_size: 96
    .language:       OpenCL C
    .language_version:
      - 2
      - 0
    .max_flat_workgroup_size: 1024
    .name:           _ZN5aiter36smooth_per_token_scaled_quant_kernelItaLi256ELi8ELb0ELb1ELb1ELi1024EEEvPT0_PfPT_S3_PiS6_iiPKiiiiiiiii
    .private_segment_fixed_size: 0
    .sgpr_count:     48
    .sgpr_spill_count: 0
    .symbol:         _ZN5aiter36smooth_per_token_scaled_quant_kernelItaLi256ELi8ELb0ELb1ELb1ELi1024EEEvPT0_PfPT_S3_PiS6_iiPKiiiiiiiii.kd
    .uniform_work_group_size: 1
    .uses_dynamic_stack: false
    .vgpr_count:     28
    .vgpr_spill_count: 0
    .wavefront_size: 64
  - .agpr_count:     0
    .args:
      - .actual_access:  write_only
        .address_space:  global
        .offset:         0
        .size:           8
        .value_kind:     global_buffer
      - .actual_access:  write_only
        .address_space:  global
        .offset:         8
        .size:           8
        .value_kind:     global_buffer
      - .actual_access:  read_only
        .address_space:  global
        .offset:         16
        .size:           8
        .value_kind:     global_buffer
      - .actual_access:  read_only
        .address_space:  global
        .offset:         24
        .size:           8
        .value_kind:     global_buffer
      - .actual_access:  read_only
        .address_space:  global
        .offset:         32
        .size:           8
        .value_kind:     global_buffer
      - .actual_access:  read_only
        .address_space:  global
        .offset:         40
        .size:           8
        .value_kind:     global_buffer
      - .offset:         48
        .size:           4
        .value_kind:     by_value
      - .offset:         52
        .size:           4
        .value_kind:     by_value
      - .actual_access:  read_only
        .address_space:  global
        .offset:         56
        .size:           8
        .value_kind:     global_buffer
      - .offset:         64
        .size:           4
        .value_kind:     by_value
      - .offset:         68
        .size:           4
        .value_kind:     by_value
      - .offset:         72
        .size:           4
        .value_kind:     by_value
      - .offset:         76
        .size:           4
        .value_kind:     by_value
      - .offset:         80
        .size:           4
        .value_kind:     by_value
      - .offset:         84
        .size:           4
        .value_kind:     by_value
      - .offset:         88
        .size:           4
        .value_kind:     by_value
      - .offset:         92
        .size:           4
        .value_kind:     by_value
    .group_segment_fixed_size: 16
    .kernarg_segment_align: 8
    .kernarg_segment_size: 96
    .language:       OpenCL C
    .language_version:
      - 2
      - 0
    .max_flat_workgroup_size: 1024
    .name:           _ZN5aiter36smooth_per_token_scaled_quant_kernelIDF16_aLi256ELi8ELb0ELb1ELb0ELi1024EEEvPT0_PfPT_S3_PiS6_iiPKiiiiiiiii
    .private_segment_fixed_size: 0
    .sgpr_count:     48
    .sgpr_spill_count: 0
    .symbol:         _ZN5aiter36smooth_per_token_scaled_quant_kernelIDF16_aLi256ELi8ELb0ELb1ELb0ELi1024EEEvPT0_PfPT_S3_PiS6_iiPKiiiiiiiii.kd
    .uniform_work_group_size: 1
    .uses_dynamic_stack: false
    .vgpr_count:     28
    .vgpr_spill_count: 0
    .wavefront_size: 64
  - .agpr_count:     0
    .args:
      - .actual_access:  write_only
        .address_space:  global
        .offset:         0
        .size:           8
        .value_kind:     global_buffer
      - .actual_access:  write_only
        .address_space:  global
        .offset:         8
        .size:           8
        .value_kind:     global_buffer
      - .actual_access:  read_only
        .address_space:  global
        .offset:         16
        .size:           8
        .value_kind:     global_buffer
      - .actual_access:  read_only
        .address_space:  global
        .offset:         24
        .size:           8
        .value_kind:     global_buffer
      - .actual_access:  read_only
        .address_space:  global
        .offset:         32
        .size:           8
        .value_kind:     global_buffer
      - .actual_access:  read_only
        .address_space:  global
        .offset:         40
        .size:           8
        .value_kind:     global_buffer
      - .offset:         48
        .size:           4
        .value_kind:     by_value
      - .offset:         52
        .size:           4
        .value_kind:     by_value
      - .actual_access:  read_only
        .address_space:  global
        .offset:         56
        .size:           8
        .value_kind:     global_buffer
      - .offset:         64
        .size:           4
        .value_kind:     by_value
      - .offset:         68
        .size:           4
        .value_kind:     by_value
      - .offset:         72
        .size:           4
        .value_kind:     by_value
      - .offset:         76
        .size:           4
        .value_kind:     by_value
      - .offset:         80
        .size:           4
        .value_kind:     by_value
      - .offset:         84
        .size:           4
        .value_kind:     by_value
      - .offset:         88
        .size:           4
        .value_kind:     by_value
      - .offset:         92
        .size:           4
        .value_kind:     by_value
    .group_segment_fixed_size: 16
    .kernarg_segment_align: 8
    .kernarg_segment_size: 96
    .language:       OpenCL C
    .language_version:
      - 2
      - 0
    .max_flat_workgroup_size: 1024
    .name:           _ZN5aiter36smooth_per_token_scaled_quant_kernelItaLi256ELi8ELb0ELb1ELb0ELi1024EEEvPT0_PfPT_S3_PiS6_iiPKiiiiiiiii
    .private_segment_fixed_size: 0
    .sgpr_count:     48
    .sgpr_spill_count: 0
    .symbol:         _ZN5aiter36smooth_per_token_scaled_quant_kernelItaLi256ELi8ELb0ELb1ELb0ELi1024EEEvPT0_PfPT_S3_PiS6_iiPKiiiiiiiii.kd
    .uniform_work_group_size: 1
    .uses_dynamic_stack: false
    .vgpr_count:     28
    .vgpr_spill_count: 0
    .wavefront_size: 64
  - .agpr_count:     0
    .args:
      - .actual_access:  write_only
        .address_space:  global
        .offset:         0
        .size:           8
        .value_kind:     global_buffer
      - .actual_access:  write_only
        .address_space:  global
        .offset:         8
        .size:           8
        .value_kind:     global_buffer
      - .actual_access:  read_only
        .address_space:  global
        .offset:         16
        .size:           8
        .value_kind:     global_buffer
      - .actual_access:  read_only
        .address_space:  global
        .offset:         24
        .size:           8
        .value_kind:     global_buffer
      - .actual_access:  read_only
        .address_space:  global
        .offset:         32
        .size:           8
        .value_kind:     global_buffer
      - .actual_access:  read_only
        .address_space:  global
        .offset:         40
        .size:           8
        .value_kind:     global_buffer
      - .offset:         48
        .size:           4
        .value_kind:     by_value
      - .offset:         52
        .size:           4
        .value_kind:     by_value
      - .actual_access:  read_only
        .address_space:  global
        .offset:         56
        .size:           8
        .value_kind:     global_buffer
      - .offset:         64
        .size:           4
        .value_kind:     by_value
      - .offset:         68
        .size:           4
        .value_kind:     by_value
      - .offset:         72
        .size:           4
        .value_kind:     by_value
      - .offset:         76
        .size:           4
        .value_kind:     by_value
      - .offset:         80
        .size:           4
        .value_kind:     by_value
      - .offset:         84
        .size:           4
        .value_kind:     by_value
      - .offset:         88
        .size:           4
        .value_kind:     by_value
      - .offset:         92
        .size:           4
        .value_kind:     by_value
    .group_segment_fixed_size: 16
    .kernarg_segment_align: 8
    .kernarg_segment_size: 96
    .language:       OpenCL C
    .language_version:
      - 2
      - 0
    .max_flat_workgroup_size: 1024
    .name:           _ZN5aiter36smooth_per_token_scaled_quant_kernelIDF16_aLi256ELi8ELb0ELb0ELb0ELi1024EEEvPT0_PfPT_S3_PiS6_iiPKiiiiiiiii
    .private_segment_fixed_size: 0
    .sgpr_count:     43
    .sgpr_spill_count: 0
    .symbol:         _ZN5aiter36smooth_per_token_scaled_quant_kernelIDF16_aLi256ELi8ELb0ELb0ELb0ELi1024EEEvPT0_PfPT_S3_PiS6_iiPKiiiiiiiii.kd
    .uniform_work_group_size: 1
    .uses_dynamic_stack: false
    .vgpr_count:     26
    .vgpr_spill_count: 0
    .wavefront_size: 64
  - .agpr_count:     0
    .args:
      - .actual_access:  write_only
        .address_space:  global
        .offset:         0
        .size:           8
        .value_kind:     global_buffer
      - .actual_access:  write_only
        .address_space:  global
        .offset:         8
        .size:           8
        .value_kind:     global_buffer
      - .actual_access:  read_only
        .address_space:  global
        .offset:         16
        .size:           8
        .value_kind:     global_buffer
      - .actual_access:  read_only
        .address_space:  global
        .offset:         24
        .size:           8
        .value_kind:     global_buffer
      - .actual_access:  read_only
        .address_space:  global
        .offset:         32
        .size:           8
        .value_kind:     global_buffer
      - .actual_access:  read_only
        .address_space:  global
        .offset:         40
        .size:           8
        .value_kind:     global_buffer
      - .offset:         48
        .size:           4
        .value_kind:     by_value
      - .offset:         52
        .size:           4
        .value_kind:     by_value
      - .actual_access:  read_only
        .address_space:  global
        .offset:         56
        .size:           8
        .value_kind:     global_buffer
      - .offset:         64
        .size:           4
        .value_kind:     by_value
      - .offset:         68
        .size:           4
        .value_kind:     by_value
      - .offset:         72
        .size:           4
        .value_kind:     by_value
      - .offset:         76
        .size:           4
        .value_kind:     by_value
      - .offset:         80
        .size:           4
        .value_kind:     by_value
      - .offset:         84
        .size:           4
        .value_kind:     by_value
      - .offset:         88
        .size:           4
        .value_kind:     by_value
      - .offset:         92
        .size:           4
        .value_kind:     by_value
    .group_segment_fixed_size: 16
    .kernarg_segment_align: 8
    .kernarg_segment_size: 96
    .language:       OpenCL C
    .language_version:
      - 2
      - 0
    .max_flat_workgroup_size: 1024
    .name:           _ZN5aiter36smooth_per_token_scaled_quant_kernelItaLi256ELi8ELb0ELb0ELb0ELi1024EEEvPT0_PfPT_S3_PiS6_iiPKiiiiiiiii
    .private_segment_fixed_size: 0
    .sgpr_count:     43
    .sgpr_spill_count: 0
    .symbol:         _ZN5aiter36smooth_per_token_scaled_quant_kernelItaLi256ELi8ELb0ELb0ELb0ELi1024EEEvPT0_PfPT_S3_PiS6_iiPKiiiiiiiii.kd
    .uniform_work_group_size: 1
    .uses_dynamic_stack: false
    .vgpr_count:     26
    .vgpr_spill_count: 0
    .wavefront_size: 64
  - .agpr_count:     0
    .args:
      - .actual_access:  write_only
        .address_space:  global
        .offset:         0
        .size:           8
        .value_kind:     global_buffer
      - .actual_access:  write_only
        .address_space:  global
        .offset:         8
        .size:           8
        .value_kind:     global_buffer
      - .actual_access:  read_only
        .address_space:  global
        .offset:         16
        .size:           8
        .value_kind:     global_buffer
      - .actual_access:  read_only
        .address_space:  global
        .offset:         24
        .size:           8
        .value_kind:     global_buffer
      - .actual_access:  read_only
        .address_space:  global
        .offset:         32
        .size:           8
        .value_kind:     global_buffer
      - .address_space:  global
        .offset:         40
        .size:           8
        .value_kind:     global_buffer
      - .offset:         48
        .size:           4
        .value_kind:     by_value
      - .offset:         52
        .size:           4
        .value_kind:     by_value
      - .actual_access:  read_only
        .address_space:  global
        .offset:         56
        .size:           8
        .value_kind:     global_buffer
      - .offset:         64
        .size:           4
        .value_kind:     by_value
      - .offset:         68
        .size:           4
        .value_kind:     by_value
      - .offset:         72
        .size:           4
        .value_kind:     by_value
      - .offset:         76
        .size:           4
        .value_kind:     by_value
      - .offset:         80
        .size:           4
        .value_kind:     by_value
      - .offset:         84
        .size:           4
        .value_kind:     by_value
      - .offset:         88
        .size:           4
        .value_kind:     by_value
      - .offset:         92
        .size:           4
        .value_kind:     by_value
    .group_segment_fixed_size: 4112
    .kernarg_segment_align: 8
    .kernarg_segment_size: 96
    .language:       OpenCL C
    .language_version:
      - 2
      - 0
    .max_flat_workgroup_size: 1024
    .name:           _ZN5aiter36smooth_per_token_scaled_quant_kernelIDF16_aLi256ELi16ELb1ELb1ELb1ELi1024EEEvPT0_PfPT_S3_PiS6_iiPKiiiiiiiii
    .private_segment_fixed_size: 0
    .sgpr_count:     52
    .sgpr_spill_count: 0
    .symbol:         _ZN5aiter36smooth_per_token_scaled_quant_kernelIDF16_aLi256ELi16ELb1ELb1ELb1ELi1024EEEvPT0_PfPT_S3_PiS6_iiPKiiiiiiiii.kd
    .uniform_work_group_size: 1
    .uses_dynamic_stack: false
    .vgpr_count:     44
    .vgpr_spill_count: 0
    .wavefront_size: 64
  - .agpr_count:     0
    .args:
      - .actual_access:  write_only
        .address_space:  global
        .offset:         0
        .size:           8
        .value_kind:     global_buffer
      - .actual_access:  write_only
        .address_space:  global
        .offset:         8
        .size:           8
        .value_kind:     global_buffer
      - .actual_access:  read_only
        .address_space:  global
        .offset:         16
        .size:           8
        .value_kind:     global_buffer
      - .actual_access:  read_only
        .address_space:  global
        .offset:         24
        .size:           8
        .value_kind:     global_buffer
      - .actual_access:  read_only
        .address_space:  global
        .offset:         32
        .size:           8
        .value_kind:     global_buffer
      - .address_space:  global
        .offset:         40
        .size:           8
        .value_kind:     global_buffer
      - .offset:         48
        .size:           4
        .value_kind:     by_value
      - .offset:         52
        .size:           4
        .value_kind:     by_value
      - .actual_access:  read_only
        .address_space:  global
        .offset:         56
        .size:           8
        .value_kind:     global_buffer
      - .offset:         64
        .size:           4
        .value_kind:     by_value
      - .offset:         68
        .size:           4
        .value_kind:     by_value
      - .offset:         72
        .size:           4
        .value_kind:     by_value
      - .offset:         76
        .size:           4
        .value_kind:     by_value
      - .offset:         80
        .size:           4
        .value_kind:     by_value
      - .offset:         84
        .size:           4
        .value_kind:     by_value
      - .offset:         88
        .size:           4
        .value_kind:     by_value
      - .offset:         92
        .size:           4
        .value_kind:     by_value
    .group_segment_fixed_size: 4112
    .kernarg_segment_align: 8
    .kernarg_segment_size: 96
    .language:       OpenCL C
    .language_version:
      - 2
      - 0
    .max_flat_workgroup_size: 1024
    .name:           _ZN5aiter36smooth_per_token_scaled_quant_kernelItaLi256ELi16ELb1ELb1ELb1ELi1024EEEvPT0_PfPT_S3_PiS6_iiPKiiiiiiiii
    .private_segment_fixed_size: 0
    .sgpr_count:     52
    .sgpr_spill_count: 0
    .symbol:         _ZN5aiter36smooth_per_token_scaled_quant_kernelItaLi256ELi16ELb1ELb1ELb1ELi1024EEEvPT0_PfPT_S3_PiS6_iiPKiiiiiiiii.kd
    .uniform_work_group_size: 1
    .uses_dynamic_stack: false
    .vgpr_count:     44
    .vgpr_spill_count: 0
    .wavefront_size: 64
  - .agpr_count:     0
    .args:
      - .actual_access:  write_only
        .address_space:  global
        .offset:         0
        .size:           8
        .value_kind:     global_buffer
      - .actual_access:  write_only
        .address_space:  global
        .offset:         8
        .size:           8
        .value_kind:     global_buffer
      - .actual_access:  read_only
        .address_space:  global
        .offset:         16
        .size:           8
        .value_kind:     global_buffer
      - .actual_access:  read_only
        .address_space:  global
        .offset:         24
        .size:           8
        .value_kind:     global_buffer
      - .actual_access:  read_only
        .address_space:  global
        .offset:         32
        .size:           8
        .value_kind:     global_buffer
      - .actual_access:  read_only
        .address_space:  global
        .offset:         40
        .size:           8
        .value_kind:     global_buffer
      - .offset:         48
        .size:           4
        .value_kind:     by_value
      - .offset:         52
        .size:           4
        .value_kind:     by_value
      - .actual_access:  read_only
        .address_space:  global
        .offset:         56
        .size:           8
        .value_kind:     global_buffer
      - .offset:         64
        .size:           4
        .value_kind:     by_value
      - .offset:         68
        .size:           4
        .value_kind:     by_value
      - .offset:         72
        .size:           4
        .value_kind:     by_value
      - .offset:         76
        .size:           4
        .value_kind:     by_value
      - .offset:         80
        .size:           4
        .value_kind:     by_value
      - .offset:         84
        .size:           4
        .value_kind:     by_value
      - .offset:         88
        .size:           4
        .value_kind:     by_value
      - .offset:         92
        .size:           4
        .value_kind:     by_value
    .group_segment_fixed_size: 16
    .kernarg_segment_align: 8
    .kernarg_segment_size: 96
    .language:       OpenCL C
    .language_version:
      - 2
      - 0
    .max_flat_workgroup_size: 1024
    .name:           _ZN5aiter36smooth_per_token_scaled_quant_kernelIDF16_aLi256ELi16ELb1ELb1ELb0ELi1024EEEvPT0_PfPT_S3_PiS6_iiPKiiiiiiiii
    .private_segment_fixed_size: 0
    .sgpr_count:     52
    .sgpr_spill_count: 0
    .symbol:         _ZN5aiter36smooth_per_token_scaled_quant_kernelIDF16_aLi256ELi16ELb1ELb1ELb0ELi1024EEEvPT0_PfPT_S3_PiS6_iiPKiiiiiiiii.kd
    .uniform_work_group_size: 1
    .uses_dynamic_stack: false
    .vgpr_count:     44
    .vgpr_spill_count: 0
    .wavefront_size: 64
  - .agpr_count:     0
    .args:
      - .actual_access:  write_only
        .address_space:  global
        .offset:         0
        .size:           8
        .value_kind:     global_buffer
      - .actual_access:  write_only
        .address_space:  global
        .offset:         8
        .size:           8
        .value_kind:     global_buffer
      - .actual_access:  read_only
        .address_space:  global
        .offset:         16
        .size:           8
        .value_kind:     global_buffer
      - .actual_access:  read_only
        .address_space:  global
        .offset:         24
        .size:           8
        .value_kind:     global_buffer
      - .actual_access:  read_only
        .address_space:  global
        .offset:         32
        .size:           8
        .value_kind:     global_buffer
      - .actual_access:  read_only
        .address_space:  global
        .offset:         40
        .size:           8
        .value_kind:     global_buffer
      - .offset:         48
        .size:           4
        .value_kind:     by_value
      - .offset:         52
        .size:           4
        .value_kind:     by_value
      - .actual_access:  read_only
        .address_space:  global
        .offset:         56
        .size:           8
        .value_kind:     global_buffer
      - .offset:         64
        .size:           4
        .value_kind:     by_value
      - .offset:         68
        .size:           4
        .value_kind:     by_value
      - .offset:         72
        .size:           4
        .value_kind:     by_value
      - .offset:         76
        .size:           4
        .value_kind:     by_value
      - .offset:         80
        .size:           4
        .value_kind:     by_value
      - .offset:         84
        .size:           4
        .value_kind:     by_value
      - .offset:         88
        .size:           4
        .value_kind:     by_value
      - .offset:         92
        .size:           4
        .value_kind:     by_value
    .group_segment_fixed_size: 16
    .kernarg_segment_align: 8
    .kernarg_segment_size: 96
    .language:       OpenCL C
    .language_version:
      - 2
      - 0
    .max_flat_workgroup_size: 1024
    .name:           _ZN5aiter36smooth_per_token_scaled_quant_kernelItaLi256ELi16ELb1ELb1ELb0ELi1024EEEvPT0_PfPT_S3_PiS6_iiPKiiiiiiiii
    .private_segment_fixed_size: 0
    .sgpr_count:     52
    .sgpr_spill_count: 0
    .symbol:         _ZN5aiter36smooth_per_token_scaled_quant_kernelItaLi256ELi16ELb1ELb1ELb0ELi1024EEEvPT0_PfPT_S3_PiS6_iiPKiiiiiiiii.kd
    .uniform_work_group_size: 1
    .uses_dynamic_stack: false
    .vgpr_count:     44
    .vgpr_spill_count: 0
    .wavefront_size: 64
  - .agpr_count:     0
    .args:
      - .actual_access:  write_only
        .address_space:  global
        .offset:         0
        .size:           8
        .value_kind:     global_buffer
      - .actual_access:  write_only
        .address_space:  global
        .offset:         8
        .size:           8
        .value_kind:     global_buffer
      - .actual_access:  read_only
        .address_space:  global
        .offset:         16
        .size:           8
        .value_kind:     global_buffer
      - .actual_access:  read_only
        .address_space:  global
        .offset:         24
        .size:           8
        .value_kind:     global_buffer
      - .actual_access:  read_only
        .address_space:  global
        .offset:         32
        .size:           8
        .value_kind:     global_buffer
      - .actual_access:  read_only
        .address_space:  global
        .offset:         40
        .size:           8
        .value_kind:     global_buffer
      - .offset:         48
        .size:           4
        .value_kind:     by_value
      - .offset:         52
        .size:           4
        .value_kind:     by_value
      - .actual_access:  read_only
        .address_space:  global
        .offset:         56
        .size:           8
        .value_kind:     global_buffer
      - .offset:         64
        .size:           4
        .value_kind:     by_value
      - .offset:         68
        .size:           4
        .value_kind:     by_value
      - .offset:         72
        .size:           4
        .value_kind:     by_value
      - .offset:         76
        .size:           4
        .value_kind:     by_value
      - .offset:         80
        .size:           4
        .value_kind:     by_value
      - .offset:         84
        .size:           4
        .value_kind:     by_value
      - .offset:         88
        .size:           4
        .value_kind:     by_value
      - .offset:         92
        .size:           4
        .value_kind:     by_value
    .group_segment_fixed_size: 16
    .kernarg_segment_align: 8
    .kernarg_segment_size: 96
    .language:       OpenCL C
    .language_version:
      - 2
      - 0
    .max_flat_workgroup_size: 1024
    .name:           _ZN5aiter36smooth_per_token_scaled_quant_kernelIDF16_aLi256ELi16ELb1ELb0ELb0ELi1024EEEvPT0_PfPT_S3_PiS6_iiPKiiiiiiiii
    .private_segment_fixed_size: 0
    .sgpr_count:     46
    .sgpr_spill_count: 0
    .symbol:         _ZN5aiter36smooth_per_token_scaled_quant_kernelIDF16_aLi256ELi16ELb1ELb0ELb0ELi1024EEEvPT0_PfPT_S3_PiS6_iiPKiiiiiiiii.kd
    .uniform_work_group_size: 1
    .uses_dynamic_stack: false
    .vgpr_count:     78
    .vgpr_spill_count: 0
    .wavefront_size: 64
  - .agpr_count:     0
    .args:
      - .actual_access:  write_only
        .address_space:  global
        .offset:         0
        .size:           8
        .value_kind:     global_buffer
      - .actual_access:  write_only
        .address_space:  global
        .offset:         8
        .size:           8
        .value_kind:     global_buffer
      - .actual_access:  read_only
        .address_space:  global
        .offset:         16
        .size:           8
        .value_kind:     global_buffer
      - .actual_access:  read_only
        .address_space:  global
        .offset:         24
        .size:           8
        .value_kind:     global_buffer
      - .actual_access:  read_only
        .address_space:  global
        .offset:         32
        .size:           8
        .value_kind:     global_buffer
      - .actual_access:  read_only
        .address_space:  global
        .offset:         40
        .size:           8
        .value_kind:     global_buffer
      - .offset:         48
        .size:           4
        .value_kind:     by_value
      - .offset:         52
        .size:           4
        .value_kind:     by_value
      - .actual_access:  read_only
        .address_space:  global
        .offset:         56
        .size:           8
        .value_kind:     global_buffer
      - .offset:         64
        .size:           4
        .value_kind:     by_value
      - .offset:         68
        .size:           4
        .value_kind:     by_value
      - .offset:         72
        .size:           4
        .value_kind:     by_value
      - .offset:         76
        .size:           4
        .value_kind:     by_value
      - .offset:         80
        .size:           4
        .value_kind:     by_value
      - .offset:         84
        .size:           4
        .value_kind:     by_value
      - .offset:         88
        .size:           4
        .value_kind:     by_value
      - .offset:         92
        .size:           4
        .value_kind:     by_value
    .group_segment_fixed_size: 16
    .kernarg_segment_align: 8
    .kernarg_segment_size: 96
    .language:       OpenCL C
    .language_version:
      - 2
      - 0
    .max_flat_workgroup_size: 1024
    .name:           _ZN5aiter36smooth_per_token_scaled_quant_kernelItaLi256ELi16ELb1ELb0ELb0ELi1024EEEvPT0_PfPT_S3_PiS6_iiPKiiiiiiiii
    .private_segment_fixed_size: 0
    .sgpr_count:     46
    .sgpr_spill_count: 0
    .symbol:         _ZN5aiter36smooth_per_token_scaled_quant_kernelItaLi256ELi16ELb1ELb0ELb0ELi1024EEEvPT0_PfPT_S3_PiS6_iiPKiiiiiiiii.kd
    .uniform_work_group_size: 1
    .uses_dynamic_stack: false
    .vgpr_count:     78
    .vgpr_spill_count: 0
    .wavefront_size: 64
  - .agpr_count:     0
    .args:
      - .actual_access:  write_only
        .address_space:  global
        .offset:         0
        .size:           8
        .value_kind:     global_buffer
      - .actual_access:  write_only
        .address_space:  global
        .offset:         8
        .size:           8
        .value_kind:     global_buffer
      - .actual_access:  read_only
        .address_space:  global
        .offset:         16
        .size:           8
        .value_kind:     global_buffer
      - .actual_access:  read_only
        .address_space:  global
        .offset:         24
        .size:           8
        .value_kind:     global_buffer
      - .actual_access:  read_only
        .address_space:  global
        .offset:         32
        .size:           8
        .value_kind:     global_buffer
      - .address_space:  global
        .offset:         40
        .size:           8
        .value_kind:     global_buffer
      - .offset:         48
        .size:           4
        .value_kind:     by_value
      - .offset:         52
        .size:           4
        .value_kind:     by_value
      - .actual_access:  read_only
        .address_space:  global
        .offset:         56
        .size:           8
        .value_kind:     global_buffer
      - .offset:         64
        .size:           4
        .value_kind:     by_value
      - .offset:         68
        .size:           4
        .value_kind:     by_value
      - .offset:         72
        .size:           4
        .value_kind:     by_value
      - .offset:         76
        .size:           4
        .value_kind:     by_value
      - .offset:         80
        .size:           4
        .value_kind:     by_value
      - .offset:         84
        .size:           4
        .value_kind:     by_value
      - .offset:         88
        .size:           4
        .value_kind:     by_value
      - .offset:         92
        .size:           4
        .value_kind:     by_value
    .group_segment_fixed_size: 4112
    .kernarg_segment_align: 8
    .kernarg_segment_size: 96
    .language:       OpenCL C
    .language_version:
      - 2
      - 0
    .max_flat_workgroup_size: 1024
    .name:           _ZN5aiter36smooth_per_token_scaled_quant_kernelIDF16_aLi256ELi16ELb0ELb1ELb1ELi1024EEEvPT0_PfPT_S3_PiS6_iiPKiiiiiiiii
    .private_segment_fixed_size: 0
    .sgpr_count:     48
    .sgpr_spill_count: 0
    .symbol:         _ZN5aiter36smooth_per_token_scaled_quant_kernelIDF16_aLi256ELi16ELb0ELb1ELb1ELi1024EEEvPT0_PfPT_S3_PiS6_iiPKiiiiiiiii.kd
    .uniform_work_group_size: 1
    .uses_dynamic_stack: false
    .vgpr_count:     44
    .vgpr_spill_count: 0
    .wavefront_size: 64
  - .agpr_count:     0
    .args:
      - .actual_access:  write_only
        .address_space:  global
        .offset:         0
        .size:           8
        .value_kind:     global_buffer
      - .actual_access:  write_only
        .address_space:  global
        .offset:         8
        .size:           8
        .value_kind:     global_buffer
      - .actual_access:  read_only
        .address_space:  global
        .offset:         16
        .size:           8
        .value_kind:     global_buffer
      - .actual_access:  read_only
        .address_space:  global
        .offset:         24
        .size:           8
        .value_kind:     global_buffer
      - .actual_access:  read_only
        .address_space:  global
        .offset:         32
        .size:           8
        .value_kind:     global_buffer
      - .address_space:  global
        .offset:         40
        .size:           8
        .value_kind:     global_buffer
      - .offset:         48
        .size:           4
        .value_kind:     by_value
      - .offset:         52
        .size:           4
        .value_kind:     by_value
      - .actual_access:  read_only
        .address_space:  global
        .offset:         56
        .size:           8
        .value_kind:     global_buffer
      - .offset:         64
        .size:           4
        .value_kind:     by_value
      - .offset:         68
        .size:           4
        .value_kind:     by_value
      - .offset:         72
        .size:           4
        .value_kind:     by_value
      - .offset:         76
        .size:           4
        .value_kind:     by_value
      - .offset:         80
        .size:           4
        .value_kind:     by_value
      - .offset:         84
        .size:           4
        .value_kind:     by_value
      - .offset:         88
        .size:           4
        .value_kind:     by_value
      - .offset:         92
        .size:           4
        .value_kind:     by_value
    .group_segment_fixed_size: 4112
    .kernarg_segment_align: 8
    .kernarg_segment_size: 96
    .language:       OpenCL C
    .language_version:
      - 2
      - 0
    .max_flat_workgroup_size: 1024
    .name:           _ZN5aiter36smooth_per_token_scaled_quant_kernelItaLi256ELi16ELb0ELb1ELb1ELi1024EEEvPT0_PfPT_S3_PiS6_iiPKiiiiiiiii
    .private_segment_fixed_size: 0
    .sgpr_count:     48
    .sgpr_spill_count: 0
    .symbol:         _ZN5aiter36smooth_per_token_scaled_quant_kernelItaLi256ELi16ELb0ELb1ELb1ELi1024EEEvPT0_PfPT_S3_PiS6_iiPKiiiiiiiii.kd
    .uniform_work_group_size: 1
    .uses_dynamic_stack: false
    .vgpr_count:     44
    .vgpr_spill_count: 0
    .wavefront_size: 64
  - .agpr_count:     0
    .args:
      - .actual_access:  write_only
        .address_space:  global
        .offset:         0
        .size:           8
        .value_kind:     global_buffer
      - .actual_access:  write_only
        .address_space:  global
        .offset:         8
        .size:           8
        .value_kind:     global_buffer
      - .actual_access:  read_only
        .address_space:  global
        .offset:         16
        .size:           8
        .value_kind:     global_buffer
      - .actual_access:  read_only
        .address_space:  global
        .offset:         24
        .size:           8
        .value_kind:     global_buffer
      - .actual_access:  read_only
        .address_space:  global
        .offset:         32
        .size:           8
        .value_kind:     global_buffer
      - .actual_access:  read_only
        .address_space:  global
        .offset:         40
        .size:           8
        .value_kind:     global_buffer
      - .offset:         48
        .size:           4
        .value_kind:     by_value
      - .offset:         52
        .size:           4
        .value_kind:     by_value
      - .actual_access:  read_only
        .address_space:  global
        .offset:         56
        .size:           8
        .value_kind:     global_buffer
      - .offset:         64
        .size:           4
        .value_kind:     by_value
      - .offset:         68
        .size:           4
        .value_kind:     by_value
      - .offset:         72
        .size:           4
        .value_kind:     by_value
      - .offset:         76
        .size:           4
        .value_kind:     by_value
      - .offset:         80
        .size:           4
        .value_kind:     by_value
      - .offset:         84
        .size:           4
        .value_kind:     by_value
      - .offset:         88
        .size:           4
        .value_kind:     by_value
      - .offset:         92
        .size:           4
        .value_kind:     by_value
    .group_segment_fixed_size: 16
    .kernarg_segment_align: 8
    .kernarg_segment_size: 96
    .language:       OpenCL C
    .language_version:
      - 2
      - 0
    .max_flat_workgroup_size: 1024
    .name:           _ZN5aiter36smooth_per_token_scaled_quant_kernelIDF16_aLi256ELi16ELb0ELb1ELb0ELi1024EEEvPT0_PfPT_S3_PiS6_iiPKiiiiiiiii
    .private_segment_fixed_size: 0
    .sgpr_count:     48
    .sgpr_spill_count: 0
    .symbol:         _ZN5aiter36smooth_per_token_scaled_quant_kernelIDF16_aLi256ELi16ELb0ELb1ELb0ELi1024EEEvPT0_PfPT_S3_PiS6_iiPKiiiiiiiii.kd
    .uniform_work_group_size: 1
    .uses_dynamic_stack: false
    .vgpr_count:     44
    .vgpr_spill_count: 0
    .wavefront_size: 64
  - .agpr_count:     0
    .args:
      - .actual_access:  write_only
        .address_space:  global
        .offset:         0
        .size:           8
        .value_kind:     global_buffer
      - .actual_access:  write_only
        .address_space:  global
        .offset:         8
        .size:           8
        .value_kind:     global_buffer
      - .actual_access:  read_only
        .address_space:  global
        .offset:         16
        .size:           8
        .value_kind:     global_buffer
      - .actual_access:  read_only
        .address_space:  global
        .offset:         24
        .size:           8
        .value_kind:     global_buffer
      - .actual_access:  read_only
        .address_space:  global
        .offset:         32
        .size:           8
        .value_kind:     global_buffer
      - .actual_access:  read_only
        .address_space:  global
        .offset:         40
        .size:           8
        .value_kind:     global_buffer
      - .offset:         48
        .size:           4
        .value_kind:     by_value
      - .offset:         52
        .size:           4
        .value_kind:     by_value
      - .actual_access:  read_only
        .address_space:  global
        .offset:         56
        .size:           8
        .value_kind:     global_buffer
      - .offset:         64
        .size:           4
        .value_kind:     by_value
      - .offset:         68
        .size:           4
        .value_kind:     by_value
      - .offset:         72
        .size:           4
        .value_kind:     by_value
      - .offset:         76
        .size:           4
        .value_kind:     by_value
      - .offset:         80
        .size:           4
        .value_kind:     by_value
      - .offset:         84
        .size:           4
        .value_kind:     by_value
      - .offset:         88
        .size:           4
        .value_kind:     by_value
      - .offset:         92
        .size:           4
        .value_kind:     by_value
    .group_segment_fixed_size: 16
    .kernarg_segment_align: 8
    .kernarg_segment_size: 96
    .language:       OpenCL C
    .language_version:
      - 2
      - 0
    .max_flat_workgroup_size: 1024
    .name:           _ZN5aiter36smooth_per_token_scaled_quant_kernelItaLi256ELi16ELb0ELb1ELb0ELi1024EEEvPT0_PfPT_S3_PiS6_iiPKiiiiiiiii
    .private_segment_fixed_size: 0
    .sgpr_count:     48
    .sgpr_spill_count: 0
    .symbol:         _ZN5aiter36smooth_per_token_scaled_quant_kernelItaLi256ELi16ELb0ELb1ELb0ELi1024EEEvPT0_PfPT_S3_PiS6_iiPKiiiiiiiii.kd
    .uniform_work_group_size: 1
    .uses_dynamic_stack: false
    .vgpr_count:     44
    .vgpr_spill_count: 0
    .wavefront_size: 64
  - .agpr_count:     0
    .args:
      - .actual_access:  write_only
        .address_space:  global
        .offset:         0
        .size:           8
        .value_kind:     global_buffer
      - .actual_access:  write_only
        .address_space:  global
        .offset:         8
        .size:           8
        .value_kind:     global_buffer
      - .actual_access:  read_only
        .address_space:  global
        .offset:         16
        .size:           8
        .value_kind:     global_buffer
      - .actual_access:  read_only
        .address_space:  global
        .offset:         24
        .size:           8
        .value_kind:     global_buffer
      - .actual_access:  read_only
        .address_space:  global
        .offset:         32
        .size:           8
        .value_kind:     global_buffer
      - .actual_access:  read_only
        .address_space:  global
        .offset:         40
        .size:           8
        .value_kind:     global_buffer
      - .offset:         48
        .size:           4
        .value_kind:     by_value
      - .offset:         52
        .size:           4
        .value_kind:     by_value
      - .actual_access:  read_only
        .address_space:  global
        .offset:         56
        .size:           8
        .value_kind:     global_buffer
      - .offset:         64
        .size:           4
        .value_kind:     by_value
      - .offset:         68
        .size:           4
        .value_kind:     by_value
      - .offset:         72
        .size:           4
        .value_kind:     by_value
      - .offset:         76
        .size:           4
        .value_kind:     by_value
      - .offset:         80
        .size:           4
        .value_kind:     by_value
      - .offset:         84
        .size:           4
        .value_kind:     by_value
      - .offset:         88
        .size:           4
        .value_kind:     by_value
      - .offset:         92
        .size:           4
        .value_kind:     by_value
    .group_segment_fixed_size: 16
    .kernarg_segment_align: 8
    .kernarg_segment_size: 96
    .language:       OpenCL C
    .language_version:
      - 2
      - 0
    .max_flat_workgroup_size: 1024
    .name:           _ZN5aiter36smooth_per_token_scaled_quant_kernelIDF16_aLi256ELi16ELb0ELb0ELb0ELi1024EEEvPT0_PfPT_S3_PiS6_iiPKiiiiiiiii
    .private_segment_fixed_size: 0
    .sgpr_count:     43
    .sgpr_spill_count: 0
    .symbol:         _ZN5aiter36smooth_per_token_scaled_quant_kernelIDF16_aLi256ELi16ELb0ELb0ELb0ELi1024EEEvPT0_PfPT_S3_PiS6_iiPKiiiiiiiii.kd
    .uniform_work_group_size: 1
    .uses_dynamic_stack: false
    .vgpr_count:     78
    .vgpr_spill_count: 0
    .wavefront_size: 64
  - .agpr_count:     0
    .args:
      - .actual_access:  write_only
        .address_space:  global
        .offset:         0
        .size:           8
        .value_kind:     global_buffer
      - .actual_access:  write_only
        .address_space:  global
        .offset:         8
        .size:           8
        .value_kind:     global_buffer
      - .actual_access:  read_only
        .address_space:  global
        .offset:         16
        .size:           8
        .value_kind:     global_buffer
      - .actual_access:  read_only
        .address_space:  global
        .offset:         24
        .size:           8
        .value_kind:     global_buffer
      - .actual_access:  read_only
        .address_space:  global
        .offset:         32
        .size:           8
        .value_kind:     global_buffer
      - .actual_access:  read_only
        .address_space:  global
        .offset:         40
        .size:           8
        .value_kind:     global_buffer
      - .offset:         48
        .size:           4
        .value_kind:     by_value
      - .offset:         52
        .size:           4
        .value_kind:     by_value
      - .actual_access:  read_only
        .address_space:  global
        .offset:         56
        .size:           8
        .value_kind:     global_buffer
      - .offset:         64
        .size:           4
        .value_kind:     by_value
      - .offset:         68
        .size:           4
        .value_kind:     by_value
      - .offset:         72
        .size:           4
        .value_kind:     by_value
      - .offset:         76
        .size:           4
        .value_kind:     by_value
      - .offset:         80
        .size:           4
        .value_kind:     by_value
      - .offset:         84
        .size:           4
        .value_kind:     by_value
      - .offset:         88
        .size:           4
        .value_kind:     by_value
      - .offset:         92
        .size:           4
        .value_kind:     by_value
    .group_segment_fixed_size: 16
    .kernarg_segment_align: 8
    .kernarg_segment_size: 96
    .language:       OpenCL C
    .language_version:
      - 2
      - 0
    .max_flat_workgroup_size: 1024
    .name:           _ZN5aiter36smooth_per_token_scaled_quant_kernelItaLi256ELi16ELb0ELb0ELb0ELi1024EEEvPT0_PfPT_S3_PiS6_iiPKiiiiiiiii
    .private_segment_fixed_size: 0
    .sgpr_count:     43
    .sgpr_spill_count: 0
    .symbol:         _ZN5aiter36smooth_per_token_scaled_quant_kernelItaLi256ELi16ELb0ELb0ELb0ELi1024EEEvPT0_PfPT_S3_PiS6_iiPKiiiiiiiii.kd
    .uniform_work_group_size: 1
    .uses_dynamic_stack: false
    .vgpr_count:     78
    .vgpr_spill_count: 0
    .wavefront_size: 64
  - .agpr_count:     0
    .args:
      - .actual_access:  write_only
        .address_space:  global
        .offset:         0
        .size:           8
        .value_kind:     global_buffer
      - .actual_access:  write_only
        .address_space:  global
        .offset:         8
        .size:           8
        .value_kind:     global_buffer
      - .actual_access:  read_only
        .address_space:  global
        .offset:         16
        .size:           8
        .value_kind:     global_buffer
      - .actual_access:  read_only
        .address_space:  global
        .offset:         24
        .size:           8
        .value_kind:     global_buffer
      - .actual_access:  read_only
        .address_space:  global
        .offset:         32
        .size:           8
        .value_kind:     global_buffer
      - .address_space:  global
        .offset:         40
        .size:           8
        .value_kind:     global_buffer
      - .offset:         48
        .size:           4
        .value_kind:     by_value
      - .offset:         52
        .size:           4
        .value_kind:     by_value
      - .actual_access:  read_only
        .address_space:  global
        .offset:         56
        .size:           8
        .value_kind:     global_buffer
      - .offset:         64
        .size:           4
        .value_kind:     by_value
      - .offset:         68
        .size:           4
        .value_kind:     by_value
      - .offset:         72
        .size:           4
        .value_kind:     by_value
      - .offset:         76
        .size:           4
        .value_kind:     by_value
      - .offset:         80
        .size:           4
        .value_kind:     by_value
      - .offset:         84
        .size:           4
        .value_kind:     by_value
      - .offset:         88
        .size:           4
        .value_kind:     by_value
      - .offset:         92
        .size:           4
        .value_kind:     by_value
    .group_segment_fixed_size: 4128
    .kernarg_segment_align: 8
    .kernarg_segment_size: 96
    .language:       OpenCL C
    .language_version:
      - 2
      - 0
    .max_flat_workgroup_size: 1024
    .name:           _ZN5aiter36smooth_per_token_scaled_quant_kernelIDF16_aLi512ELi16ELb1ELb1ELb1ELi1024EEEvPT0_PfPT_S3_PiS6_iiPKiiiiiiiii
    .private_segment_fixed_size: 0
    .sgpr_count:     52
    .sgpr_spill_count: 0
    .symbol:         _ZN5aiter36smooth_per_token_scaled_quant_kernelIDF16_aLi512ELi16ELb1ELb1ELb1ELi1024EEEvPT0_PfPT_S3_PiS6_iiPKiiiiiiiii.kd
    .uniform_work_group_size: 1
    .uses_dynamic_stack: false
    .vgpr_count:     44
    .vgpr_spill_count: 0
    .wavefront_size: 64
  - .agpr_count:     0
    .args:
      - .actual_access:  write_only
        .address_space:  global
        .offset:         0
        .size:           8
        .value_kind:     global_buffer
      - .actual_access:  write_only
        .address_space:  global
        .offset:         8
        .size:           8
        .value_kind:     global_buffer
      - .actual_access:  read_only
        .address_space:  global
        .offset:         16
        .size:           8
        .value_kind:     global_buffer
      - .actual_access:  read_only
        .address_space:  global
        .offset:         24
        .size:           8
        .value_kind:     global_buffer
      - .actual_access:  read_only
        .address_space:  global
        .offset:         32
        .size:           8
        .value_kind:     global_buffer
      - .address_space:  global
        .offset:         40
        .size:           8
        .value_kind:     global_buffer
      - .offset:         48
        .size:           4
        .value_kind:     by_value
      - .offset:         52
        .size:           4
        .value_kind:     by_value
      - .actual_access:  read_only
        .address_space:  global
        .offset:         56
        .size:           8
        .value_kind:     global_buffer
      - .offset:         64
        .size:           4
        .value_kind:     by_value
      - .offset:         68
        .size:           4
        .value_kind:     by_value
      - .offset:         72
        .size:           4
        .value_kind:     by_value
      - .offset:         76
        .size:           4
        .value_kind:     by_value
      - .offset:         80
        .size:           4
        .value_kind:     by_value
      - .offset:         84
        .size:           4
        .value_kind:     by_value
      - .offset:         88
        .size:           4
        .value_kind:     by_value
      - .offset:         92
        .size:           4
        .value_kind:     by_value
    .group_segment_fixed_size: 4128
    .kernarg_segment_align: 8
    .kernarg_segment_size: 96
    .language:       OpenCL C
    .language_version:
      - 2
      - 0
    .max_flat_workgroup_size: 1024
    .name:           _ZN5aiter36smooth_per_token_scaled_quant_kernelItaLi512ELi16ELb1ELb1ELb1ELi1024EEEvPT0_PfPT_S3_PiS6_iiPKiiiiiiiii
    .private_segment_fixed_size: 0
    .sgpr_count:     52
    .sgpr_spill_count: 0
    .symbol:         _ZN5aiter36smooth_per_token_scaled_quant_kernelItaLi512ELi16ELb1ELb1ELb1ELi1024EEEvPT0_PfPT_S3_PiS6_iiPKiiiiiiiii.kd
    .uniform_work_group_size: 1
    .uses_dynamic_stack: false
    .vgpr_count:     44
    .vgpr_spill_count: 0
    .wavefront_size: 64
  - .agpr_count:     0
    .args:
      - .actual_access:  write_only
        .address_space:  global
        .offset:         0
        .size:           8
        .value_kind:     global_buffer
      - .actual_access:  write_only
        .address_space:  global
        .offset:         8
        .size:           8
        .value_kind:     global_buffer
      - .actual_access:  read_only
        .address_space:  global
        .offset:         16
        .size:           8
        .value_kind:     global_buffer
      - .actual_access:  read_only
        .address_space:  global
        .offset:         24
        .size:           8
        .value_kind:     global_buffer
      - .actual_access:  read_only
        .address_space:  global
        .offset:         32
        .size:           8
        .value_kind:     global_buffer
      - .actual_access:  read_only
        .address_space:  global
        .offset:         40
        .size:           8
        .value_kind:     global_buffer
      - .offset:         48
        .size:           4
        .value_kind:     by_value
      - .offset:         52
        .size:           4
        .value_kind:     by_value
      - .actual_access:  read_only
        .address_space:  global
        .offset:         56
        .size:           8
        .value_kind:     global_buffer
      - .offset:         64
        .size:           4
        .value_kind:     by_value
      - .offset:         68
        .size:           4
        .value_kind:     by_value
      - .offset:         72
        .size:           4
        .value_kind:     by_value
      - .offset:         76
        .size:           4
        .value_kind:     by_value
      - .offset:         80
        .size:           4
        .value_kind:     by_value
      - .offset:         84
        .size:           4
        .value_kind:     by_value
      - .offset:         88
        .size:           4
        .value_kind:     by_value
      - .offset:         92
        .size:           4
        .value_kind:     by_value
    .group_segment_fixed_size: 32
    .kernarg_segment_align: 8
    .kernarg_segment_size: 96
    .language:       OpenCL C
    .language_version:
      - 2
      - 0
    .max_flat_workgroup_size: 1024
    .name:           _ZN5aiter36smooth_per_token_scaled_quant_kernelIDF16_aLi512ELi16ELb1ELb1ELb0ELi1024EEEvPT0_PfPT_S3_PiS6_iiPKiiiiiiiii
    .private_segment_fixed_size: 0
    .sgpr_count:     52
    .sgpr_spill_count: 0
    .symbol:         _ZN5aiter36smooth_per_token_scaled_quant_kernelIDF16_aLi512ELi16ELb1ELb1ELb0ELi1024EEEvPT0_PfPT_S3_PiS6_iiPKiiiiiiiii.kd
    .uniform_work_group_size: 1
    .uses_dynamic_stack: false
    .vgpr_count:     44
    .vgpr_spill_count: 0
    .wavefront_size: 64
  - .agpr_count:     0
    .args:
      - .actual_access:  write_only
        .address_space:  global
        .offset:         0
        .size:           8
        .value_kind:     global_buffer
      - .actual_access:  write_only
        .address_space:  global
        .offset:         8
        .size:           8
        .value_kind:     global_buffer
      - .actual_access:  read_only
        .address_space:  global
        .offset:         16
        .size:           8
        .value_kind:     global_buffer
      - .actual_access:  read_only
        .address_space:  global
        .offset:         24
        .size:           8
        .value_kind:     global_buffer
      - .actual_access:  read_only
        .address_space:  global
        .offset:         32
        .size:           8
        .value_kind:     global_buffer
      - .actual_access:  read_only
        .address_space:  global
        .offset:         40
        .size:           8
        .value_kind:     global_buffer
      - .offset:         48
        .size:           4
        .value_kind:     by_value
      - .offset:         52
        .size:           4
        .value_kind:     by_value
      - .actual_access:  read_only
        .address_space:  global
        .offset:         56
        .size:           8
        .value_kind:     global_buffer
      - .offset:         64
        .size:           4
        .value_kind:     by_value
      - .offset:         68
        .size:           4
        .value_kind:     by_value
      - .offset:         72
        .size:           4
        .value_kind:     by_value
      - .offset:         76
        .size:           4
        .value_kind:     by_value
      - .offset:         80
        .size:           4
        .value_kind:     by_value
      - .offset:         84
        .size:           4
        .value_kind:     by_value
      - .offset:         88
        .size:           4
        .value_kind:     by_value
      - .offset:         92
        .size:           4
        .value_kind:     by_value
    .group_segment_fixed_size: 32
    .kernarg_segment_align: 8
    .kernarg_segment_size: 96
    .language:       OpenCL C
    .language_version:
      - 2
      - 0
    .max_flat_workgroup_size: 1024
    .name:           _ZN5aiter36smooth_per_token_scaled_quant_kernelItaLi512ELi16ELb1ELb1ELb0ELi1024EEEvPT0_PfPT_S3_PiS6_iiPKiiiiiiiii
    .private_segment_fixed_size: 0
    .sgpr_count:     52
    .sgpr_spill_count: 0
    .symbol:         _ZN5aiter36smooth_per_token_scaled_quant_kernelItaLi512ELi16ELb1ELb1ELb0ELi1024EEEvPT0_PfPT_S3_PiS6_iiPKiiiiiiiii.kd
    .uniform_work_group_size: 1
    .uses_dynamic_stack: false
    .vgpr_count:     44
    .vgpr_spill_count: 0
    .wavefront_size: 64
  - .agpr_count:     0
    .args:
      - .actual_access:  write_only
        .address_space:  global
        .offset:         0
        .size:           8
        .value_kind:     global_buffer
      - .actual_access:  write_only
        .address_space:  global
        .offset:         8
        .size:           8
        .value_kind:     global_buffer
      - .actual_access:  read_only
        .address_space:  global
        .offset:         16
        .size:           8
        .value_kind:     global_buffer
      - .actual_access:  read_only
        .address_space:  global
        .offset:         24
        .size:           8
        .value_kind:     global_buffer
      - .actual_access:  read_only
        .address_space:  global
        .offset:         32
        .size:           8
        .value_kind:     global_buffer
      - .actual_access:  read_only
        .address_space:  global
        .offset:         40
        .size:           8
        .value_kind:     global_buffer
      - .offset:         48
        .size:           4
        .value_kind:     by_value
      - .offset:         52
        .size:           4
        .value_kind:     by_value
      - .actual_access:  read_only
        .address_space:  global
        .offset:         56
        .size:           8
        .value_kind:     global_buffer
      - .offset:         64
        .size:           4
        .value_kind:     by_value
      - .offset:         68
        .size:           4
        .value_kind:     by_value
      - .offset:         72
        .size:           4
        .value_kind:     by_value
      - .offset:         76
        .size:           4
        .value_kind:     by_value
      - .offset:         80
        .size:           4
        .value_kind:     by_value
      - .offset:         84
        .size:           4
        .value_kind:     by_value
      - .offset:         88
        .size:           4
        .value_kind:     by_value
      - .offset:         92
        .size:           4
        .value_kind:     by_value
    .group_segment_fixed_size: 32
    .kernarg_segment_align: 8
    .kernarg_segment_size: 96
    .language:       OpenCL C
    .language_version:
      - 2
      - 0
    .max_flat_workgroup_size: 1024
    .name:           _ZN5aiter36smooth_per_token_scaled_quant_kernelIDF16_aLi512ELi16ELb1ELb0ELb0ELi1024EEEvPT0_PfPT_S3_PiS6_iiPKiiiiiiiii
    .private_segment_fixed_size: 0
    .sgpr_count:     46
    .sgpr_spill_count: 0
    .symbol:         _ZN5aiter36smooth_per_token_scaled_quant_kernelIDF16_aLi512ELi16ELb1ELb0ELb0ELi1024EEEvPT0_PfPT_S3_PiS6_iiPKiiiiiiiii.kd
    .uniform_work_group_size: 1
    .uses_dynamic_stack: false
    .vgpr_count:     78
    .vgpr_spill_count: 0
    .wavefront_size: 64
  - .agpr_count:     0
    .args:
      - .actual_access:  write_only
        .address_space:  global
        .offset:         0
        .size:           8
        .value_kind:     global_buffer
      - .actual_access:  write_only
        .address_space:  global
        .offset:         8
        .size:           8
        .value_kind:     global_buffer
      - .actual_access:  read_only
        .address_space:  global
        .offset:         16
        .size:           8
        .value_kind:     global_buffer
      - .actual_access:  read_only
        .address_space:  global
        .offset:         24
        .size:           8
        .value_kind:     global_buffer
      - .actual_access:  read_only
        .address_space:  global
        .offset:         32
        .size:           8
        .value_kind:     global_buffer
      - .actual_access:  read_only
        .address_space:  global
        .offset:         40
        .size:           8
        .value_kind:     global_buffer
      - .offset:         48
        .size:           4
        .value_kind:     by_value
      - .offset:         52
        .size:           4
        .value_kind:     by_value
      - .actual_access:  read_only
        .address_space:  global
        .offset:         56
        .size:           8
        .value_kind:     global_buffer
      - .offset:         64
        .size:           4
        .value_kind:     by_value
      - .offset:         68
        .size:           4
        .value_kind:     by_value
      - .offset:         72
        .size:           4
        .value_kind:     by_value
      - .offset:         76
        .size:           4
        .value_kind:     by_value
      - .offset:         80
        .size:           4
        .value_kind:     by_value
      - .offset:         84
        .size:           4
        .value_kind:     by_value
      - .offset:         88
        .size:           4
        .value_kind:     by_value
      - .offset:         92
        .size:           4
        .value_kind:     by_value
    .group_segment_fixed_size: 32
    .kernarg_segment_align: 8
    .kernarg_segment_size: 96
    .language:       OpenCL C
    .language_version:
      - 2
      - 0
    .max_flat_workgroup_size: 1024
    .name:           _ZN5aiter36smooth_per_token_scaled_quant_kernelItaLi512ELi16ELb1ELb0ELb0ELi1024EEEvPT0_PfPT_S3_PiS6_iiPKiiiiiiiii
    .private_segment_fixed_size: 0
    .sgpr_count:     46
    .sgpr_spill_count: 0
    .symbol:         _ZN5aiter36smooth_per_token_scaled_quant_kernelItaLi512ELi16ELb1ELb0ELb0ELi1024EEEvPT0_PfPT_S3_PiS6_iiPKiiiiiiiii.kd
    .uniform_work_group_size: 1
    .uses_dynamic_stack: false
    .vgpr_count:     78
    .vgpr_spill_count: 0
    .wavefront_size: 64
  - .agpr_count:     0
    .args:
      - .actual_access:  write_only
        .address_space:  global
        .offset:         0
        .size:           8
        .value_kind:     global_buffer
      - .actual_access:  write_only
        .address_space:  global
        .offset:         8
        .size:           8
        .value_kind:     global_buffer
      - .actual_access:  read_only
        .address_space:  global
        .offset:         16
        .size:           8
        .value_kind:     global_buffer
      - .actual_access:  read_only
        .address_space:  global
        .offset:         24
        .size:           8
        .value_kind:     global_buffer
      - .actual_access:  read_only
        .address_space:  global
        .offset:         32
        .size:           8
        .value_kind:     global_buffer
      - .address_space:  global
        .offset:         40
        .size:           8
        .value_kind:     global_buffer
      - .offset:         48
        .size:           4
        .value_kind:     by_value
      - .offset:         52
        .size:           4
        .value_kind:     by_value
      - .actual_access:  read_only
        .address_space:  global
        .offset:         56
        .size:           8
        .value_kind:     global_buffer
      - .offset:         64
        .size:           4
        .value_kind:     by_value
      - .offset:         68
        .size:           4
        .value_kind:     by_value
      - .offset:         72
        .size:           4
        .value_kind:     by_value
      - .offset:         76
        .size:           4
        .value_kind:     by_value
      - .offset:         80
        .size:           4
        .value_kind:     by_value
      - .offset:         84
        .size:           4
        .value_kind:     by_value
      - .offset:         88
        .size:           4
        .value_kind:     by_value
      - .offset:         92
        .size:           4
        .value_kind:     by_value
    .group_segment_fixed_size: 4128
    .kernarg_segment_align: 8
    .kernarg_segment_size: 96
    .language:       OpenCL C
    .language_version:
      - 2
      - 0
    .max_flat_workgroup_size: 1024
    .name:           _ZN5aiter36smooth_per_token_scaled_quant_kernelIDF16_aLi512ELi16ELb0ELb1ELb1ELi1024EEEvPT0_PfPT_S3_PiS6_iiPKiiiiiiiii
    .private_segment_fixed_size: 0
    .sgpr_count:     48
    .sgpr_spill_count: 0
    .symbol:         _ZN5aiter36smooth_per_token_scaled_quant_kernelIDF16_aLi512ELi16ELb0ELb1ELb1ELi1024EEEvPT0_PfPT_S3_PiS6_iiPKiiiiiiiii.kd
    .uniform_work_group_size: 1
    .uses_dynamic_stack: false
    .vgpr_count:     44
    .vgpr_spill_count: 0
    .wavefront_size: 64
  - .agpr_count:     0
    .args:
      - .actual_access:  write_only
        .address_space:  global
        .offset:         0
        .size:           8
        .value_kind:     global_buffer
      - .actual_access:  write_only
        .address_space:  global
        .offset:         8
        .size:           8
        .value_kind:     global_buffer
      - .actual_access:  read_only
        .address_space:  global
        .offset:         16
        .size:           8
        .value_kind:     global_buffer
      - .actual_access:  read_only
        .address_space:  global
        .offset:         24
        .size:           8
        .value_kind:     global_buffer
      - .actual_access:  read_only
        .address_space:  global
        .offset:         32
        .size:           8
        .value_kind:     global_buffer
      - .address_space:  global
        .offset:         40
        .size:           8
        .value_kind:     global_buffer
      - .offset:         48
        .size:           4
        .value_kind:     by_value
      - .offset:         52
        .size:           4
        .value_kind:     by_value
      - .actual_access:  read_only
        .address_space:  global
        .offset:         56
        .size:           8
        .value_kind:     global_buffer
      - .offset:         64
        .size:           4
        .value_kind:     by_value
      - .offset:         68
        .size:           4
        .value_kind:     by_value
      - .offset:         72
        .size:           4
        .value_kind:     by_value
      - .offset:         76
        .size:           4
        .value_kind:     by_value
      - .offset:         80
        .size:           4
        .value_kind:     by_value
      - .offset:         84
        .size:           4
        .value_kind:     by_value
      - .offset:         88
        .size:           4
        .value_kind:     by_value
      - .offset:         92
        .size:           4
        .value_kind:     by_value
    .group_segment_fixed_size: 4128
    .kernarg_segment_align: 8
    .kernarg_segment_size: 96
    .language:       OpenCL C
    .language_version:
      - 2
      - 0
    .max_flat_workgroup_size: 1024
    .name:           _ZN5aiter36smooth_per_token_scaled_quant_kernelItaLi512ELi16ELb0ELb1ELb1ELi1024EEEvPT0_PfPT_S3_PiS6_iiPKiiiiiiiii
    .private_segment_fixed_size: 0
    .sgpr_count:     48
    .sgpr_spill_count: 0
    .symbol:         _ZN5aiter36smooth_per_token_scaled_quant_kernelItaLi512ELi16ELb0ELb1ELb1ELi1024EEEvPT0_PfPT_S3_PiS6_iiPKiiiiiiiii.kd
    .uniform_work_group_size: 1
    .uses_dynamic_stack: false
    .vgpr_count:     44
    .vgpr_spill_count: 0
    .wavefront_size: 64
  - .agpr_count:     0
    .args:
      - .actual_access:  write_only
        .address_space:  global
        .offset:         0
        .size:           8
        .value_kind:     global_buffer
      - .actual_access:  write_only
        .address_space:  global
        .offset:         8
        .size:           8
        .value_kind:     global_buffer
      - .actual_access:  read_only
        .address_space:  global
        .offset:         16
        .size:           8
        .value_kind:     global_buffer
      - .actual_access:  read_only
        .address_space:  global
        .offset:         24
        .size:           8
        .value_kind:     global_buffer
      - .actual_access:  read_only
        .address_space:  global
        .offset:         32
        .size:           8
        .value_kind:     global_buffer
      - .actual_access:  read_only
        .address_space:  global
        .offset:         40
        .size:           8
        .value_kind:     global_buffer
      - .offset:         48
        .size:           4
        .value_kind:     by_value
      - .offset:         52
        .size:           4
        .value_kind:     by_value
      - .actual_access:  read_only
        .address_space:  global
        .offset:         56
        .size:           8
        .value_kind:     global_buffer
      - .offset:         64
        .size:           4
        .value_kind:     by_value
      - .offset:         68
        .size:           4
        .value_kind:     by_value
      - .offset:         72
        .size:           4
        .value_kind:     by_value
      - .offset:         76
        .size:           4
        .value_kind:     by_value
      - .offset:         80
        .size:           4
        .value_kind:     by_value
      - .offset:         84
        .size:           4
        .value_kind:     by_value
      - .offset:         88
        .size:           4
        .value_kind:     by_value
      - .offset:         92
        .size:           4
        .value_kind:     by_value
    .group_segment_fixed_size: 32
    .kernarg_segment_align: 8
    .kernarg_segment_size: 96
    .language:       OpenCL C
    .language_version:
      - 2
      - 0
    .max_flat_workgroup_size: 1024
    .name:           _ZN5aiter36smooth_per_token_scaled_quant_kernelIDF16_aLi512ELi16ELb0ELb1ELb0ELi1024EEEvPT0_PfPT_S3_PiS6_iiPKiiiiiiiii
    .private_segment_fixed_size: 0
    .sgpr_count:     48
    .sgpr_spill_count: 0
    .symbol:         _ZN5aiter36smooth_per_token_scaled_quant_kernelIDF16_aLi512ELi16ELb0ELb1ELb0ELi1024EEEvPT0_PfPT_S3_PiS6_iiPKiiiiiiiii.kd
    .uniform_work_group_size: 1
    .uses_dynamic_stack: false
    .vgpr_count:     44
    .vgpr_spill_count: 0
    .wavefront_size: 64
  - .agpr_count:     0
    .args:
      - .actual_access:  write_only
        .address_space:  global
        .offset:         0
        .size:           8
        .value_kind:     global_buffer
      - .actual_access:  write_only
        .address_space:  global
        .offset:         8
        .size:           8
        .value_kind:     global_buffer
      - .actual_access:  read_only
        .address_space:  global
        .offset:         16
        .size:           8
        .value_kind:     global_buffer
      - .actual_access:  read_only
        .address_space:  global
        .offset:         24
        .size:           8
        .value_kind:     global_buffer
      - .actual_access:  read_only
        .address_space:  global
        .offset:         32
        .size:           8
        .value_kind:     global_buffer
      - .actual_access:  read_only
        .address_space:  global
        .offset:         40
        .size:           8
        .value_kind:     global_buffer
      - .offset:         48
        .size:           4
        .value_kind:     by_value
      - .offset:         52
        .size:           4
        .value_kind:     by_value
      - .actual_access:  read_only
        .address_space:  global
        .offset:         56
        .size:           8
        .value_kind:     global_buffer
      - .offset:         64
        .size:           4
        .value_kind:     by_value
      - .offset:         68
        .size:           4
        .value_kind:     by_value
      - .offset:         72
        .size:           4
        .value_kind:     by_value
      - .offset:         76
        .size:           4
        .value_kind:     by_value
      - .offset:         80
        .size:           4
        .value_kind:     by_value
      - .offset:         84
        .size:           4
        .value_kind:     by_value
      - .offset:         88
        .size:           4
        .value_kind:     by_value
      - .offset:         92
        .size:           4
        .value_kind:     by_value
    .group_segment_fixed_size: 32
    .kernarg_segment_align: 8
    .kernarg_segment_size: 96
    .language:       OpenCL C
    .language_version:
      - 2
      - 0
    .max_flat_workgroup_size: 1024
    .name:           _ZN5aiter36smooth_per_token_scaled_quant_kernelItaLi512ELi16ELb0ELb1ELb0ELi1024EEEvPT0_PfPT_S3_PiS6_iiPKiiiiiiiii
    .private_segment_fixed_size: 0
    .sgpr_count:     48
    .sgpr_spill_count: 0
    .symbol:         _ZN5aiter36smooth_per_token_scaled_quant_kernelItaLi512ELi16ELb0ELb1ELb0ELi1024EEEvPT0_PfPT_S3_PiS6_iiPKiiiiiiiii.kd
    .uniform_work_group_size: 1
    .uses_dynamic_stack: false
    .vgpr_count:     44
    .vgpr_spill_count: 0
    .wavefront_size: 64
  - .agpr_count:     0
    .args:
      - .actual_access:  write_only
        .address_space:  global
        .offset:         0
        .size:           8
        .value_kind:     global_buffer
      - .actual_access:  write_only
        .address_space:  global
        .offset:         8
        .size:           8
        .value_kind:     global_buffer
      - .actual_access:  read_only
        .address_space:  global
        .offset:         16
        .size:           8
        .value_kind:     global_buffer
      - .actual_access:  read_only
        .address_space:  global
        .offset:         24
        .size:           8
        .value_kind:     global_buffer
      - .actual_access:  read_only
        .address_space:  global
        .offset:         32
        .size:           8
        .value_kind:     global_buffer
      - .actual_access:  read_only
        .address_space:  global
        .offset:         40
        .size:           8
        .value_kind:     global_buffer
      - .offset:         48
        .size:           4
        .value_kind:     by_value
      - .offset:         52
        .size:           4
        .value_kind:     by_value
      - .actual_access:  read_only
        .address_space:  global
        .offset:         56
        .size:           8
        .value_kind:     global_buffer
      - .offset:         64
        .size:           4
        .value_kind:     by_value
      - .offset:         68
        .size:           4
        .value_kind:     by_value
      - .offset:         72
        .size:           4
        .value_kind:     by_value
      - .offset:         76
        .size:           4
        .value_kind:     by_value
      - .offset:         80
        .size:           4
        .value_kind:     by_value
      - .offset:         84
        .size:           4
        .value_kind:     by_value
      - .offset:         88
        .size:           4
        .value_kind:     by_value
      - .offset:         92
        .size:           4
        .value_kind:     by_value
    .group_segment_fixed_size: 32
    .kernarg_segment_align: 8
    .kernarg_segment_size: 96
    .language:       OpenCL C
    .language_version:
      - 2
      - 0
    .max_flat_workgroup_size: 1024
    .name:           _ZN5aiter36smooth_per_token_scaled_quant_kernelIDF16_aLi512ELi16ELb0ELb0ELb0ELi1024EEEvPT0_PfPT_S3_PiS6_iiPKiiiiiiiii
    .private_segment_fixed_size: 0
    .sgpr_count:     43
    .sgpr_spill_count: 0
    .symbol:         _ZN5aiter36smooth_per_token_scaled_quant_kernelIDF16_aLi512ELi16ELb0ELb0ELb0ELi1024EEEvPT0_PfPT_S3_PiS6_iiPKiiiiiiiii.kd
    .uniform_work_group_size: 1
    .uses_dynamic_stack: false
    .vgpr_count:     78
    .vgpr_spill_count: 0
    .wavefront_size: 64
  - .agpr_count:     0
    .args:
      - .actual_access:  write_only
        .address_space:  global
        .offset:         0
        .size:           8
        .value_kind:     global_buffer
      - .actual_access:  write_only
        .address_space:  global
        .offset:         8
        .size:           8
        .value_kind:     global_buffer
      - .actual_access:  read_only
        .address_space:  global
        .offset:         16
        .size:           8
        .value_kind:     global_buffer
      - .actual_access:  read_only
        .address_space:  global
        .offset:         24
        .size:           8
        .value_kind:     global_buffer
      - .actual_access:  read_only
        .address_space:  global
        .offset:         32
        .size:           8
        .value_kind:     global_buffer
      - .actual_access:  read_only
        .address_space:  global
        .offset:         40
        .size:           8
        .value_kind:     global_buffer
      - .offset:         48
        .size:           4
        .value_kind:     by_value
      - .offset:         52
        .size:           4
        .value_kind:     by_value
      - .actual_access:  read_only
        .address_space:  global
        .offset:         56
        .size:           8
        .value_kind:     global_buffer
      - .offset:         64
        .size:           4
        .value_kind:     by_value
      - .offset:         68
        .size:           4
        .value_kind:     by_value
      - .offset:         72
        .size:           4
        .value_kind:     by_value
      - .offset:         76
        .size:           4
        .value_kind:     by_value
      - .offset:         80
        .size:           4
        .value_kind:     by_value
      - .offset:         84
        .size:           4
        .value_kind:     by_value
      - .offset:         88
        .size:           4
        .value_kind:     by_value
      - .offset:         92
        .size:           4
        .value_kind:     by_value
    .group_segment_fixed_size: 32
    .kernarg_segment_align: 8
    .kernarg_segment_size: 96
    .language:       OpenCL C
    .language_version:
      - 2
      - 0
    .max_flat_workgroup_size: 1024
    .name:           _ZN5aiter36smooth_per_token_scaled_quant_kernelItaLi512ELi16ELb0ELb0ELb0ELi1024EEEvPT0_PfPT_S3_PiS6_iiPKiiiiiiiii
    .private_segment_fixed_size: 0
    .sgpr_count:     43
    .sgpr_spill_count: 0
    .symbol:         _ZN5aiter36smooth_per_token_scaled_quant_kernelItaLi512ELi16ELb0ELb0ELb0ELi1024EEEvPT0_PfPT_S3_PiS6_iiPKiiiiiiiii.kd
    .uniform_work_group_size: 1
    .uses_dynamic_stack: false
    .vgpr_count:     78
    .vgpr_spill_count: 0
    .wavefront_size: 64
  - .agpr_count:     0
    .args:
      - .actual_access:  write_only
        .address_space:  global
        .offset:         0
        .size:           8
        .value_kind:     global_buffer
      - .actual_access:  read_only
        .address_space:  global
        .offset:         8
        .size:           8
        .value_kind:     global_buffer
      - .actual_access:  read_only
        .address_space:  global
        .offset:         16
        .size:           8
        .value_kind:     global_buffer
      - .offset:         24
        .size:           4
        .value_kind:     by_value
      - .offset:         32
        .size:           4
        .value_kind:     hidden_block_count_x
      - .offset:         36
        .size:           4
        .value_kind:     hidden_block_count_y
      - .offset:         40
        .size:           4
        .value_kind:     hidden_block_count_z
      - .offset:         44
        .size:           2
        .value_kind:     hidden_group_size_x
      - .offset:         46
        .size:           2
        .value_kind:     hidden_group_size_y
      - .offset:         48
        .size:           2
        .value_kind:     hidden_group_size_z
      - .offset:         50
        .size:           2
        .value_kind:     hidden_remainder_x
      - .offset:         52
        .size:           2
        .value_kind:     hidden_remainder_y
      - .offset:         54
        .size:           2
        .value_kind:     hidden_remainder_z
      - .offset:         72
        .size:           8
        .value_kind:     hidden_global_offset_x
      - .offset:         80
        .size:           8
        .value_kind:     hidden_global_offset_y
      - .offset:         88
        .size:           8
        .value_kind:     hidden_global_offset_z
      - .offset:         96
        .size:           2
        .value_kind:     hidden_grid_dims
    .group_segment_fixed_size: 0
    .kernarg_segment_align: 8
    .kernarg_segment_size: 288
    .language:       OpenCL C
    .language_version:
      - 2
      - 0
    .max_flat_workgroup_size: 1024
    .name:           _ZN5aiter24partial_transpose_kernelIfLi256ELi4ELi10000EEEvPT_S2_PKii
    .private_segment_fixed_size: 0
    .sgpr_count:     40
    .sgpr_spill_count: 0
    .symbol:         _ZN5aiter24partial_transpose_kernelIfLi256ELi4ELi10000EEEvPT_S2_PKii.kd
    .uniform_work_group_size: 1
    .uses_dynamic_stack: false
    .vgpr_count:     14
    .vgpr_spill_count: 0
    .wavefront_size: 64
  - .agpr_count:     0
    .args:
      - .actual_access:  write_only
        .address_space:  global
        .offset:         0
        .size:           8
        .value_kind:     global_buffer
      - .actual_access:  read_only
        .address_space:  global
        .offset:         8
        .size:           8
        .value_kind:     global_buffer
      - .actual_access:  read_only
        .address_space:  global
        .offset:         16
        .size:           8
        .value_kind:     global_buffer
      - .offset:         24
        .size:           4
        .value_kind:     by_value
      - .offset:         32
        .size:           4
        .value_kind:     hidden_block_count_x
      - .offset:         36
        .size:           4
        .value_kind:     hidden_block_count_y
      - .offset:         40
        .size:           4
        .value_kind:     hidden_block_count_z
      - .offset:         44
        .size:           2
        .value_kind:     hidden_group_size_x
      - .offset:         46
        .size:           2
        .value_kind:     hidden_group_size_y
      - .offset:         48
        .size:           2
        .value_kind:     hidden_group_size_z
      - .offset:         50
        .size:           2
        .value_kind:     hidden_remainder_x
      - .offset:         52
        .size:           2
        .value_kind:     hidden_remainder_y
      - .offset:         54
        .size:           2
        .value_kind:     hidden_remainder_z
      - .offset:         72
        .size:           8
        .value_kind:     hidden_global_offset_x
      - .offset:         80
        .size:           8
        .value_kind:     hidden_global_offset_y
      - .offset:         88
        .size:           8
        .value_kind:     hidden_global_offset_z
      - .offset:         96
        .size:           2
        .value_kind:     hidden_grid_dims
    .group_segment_fixed_size: 0
    .kernarg_segment_align: 8
    .kernarg_segment_size: 288
    .language:       OpenCL C
    .language_version:
      - 2
      - 0
    .max_flat_workgroup_size: 1024
    .name:           _ZN5aiter24partial_transpose_kernelIDF16_Li256ELi4ELi10000EEEvPT_S2_PKii
    .private_segment_fixed_size: 0
    .sgpr_count:     33
    .sgpr_spill_count: 0
    .symbol:         _ZN5aiter24partial_transpose_kernelIDF16_Li256ELi4ELi10000EEEvPT_S2_PKii.kd
    .uniform_work_group_size: 1
    .uses_dynamic_stack: false
    .vgpr_count:     12
    .vgpr_spill_count: 0
    .wavefront_size: 64
  - .agpr_count:     0
    .args:
      - .actual_access:  write_only
        .address_space:  global
        .offset:         0
        .size:           8
        .value_kind:     global_buffer
      - .actual_access:  read_only
        .address_space:  global
        .offset:         8
        .size:           8
        .value_kind:     global_buffer
      - .actual_access:  read_only
        .address_space:  global
        .offset:         16
        .size:           8
        .value_kind:     global_buffer
      - .offset:         24
        .size:           4
        .value_kind:     by_value
      - .offset:         32
        .size:           4
        .value_kind:     hidden_block_count_x
      - .offset:         36
        .size:           4
        .value_kind:     hidden_block_count_y
      - .offset:         40
        .size:           4
        .value_kind:     hidden_block_count_z
      - .offset:         44
        .size:           2
        .value_kind:     hidden_group_size_x
      - .offset:         46
        .size:           2
        .value_kind:     hidden_group_size_y
      - .offset:         48
        .size:           2
        .value_kind:     hidden_group_size_z
      - .offset:         50
        .size:           2
        .value_kind:     hidden_remainder_x
      - .offset:         52
        .size:           2
        .value_kind:     hidden_remainder_y
      - .offset:         54
        .size:           2
        .value_kind:     hidden_remainder_z
      - .offset:         72
        .size:           8
        .value_kind:     hidden_global_offset_x
      - .offset:         80
        .size:           8
        .value_kind:     hidden_global_offset_y
      - .offset:         88
        .size:           8
        .value_kind:     hidden_global_offset_z
      - .offset:         96
        .size:           2
        .value_kind:     hidden_grid_dims
    .group_segment_fixed_size: 0
    .kernarg_segment_align: 8
    .kernarg_segment_size: 288
    .language:       OpenCL C
    .language_version:
      - 2
      - 0
    .max_flat_workgroup_size: 1024
    .name:           _ZN5aiter24partial_transpose_kernelItLi256ELi4ELi10000EEEvPT_S2_PKii
    .private_segment_fixed_size: 0
    .sgpr_count:     33
    .sgpr_spill_count: 0
    .symbol:         _ZN5aiter24partial_transpose_kernelItLi256ELi4ELi10000EEEvPT_S2_PKii.kd
    .uniform_work_group_size: 1
    .uses_dynamic_stack: false
    .vgpr_count:     12
    .vgpr_spill_count: 0
    .wavefront_size: 64
  - .agpr_count:     0
    .args:
      - .actual_access:  write_only
        .address_space:  global
        .offset:         0
        .size:           8
        .value_kind:     global_buffer
      - .actual_access:  read_only
        .address_space:  global
        .offset:         8
        .size:           8
        .value_kind:     global_buffer
      - .actual_access:  read_only
        .address_space:  global
        .offset:         16
        .size:           8
        .value_kind:     global_buffer
      - .offset:         24
        .size:           4
        .value_kind:     by_value
      - .offset:         32
        .size:           4
        .value_kind:     hidden_block_count_x
      - .offset:         36
        .size:           4
        .value_kind:     hidden_block_count_y
      - .offset:         40
        .size:           4
        .value_kind:     hidden_block_count_z
      - .offset:         44
        .size:           2
        .value_kind:     hidden_group_size_x
      - .offset:         46
        .size:           2
        .value_kind:     hidden_group_size_y
      - .offset:         48
        .size:           2
        .value_kind:     hidden_group_size_z
      - .offset:         50
        .size:           2
        .value_kind:     hidden_remainder_x
      - .offset:         52
        .size:           2
        .value_kind:     hidden_remainder_y
      - .offset:         54
        .size:           2
        .value_kind:     hidden_remainder_z
      - .offset:         72
        .size:           8
        .value_kind:     hidden_global_offset_x
      - .offset:         80
        .size:           8
        .value_kind:     hidden_global_offset_y
      - .offset:         88
        .size:           8
        .value_kind:     hidden_global_offset_z
      - .offset:         96
        .size:           2
        .value_kind:     hidden_grid_dims
    .group_segment_fixed_size: 0
    .kernarg_segment_align: 8
    .kernarg_segment_size: 288
    .language:       OpenCL C
    .language_version:
      - 2
      - 0
    .max_flat_workgroup_size: 1024
    .name:           _ZN5aiter24partial_transpose_kernelIfLi256ELi8ELi10000EEEvPT_S2_PKii
    .private_segment_fixed_size: 0
    .sgpr_count:     42
    .sgpr_spill_count: 0
    .symbol:         _ZN5aiter24partial_transpose_kernelIfLi256ELi8ELi10000EEEvPT_S2_PKii.kd
    .uniform_work_group_size: 1
    .uses_dynamic_stack: false
    .vgpr_count:     18
    .vgpr_spill_count: 0
    .wavefront_size: 64
  - .agpr_count:     0
    .args:
      - .actual_access:  write_only
        .address_space:  global
        .offset:         0
        .size:           8
        .value_kind:     global_buffer
      - .actual_access:  read_only
        .address_space:  global
        .offset:         8
        .size:           8
        .value_kind:     global_buffer
      - .actual_access:  read_only
        .address_space:  global
        .offset:         16
        .size:           8
        .value_kind:     global_buffer
      - .offset:         24
        .size:           4
        .value_kind:     by_value
      - .offset:         32
        .size:           4
        .value_kind:     hidden_block_count_x
      - .offset:         36
        .size:           4
        .value_kind:     hidden_block_count_y
      - .offset:         40
        .size:           4
        .value_kind:     hidden_block_count_z
      - .offset:         44
        .size:           2
        .value_kind:     hidden_group_size_x
      - .offset:         46
        .size:           2
        .value_kind:     hidden_group_size_y
      - .offset:         48
        .size:           2
        .value_kind:     hidden_group_size_z
      - .offset:         50
        .size:           2
        .value_kind:     hidden_remainder_x
      - .offset:         52
        .size:           2
        .value_kind:     hidden_remainder_y
      - .offset:         54
        .size:           2
        .value_kind:     hidden_remainder_z
      - .offset:         72
        .size:           8
        .value_kind:     hidden_global_offset_x
      - .offset:         80
        .size:           8
        .value_kind:     hidden_global_offset_y
      - .offset:         88
        .size:           8
        .value_kind:     hidden_global_offset_z
      - .offset:         96
        .size:           2
        .value_kind:     hidden_grid_dims
    .group_segment_fixed_size: 0
    .kernarg_segment_align: 8
    .kernarg_segment_size: 288
    .language:       OpenCL C
    .language_version:
      - 2
      - 0
    .max_flat_workgroup_size: 1024
    .name:           _ZN5aiter24partial_transpose_kernelIDF16_Li256ELi8ELi10000EEEvPT_S2_PKii
    .private_segment_fixed_size: 0
    .sgpr_count:     42
    .sgpr_spill_count: 0
    .symbol:         _ZN5aiter24partial_transpose_kernelIDF16_Li256ELi8ELi10000EEEvPT_S2_PKii.kd
    .uniform_work_group_size: 1
    .uses_dynamic_stack: false
    .vgpr_count:     14
    .vgpr_spill_count: 0
    .wavefront_size: 64
  - .agpr_count:     0
    .args:
      - .actual_access:  write_only
        .address_space:  global
        .offset:         0
        .size:           8
        .value_kind:     global_buffer
      - .actual_access:  read_only
        .address_space:  global
        .offset:         8
        .size:           8
        .value_kind:     global_buffer
      - .actual_access:  read_only
        .address_space:  global
        .offset:         16
        .size:           8
        .value_kind:     global_buffer
      - .offset:         24
        .size:           4
        .value_kind:     by_value
      - .offset:         32
        .size:           4
        .value_kind:     hidden_block_count_x
      - .offset:         36
        .size:           4
        .value_kind:     hidden_block_count_y
      - .offset:         40
        .size:           4
        .value_kind:     hidden_block_count_z
      - .offset:         44
        .size:           2
        .value_kind:     hidden_group_size_x
      - .offset:         46
        .size:           2
        .value_kind:     hidden_group_size_y
      - .offset:         48
        .size:           2
        .value_kind:     hidden_group_size_z
      - .offset:         50
        .size:           2
        .value_kind:     hidden_remainder_x
      - .offset:         52
        .size:           2
        .value_kind:     hidden_remainder_y
      - .offset:         54
        .size:           2
        .value_kind:     hidden_remainder_z
      - .offset:         72
        .size:           8
        .value_kind:     hidden_global_offset_x
      - .offset:         80
        .size:           8
        .value_kind:     hidden_global_offset_y
      - .offset:         88
        .size:           8
        .value_kind:     hidden_global_offset_z
      - .offset:         96
        .size:           2
        .value_kind:     hidden_grid_dims
    .group_segment_fixed_size: 0
    .kernarg_segment_align: 8
    .kernarg_segment_size: 288
    .language:       OpenCL C
    .language_version:
      - 2
      - 0
    .max_flat_workgroup_size: 1024
    .name:           _ZN5aiter24partial_transpose_kernelItLi256ELi8ELi10000EEEvPT_S2_PKii
    .private_segment_fixed_size: 0
    .sgpr_count:     42
    .sgpr_spill_count: 0
    .symbol:         _ZN5aiter24partial_transpose_kernelItLi256ELi8ELi10000EEEvPT_S2_PKii.kd
    .uniform_work_group_size: 1
    .uses_dynamic_stack: false
    .vgpr_count:     14
    .vgpr_spill_count: 0
    .wavefront_size: 64
  - .agpr_count:     0
    .args:
      - .actual_access:  write_only
        .address_space:  global
        .offset:         0
        .size:           8
        .value_kind:     global_buffer
      - .actual_access:  read_only
        .address_space:  global
        .offset:         8
        .size:           8
        .value_kind:     global_buffer
      - .actual_access:  read_only
        .address_space:  global
        .offset:         16
        .size:           8
        .value_kind:     global_buffer
      - .offset:         24
        .size:           4
        .value_kind:     by_value
      - .offset:         32
        .size:           4
        .value_kind:     hidden_block_count_x
      - .offset:         36
        .size:           4
        .value_kind:     hidden_block_count_y
      - .offset:         40
        .size:           4
        .value_kind:     hidden_block_count_z
      - .offset:         44
        .size:           2
        .value_kind:     hidden_group_size_x
      - .offset:         46
        .size:           2
        .value_kind:     hidden_group_size_y
      - .offset:         48
        .size:           2
        .value_kind:     hidden_group_size_z
      - .offset:         50
        .size:           2
        .value_kind:     hidden_remainder_x
      - .offset:         52
        .size:           2
        .value_kind:     hidden_remainder_y
      - .offset:         54
        .size:           2
        .value_kind:     hidden_remainder_z
      - .offset:         72
        .size:           8
        .value_kind:     hidden_global_offset_x
      - .offset:         80
        .size:           8
        .value_kind:     hidden_global_offset_y
      - .offset:         88
        .size:           8
        .value_kind:     hidden_global_offset_z
      - .offset:         96
        .size:           2
        .value_kind:     hidden_grid_dims
    .group_segment_fixed_size: 0
    .kernarg_segment_align: 8
    .kernarg_segment_size: 288
    .language:       OpenCL C
    .language_version:
      - 2
      - 0
    .max_flat_workgroup_size: 1024
    .name:           _ZN5aiter24partial_transpose_kernelIfLi256ELi16ELi10000EEEvPT_S2_PKii
    .private_segment_fixed_size: 0
    .sgpr_count:     58
    .sgpr_spill_count: 0
    .symbol:         _ZN5aiter24partial_transpose_kernelIfLi256ELi16ELi10000EEEvPT_S2_PKii.kd
    .uniform_work_group_size: 1
    .uses_dynamic_stack: false
    .vgpr_count:     26
    .vgpr_spill_count: 0
    .wavefront_size: 64
  - .agpr_count:     0
    .args:
      - .actual_access:  write_only
        .address_space:  global
        .offset:         0
        .size:           8
        .value_kind:     global_buffer
      - .actual_access:  read_only
        .address_space:  global
        .offset:         8
        .size:           8
        .value_kind:     global_buffer
      - .actual_access:  read_only
        .address_space:  global
        .offset:         16
        .size:           8
        .value_kind:     global_buffer
      - .offset:         24
        .size:           4
        .value_kind:     by_value
      - .offset:         32
        .size:           4
        .value_kind:     hidden_block_count_x
      - .offset:         36
        .size:           4
        .value_kind:     hidden_block_count_y
      - .offset:         40
        .size:           4
        .value_kind:     hidden_block_count_z
      - .offset:         44
        .size:           2
        .value_kind:     hidden_group_size_x
      - .offset:         46
        .size:           2
        .value_kind:     hidden_group_size_y
      - .offset:         48
        .size:           2
        .value_kind:     hidden_group_size_z
      - .offset:         50
        .size:           2
        .value_kind:     hidden_remainder_x
      - .offset:         52
        .size:           2
        .value_kind:     hidden_remainder_y
      - .offset:         54
        .size:           2
        .value_kind:     hidden_remainder_z
      - .offset:         72
        .size:           8
        .value_kind:     hidden_global_offset_x
      - .offset:         80
        .size:           8
        .value_kind:     hidden_global_offset_y
      - .offset:         88
        .size:           8
        .value_kind:     hidden_global_offset_z
      - .offset:         96
        .size:           2
        .value_kind:     hidden_grid_dims
    .group_segment_fixed_size: 0
    .kernarg_segment_align: 8
    .kernarg_segment_size: 288
    .language:       OpenCL C
    .language_version:
      - 2
      - 0
    .max_flat_workgroup_size: 1024
    .name:           _ZN5aiter24partial_transpose_kernelIDF16_Li256ELi16ELi10000EEEvPT_S2_PKii
    .private_segment_fixed_size: 0
    .sgpr_count:     58
    .sgpr_spill_count: 0
    .symbol:         _ZN5aiter24partial_transpose_kernelIDF16_Li256ELi16ELi10000EEEvPT_S2_PKii.kd
    .uniform_work_group_size: 1
    .uses_dynamic_stack: false
    .vgpr_count:     18
    .vgpr_spill_count: 0
    .wavefront_size: 64
  - .agpr_count:     0
    .args:
      - .actual_access:  write_only
        .address_space:  global
        .offset:         0
        .size:           8
        .value_kind:     global_buffer
      - .actual_access:  read_only
        .address_space:  global
        .offset:         8
        .size:           8
        .value_kind:     global_buffer
      - .actual_access:  read_only
        .address_space:  global
        .offset:         16
        .size:           8
        .value_kind:     global_buffer
      - .offset:         24
        .size:           4
        .value_kind:     by_value
      - .offset:         32
        .size:           4
        .value_kind:     hidden_block_count_x
      - .offset:         36
        .size:           4
        .value_kind:     hidden_block_count_y
      - .offset:         40
        .size:           4
        .value_kind:     hidden_block_count_z
      - .offset:         44
        .size:           2
        .value_kind:     hidden_group_size_x
      - .offset:         46
        .size:           2
        .value_kind:     hidden_group_size_y
      - .offset:         48
        .size:           2
        .value_kind:     hidden_group_size_z
      - .offset:         50
        .size:           2
        .value_kind:     hidden_remainder_x
      - .offset:         52
        .size:           2
        .value_kind:     hidden_remainder_y
      - .offset:         54
        .size:           2
        .value_kind:     hidden_remainder_z
      - .offset:         72
        .size:           8
        .value_kind:     hidden_global_offset_x
      - .offset:         80
        .size:           8
        .value_kind:     hidden_global_offset_y
      - .offset:         88
        .size:           8
        .value_kind:     hidden_global_offset_z
      - .offset:         96
        .size:           2
        .value_kind:     hidden_grid_dims
    .group_segment_fixed_size: 0
    .kernarg_segment_align: 8
    .kernarg_segment_size: 288
    .language:       OpenCL C
    .language_version:
      - 2
      - 0
    .max_flat_workgroup_size: 1024
    .name:           _ZN5aiter24partial_transpose_kernelItLi256ELi16ELi10000EEEvPT_S2_PKii
    .private_segment_fixed_size: 0
    .sgpr_count:     58
    .sgpr_spill_count: 0
    .symbol:         _ZN5aiter24partial_transpose_kernelItLi256ELi16ELi10000EEEvPT_S2_PKii.kd
    .uniform_work_group_size: 1
    .uses_dynamic_stack: false
    .vgpr_count:     18
    .vgpr_spill_count: 0
    .wavefront_size: 64
  - .agpr_count:     0
    .args:
      - .actual_access:  write_only
        .address_space:  global
        .offset:         0
        .size:           8
        .value_kind:     global_buffer
      - .actual_access:  read_only
        .address_space:  global
        .offset:         8
        .size:           8
        .value_kind:     global_buffer
      - .actual_access:  read_only
        .address_space:  global
        .offset:         16
        .size:           8
        .value_kind:     global_buffer
      - .offset:         24
        .size:           4
        .value_kind:     by_value
      - .offset:         32
        .size:           4
        .value_kind:     hidden_block_count_x
      - .offset:         36
        .size:           4
        .value_kind:     hidden_block_count_y
      - .offset:         40
        .size:           4
        .value_kind:     hidden_block_count_z
      - .offset:         44
        .size:           2
        .value_kind:     hidden_group_size_x
      - .offset:         46
        .size:           2
        .value_kind:     hidden_group_size_y
      - .offset:         48
        .size:           2
        .value_kind:     hidden_group_size_z
      - .offset:         50
        .size:           2
        .value_kind:     hidden_remainder_x
      - .offset:         52
        .size:           2
        .value_kind:     hidden_remainder_y
      - .offset:         54
        .size:           2
        .value_kind:     hidden_remainder_z
      - .offset:         72
        .size:           8
        .value_kind:     hidden_global_offset_x
      - .offset:         80
        .size:           8
        .value_kind:     hidden_global_offset_y
      - .offset:         88
        .size:           8
        .value_kind:     hidden_global_offset_z
      - .offset:         96
        .size:           2
        .value_kind:     hidden_grid_dims
    .group_segment_fixed_size: 0
    .kernarg_segment_align: 8
    .kernarg_segment_size: 288
    .language:       OpenCL C
    .language_version:
      - 2
      - 0
    .max_flat_workgroup_size: 1024
    .name:           _ZN5aiter24partial_transpose_kernelIfLi512ELi16ELi10000EEEvPT_S2_PKii
    .private_segment_fixed_size: 0
    .sgpr_count:     58
    .sgpr_spill_count: 0
    .symbol:         _ZN5aiter24partial_transpose_kernelIfLi512ELi16ELi10000EEEvPT_S2_PKii.kd
    .uniform_work_group_size: 1
    .uses_dynamic_stack: false
    .vgpr_count:     26
    .vgpr_spill_count: 0
    .wavefront_size: 64
  - .agpr_count:     0
    .args:
      - .actual_access:  write_only
        .address_space:  global
        .offset:         0
        .size:           8
        .value_kind:     global_buffer
      - .actual_access:  read_only
        .address_space:  global
        .offset:         8
        .size:           8
        .value_kind:     global_buffer
      - .actual_access:  read_only
        .address_space:  global
        .offset:         16
        .size:           8
        .value_kind:     global_buffer
      - .offset:         24
        .size:           4
        .value_kind:     by_value
      - .offset:         32
        .size:           4
        .value_kind:     hidden_block_count_x
      - .offset:         36
        .size:           4
        .value_kind:     hidden_block_count_y
      - .offset:         40
        .size:           4
        .value_kind:     hidden_block_count_z
      - .offset:         44
        .size:           2
        .value_kind:     hidden_group_size_x
      - .offset:         46
        .size:           2
        .value_kind:     hidden_group_size_y
      - .offset:         48
        .size:           2
        .value_kind:     hidden_group_size_z
      - .offset:         50
        .size:           2
        .value_kind:     hidden_remainder_x
      - .offset:         52
        .size:           2
        .value_kind:     hidden_remainder_y
      - .offset:         54
        .size:           2
        .value_kind:     hidden_remainder_z
      - .offset:         72
        .size:           8
        .value_kind:     hidden_global_offset_x
      - .offset:         80
        .size:           8
        .value_kind:     hidden_global_offset_y
      - .offset:         88
        .size:           8
        .value_kind:     hidden_global_offset_z
      - .offset:         96
        .size:           2
        .value_kind:     hidden_grid_dims
    .group_segment_fixed_size: 0
    .kernarg_segment_align: 8
    .kernarg_segment_size: 288
    .language:       OpenCL C
    .language_version:
      - 2
      - 0
    .max_flat_workgroup_size: 1024
    .name:           _ZN5aiter24partial_transpose_kernelIDF16_Li512ELi16ELi10000EEEvPT_S2_PKii
    .private_segment_fixed_size: 0
    .sgpr_count:     58
    .sgpr_spill_count: 0
    .symbol:         _ZN5aiter24partial_transpose_kernelIDF16_Li512ELi16ELi10000EEEvPT_S2_PKii.kd
    .uniform_work_group_size: 1
    .uses_dynamic_stack: false
    .vgpr_count:     18
    .vgpr_spill_count: 0
    .wavefront_size: 64
  - .agpr_count:     0
    .args:
      - .actual_access:  write_only
        .address_space:  global
        .offset:         0
        .size:           8
        .value_kind:     global_buffer
      - .actual_access:  read_only
        .address_space:  global
        .offset:         8
        .size:           8
        .value_kind:     global_buffer
      - .actual_access:  read_only
        .address_space:  global
        .offset:         16
        .size:           8
        .value_kind:     global_buffer
      - .offset:         24
        .size:           4
        .value_kind:     by_value
      - .offset:         32
        .size:           4
        .value_kind:     hidden_block_count_x
      - .offset:         36
        .size:           4
        .value_kind:     hidden_block_count_y
      - .offset:         40
        .size:           4
        .value_kind:     hidden_block_count_z
      - .offset:         44
        .size:           2
        .value_kind:     hidden_group_size_x
      - .offset:         46
        .size:           2
        .value_kind:     hidden_group_size_y
      - .offset:         48
        .size:           2
        .value_kind:     hidden_group_size_z
      - .offset:         50
        .size:           2
        .value_kind:     hidden_remainder_x
      - .offset:         52
        .size:           2
        .value_kind:     hidden_remainder_y
      - .offset:         54
        .size:           2
        .value_kind:     hidden_remainder_z
      - .offset:         72
        .size:           8
        .value_kind:     hidden_global_offset_x
      - .offset:         80
        .size:           8
        .value_kind:     hidden_global_offset_y
      - .offset:         88
        .size:           8
        .value_kind:     hidden_global_offset_z
      - .offset:         96
        .size:           2
        .value_kind:     hidden_grid_dims
    .group_segment_fixed_size: 0
    .kernarg_segment_align: 8
    .kernarg_segment_size: 288
    .language:       OpenCL C
    .language_version:
      - 2
      - 0
    .max_flat_workgroup_size: 1024
    .name:           _ZN5aiter24partial_transpose_kernelItLi512ELi16ELi10000EEEvPT_S2_PKii
    .private_segment_fixed_size: 0
    .sgpr_count:     58
    .sgpr_spill_count: 0
    .symbol:         _ZN5aiter24partial_transpose_kernelItLi512ELi16ELi10000EEEvPT_S2_PKii.kd
    .uniform_work_group_size: 1
    .uses_dynamic_stack: false
    .vgpr_count:     18
    .vgpr_spill_count: 0
    .wavefront_size: 64
  - .agpr_count:     0
    .args:
      - .actual_access:  write_only
        .address_space:  global
        .offset:         0
        .size:           8
        .value_kind:     global_buffer
      - .actual_access:  write_only
        .address_space:  global
        .offset:         8
        .size:           8
        .value_kind:     global_buffer
      - .actual_access:  read_only
        .address_space:  global
        .offset:         16
        .size:           8
        .value_kind:     global_buffer
      - .actual_access:  read_only
        .address_space:  global
        .offset:         24
        .size:           8
        .value_kind:     global_buffer
      - .actual_access:  read_only
        .address_space:  global
        .offset:         32
        .size:           8
        .value_kind:     global_buffer
      - .address_space:  global
        .offset:         40
        .size:           8
        .value_kind:     global_buffer
      - .offset:         48
        .size:           4
        .value_kind:     by_value
      - .offset:         52
        .size:           4
        .value_kind:     by_value
      - .offset:         56
        .size:           4
        .value_kind:     by_value
      - .offset:         60
        .size:           4
        .value_kind:     by_value
      - .offset:         64
        .size:           4
        .value_kind:     by_value
    .group_segment_fixed_size: 4104
    .kernarg_segment_align: 8
    .kernarg_segment_size: 68
    .language:       OpenCL C
    .language_version:
      - 2
      - 0
    .max_flat_workgroup_size: 1024
    .name:           _ZN5aiter43moe_smooth_per_token_scaled_quant_kernel_v1IDF16_DB8_Li128ELi8ELb1ELb1ELi1024EEEvPT0_PfPT_S4_PiS7_iiiii
    .private_segment_fixed_size: 0
    .sgpr_count:     34
    .sgpr_spill_count: 0
    .symbol:         _ZN5aiter43moe_smooth_per_token_scaled_quant_kernel_v1IDF16_DB8_Li128ELi8ELb1ELb1ELi1024EEEvPT0_PfPT_S4_PiS7_iiiii.kd
    .uniform_work_group_size: 1
    .uses_dynamic_stack: false
    .vgpr_count:     32
    .vgpr_spill_count: 0
    .wavefront_size: 64
  - .agpr_count:     0
    .args:
      - .actual_access:  write_only
        .address_space:  global
        .offset:         0
        .size:           8
        .value_kind:     global_buffer
      - .actual_access:  write_only
        .address_space:  global
        .offset:         8
        .size:           8
        .value_kind:     global_buffer
      - .actual_access:  read_only
        .address_space:  global
        .offset:         16
        .size:           8
        .value_kind:     global_buffer
      - .actual_access:  read_only
        .address_space:  global
        .offset:         24
        .size:           8
        .value_kind:     global_buffer
      - .actual_access:  read_only
        .address_space:  global
        .offset:         32
        .size:           8
        .value_kind:     global_buffer
      - .address_space:  global
        .offset:         40
        .size:           8
        .value_kind:     global_buffer
      - .offset:         48
        .size:           4
        .value_kind:     by_value
      - .offset:         52
        .size:           4
        .value_kind:     by_value
      - .offset:         56
        .size:           4
        .value_kind:     by_value
      - .offset:         60
        .size:           4
        .value_kind:     by_value
      - .offset:         64
        .size:           4
        .value_kind:     by_value
    .group_segment_fixed_size: 4104
    .kernarg_segment_align: 8
    .kernarg_segment_size: 68
    .language:       OpenCL C
    .language_version:
      - 2
      - 0
    .max_flat_workgroup_size: 1024
    .name:           _ZN5aiter43moe_smooth_per_token_scaled_quant_kernel_v1ItDB8_Li128ELi8ELb1ELb1ELi1024EEEvPT0_PfPT_S4_PiS7_iiiii
    .private_segment_fixed_size: 0
    .sgpr_count:     34
    .sgpr_spill_count: 0
    .symbol:         _ZN5aiter43moe_smooth_per_token_scaled_quant_kernel_v1ItDB8_Li128ELi8ELb1ELb1ELi1024EEEvPT0_PfPT_S4_PiS7_iiiii.kd
    .uniform_work_group_size: 1
    .uses_dynamic_stack: false
    .vgpr_count:     32
    .vgpr_spill_count: 0
    .wavefront_size: 64
  - .agpr_count:     0
    .args:
      - .actual_access:  write_only
        .address_space:  global
        .offset:         0
        .size:           8
        .value_kind:     global_buffer
      - .actual_access:  write_only
        .address_space:  global
        .offset:         8
        .size:           8
        .value_kind:     global_buffer
      - .actual_access:  read_only
        .address_space:  global
        .offset:         16
        .size:           8
        .value_kind:     global_buffer
      - .actual_access:  read_only
        .address_space:  global
        .offset:         24
        .size:           8
        .value_kind:     global_buffer
      - .actual_access:  read_only
        .address_space:  global
        .offset:         32
        .size:           8
        .value_kind:     global_buffer
      - .actual_access:  read_only
        .address_space:  global
        .offset:         40
        .size:           8
        .value_kind:     global_buffer
      - .offset:         48
        .size:           4
        .value_kind:     by_value
      - .offset:         52
        .size:           4
        .value_kind:     by_value
      - .offset:         56
        .size:           4
        .value_kind:     by_value
      - .offset:         60
        .size:           4
        .value_kind:     by_value
      - .offset:         64
        .size:           4
        .value_kind:     by_value
    .group_segment_fixed_size: 8
    .kernarg_segment_align: 8
    .kernarg_segment_size: 68
    .language:       OpenCL C
    .language_version:
      - 2
      - 0
    .max_flat_workgroup_size: 1024
    .name:           _ZN5aiter43moe_smooth_per_token_scaled_quant_kernel_v1IDF16_DB8_Li128ELi8ELb1ELb0ELi1024EEEvPT0_PfPT_S4_PiS7_iiiii
    .private_segment_fixed_size: 0
    .sgpr_count:     34
    .sgpr_spill_count: 0
    .symbol:         _ZN5aiter43moe_smooth_per_token_scaled_quant_kernel_v1IDF16_DB8_Li128ELi8ELb1ELb0ELi1024EEEvPT0_PfPT_S4_PiS7_iiiii.kd
    .uniform_work_group_size: 1
    .uses_dynamic_stack: false
    .vgpr_count:     32
    .vgpr_spill_count: 0
    .wavefront_size: 64
  - .agpr_count:     0
    .args:
      - .actual_access:  write_only
        .address_space:  global
        .offset:         0
        .size:           8
        .value_kind:     global_buffer
      - .actual_access:  write_only
        .address_space:  global
        .offset:         8
        .size:           8
        .value_kind:     global_buffer
      - .actual_access:  read_only
        .address_space:  global
        .offset:         16
        .size:           8
        .value_kind:     global_buffer
      - .actual_access:  read_only
        .address_space:  global
        .offset:         24
        .size:           8
        .value_kind:     global_buffer
      - .actual_access:  read_only
        .address_space:  global
        .offset:         32
        .size:           8
        .value_kind:     global_buffer
      - .actual_access:  read_only
        .address_space:  global
        .offset:         40
        .size:           8
        .value_kind:     global_buffer
      - .offset:         48
        .size:           4
        .value_kind:     by_value
      - .offset:         52
        .size:           4
        .value_kind:     by_value
      - .offset:         56
        .size:           4
        .value_kind:     by_value
      - .offset:         60
        .size:           4
        .value_kind:     by_value
      - .offset:         64
        .size:           4
        .value_kind:     by_value
    .group_segment_fixed_size: 8
    .kernarg_segment_align: 8
    .kernarg_segment_size: 68
    .language:       OpenCL C
    .language_version:
      - 2
      - 0
    .max_flat_workgroup_size: 1024
    .name:           _ZN5aiter43moe_smooth_per_token_scaled_quant_kernel_v1ItDB8_Li128ELi8ELb1ELb0ELi1024EEEvPT0_PfPT_S4_PiS7_iiiii
    .private_segment_fixed_size: 0
    .sgpr_count:     34
    .sgpr_spill_count: 0
    .symbol:         _ZN5aiter43moe_smooth_per_token_scaled_quant_kernel_v1ItDB8_Li128ELi8ELb1ELb0ELi1024EEEvPT0_PfPT_S4_PiS7_iiiii.kd
    .uniform_work_group_size: 1
    .uses_dynamic_stack: false
    .vgpr_count:     32
    .vgpr_spill_count: 0
    .wavefront_size: 64
  - .agpr_count:     0
    .args:
      - .actual_access:  write_only
        .address_space:  global
        .offset:         0
        .size:           8
        .value_kind:     global_buffer
      - .actual_access:  write_only
        .address_space:  global
        .offset:         8
        .size:           8
        .value_kind:     global_buffer
      - .actual_access:  read_only
        .address_space:  global
        .offset:         16
        .size:           8
        .value_kind:     global_buffer
      - .actual_access:  read_only
        .address_space:  global
        .offset:         24
        .size:           8
        .value_kind:     global_buffer
      - .actual_access:  read_only
        .address_space:  global
        .offset:         32
        .size:           8
        .value_kind:     global_buffer
      - .address_space:  global
        .offset:         40
        .size:           8
        .value_kind:     global_buffer
      - .offset:         48
        .size:           4
        .value_kind:     by_value
      - .offset:         52
        .size:           4
        .value_kind:     by_value
      - .offset:         56
        .size:           4
        .value_kind:     by_value
      - .offset:         60
        .size:           4
        .value_kind:     by_value
      - .offset:         64
        .size:           4
        .value_kind:     by_value
    .group_segment_fixed_size: 4104
    .kernarg_segment_align: 8
    .kernarg_segment_size: 68
    .language:       OpenCL C
    .language_version:
      - 2
      - 0
    .max_flat_workgroup_size: 1024
    .name:           _ZN5aiter43moe_smooth_per_token_scaled_quant_kernel_v1IDF16_DB8_Li128ELi8ELb0ELb1ELi1024EEEvPT0_PfPT_S4_PiS7_iiiii
    .private_segment_fixed_size: 0
    .sgpr_count:     32
    .sgpr_spill_count: 0
    .symbol:         _ZN5aiter43moe_smooth_per_token_scaled_quant_kernel_v1IDF16_DB8_Li128ELi8ELb0ELb1ELi1024EEEvPT0_PfPT_S4_PiS7_iiiii.kd
    .uniform_work_group_size: 1
    .uses_dynamic_stack: false
    .vgpr_count:     32
    .vgpr_spill_count: 0
    .wavefront_size: 64
  - .agpr_count:     0
    .args:
      - .actual_access:  write_only
        .address_space:  global
        .offset:         0
        .size:           8
        .value_kind:     global_buffer
      - .actual_access:  write_only
        .address_space:  global
        .offset:         8
        .size:           8
        .value_kind:     global_buffer
      - .actual_access:  read_only
        .address_space:  global
        .offset:         16
        .size:           8
        .value_kind:     global_buffer
      - .actual_access:  read_only
        .address_space:  global
        .offset:         24
        .size:           8
        .value_kind:     global_buffer
      - .actual_access:  read_only
        .address_space:  global
        .offset:         32
        .size:           8
        .value_kind:     global_buffer
      - .address_space:  global
        .offset:         40
        .size:           8
        .value_kind:     global_buffer
      - .offset:         48
        .size:           4
        .value_kind:     by_value
      - .offset:         52
        .size:           4
        .value_kind:     by_value
      - .offset:         56
        .size:           4
        .value_kind:     by_value
      - .offset:         60
        .size:           4
        .value_kind:     by_value
      - .offset:         64
        .size:           4
        .value_kind:     by_value
    .group_segment_fixed_size: 4104
    .kernarg_segment_align: 8
    .kernarg_segment_size: 68
    .language:       OpenCL C
    .language_version:
      - 2
      - 0
    .max_flat_workgroup_size: 1024
    .name:           _ZN5aiter43moe_smooth_per_token_scaled_quant_kernel_v1ItDB8_Li128ELi8ELb0ELb1ELi1024EEEvPT0_PfPT_S4_PiS7_iiiii
    .private_segment_fixed_size: 0
    .sgpr_count:     32
    .sgpr_spill_count: 0
    .symbol:         _ZN5aiter43moe_smooth_per_token_scaled_quant_kernel_v1ItDB8_Li128ELi8ELb0ELb1ELi1024EEEvPT0_PfPT_S4_PiS7_iiiii.kd
    .uniform_work_group_size: 1
    .uses_dynamic_stack: false
    .vgpr_count:     32
    .vgpr_spill_count: 0
    .wavefront_size: 64
  - .agpr_count:     0
    .args:
      - .actual_access:  write_only
        .address_space:  global
        .offset:         0
        .size:           8
        .value_kind:     global_buffer
      - .actual_access:  write_only
        .address_space:  global
        .offset:         8
        .size:           8
        .value_kind:     global_buffer
      - .actual_access:  read_only
        .address_space:  global
        .offset:         16
        .size:           8
        .value_kind:     global_buffer
      - .actual_access:  read_only
        .address_space:  global
        .offset:         24
        .size:           8
        .value_kind:     global_buffer
      - .actual_access:  read_only
        .address_space:  global
        .offset:         32
        .size:           8
        .value_kind:     global_buffer
      - .actual_access:  read_only
        .address_space:  global
        .offset:         40
        .size:           8
        .value_kind:     global_buffer
      - .offset:         48
        .size:           4
        .value_kind:     by_value
      - .offset:         52
        .size:           4
        .value_kind:     by_value
      - .offset:         56
        .size:           4
        .value_kind:     by_value
      - .offset:         60
        .size:           4
        .value_kind:     by_value
      - .offset:         64
        .size:           4
        .value_kind:     by_value
    .group_segment_fixed_size: 8
    .kernarg_segment_align: 8
    .kernarg_segment_size: 68
    .language:       OpenCL C
    .language_version:
      - 2
      - 0
    .max_flat_workgroup_size: 1024
    .name:           _ZN5aiter43moe_smooth_per_token_scaled_quant_kernel_v1IDF16_DB8_Li128ELi8ELb0ELb0ELi1024EEEvPT0_PfPT_S4_PiS7_iiiii
    .private_segment_fixed_size: 0
    .sgpr_count:     32
    .sgpr_spill_count: 0
    .symbol:         _ZN5aiter43moe_smooth_per_token_scaled_quant_kernel_v1IDF16_DB8_Li128ELi8ELb0ELb0ELi1024EEEvPT0_PfPT_S4_PiS7_iiiii.kd
    .uniform_work_group_size: 1
    .uses_dynamic_stack: false
    .vgpr_count:     32
    .vgpr_spill_count: 0
    .wavefront_size: 64
  - .agpr_count:     0
    .args:
      - .actual_access:  write_only
        .address_space:  global
        .offset:         0
        .size:           8
        .value_kind:     global_buffer
      - .actual_access:  write_only
        .address_space:  global
        .offset:         8
        .size:           8
        .value_kind:     global_buffer
      - .actual_access:  read_only
        .address_space:  global
        .offset:         16
        .size:           8
        .value_kind:     global_buffer
      - .actual_access:  read_only
        .address_space:  global
        .offset:         24
        .size:           8
        .value_kind:     global_buffer
      - .actual_access:  read_only
        .address_space:  global
        .offset:         32
        .size:           8
        .value_kind:     global_buffer
      - .actual_access:  read_only
        .address_space:  global
        .offset:         40
        .size:           8
        .value_kind:     global_buffer
      - .offset:         48
        .size:           4
        .value_kind:     by_value
      - .offset:         52
        .size:           4
        .value_kind:     by_value
      - .offset:         56
        .size:           4
        .value_kind:     by_value
      - .offset:         60
        .size:           4
        .value_kind:     by_value
      - .offset:         64
        .size:           4
        .value_kind:     by_value
    .group_segment_fixed_size: 8
    .kernarg_segment_align: 8
    .kernarg_segment_size: 68
    .language:       OpenCL C
    .language_version:
      - 2
      - 0
    .max_flat_workgroup_size: 1024
    .name:           _ZN5aiter43moe_smooth_per_token_scaled_quant_kernel_v1ItDB8_Li128ELi8ELb0ELb0ELi1024EEEvPT0_PfPT_S4_PiS7_iiiii
    .private_segment_fixed_size: 0
    .sgpr_count:     32
    .sgpr_spill_count: 0
    .symbol:         _ZN5aiter43moe_smooth_per_token_scaled_quant_kernel_v1ItDB8_Li128ELi8ELb0ELb0ELi1024EEEvPT0_PfPT_S4_PiS7_iiiii.kd
    .uniform_work_group_size: 1
    .uses_dynamic_stack: false
    .vgpr_count:     32
    .vgpr_spill_count: 0
    .wavefront_size: 64
  - .agpr_count:     0
    .args:
      - .actual_access:  write_only
        .address_space:  global
        .offset:         0
        .size:           8
        .value_kind:     global_buffer
      - .actual_access:  write_only
        .address_space:  global
        .offset:         8
        .size:           8
        .value_kind:     global_buffer
      - .actual_access:  read_only
        .address_space:  global
        .offset:         16
        .size:           8
        .value_kind:     global_buffer
      - .actual_access:  read_only
        .address_space:  global
        .offset:         24
        .size:           8
        .value_kind:     global_buffer
      - .actual_access:  read_only
        .address_space:  global
        .offset:         32
        .size:           8
        .value_kind:     global_buffer
      - .address_space:  global
        .offset:         40
        .size:           8
        .value_kind:     global_buffer
      - .offset:         48
        .size:           4
        .value_kind:     by_value
      - .offset:         52
        .size:           4
        .value_kind:     by_value
      - .offset:         56
        .size:           4
        .value_kind:     by_value
      - .offset:         60
        .size:           4
        .value_kind:     by_value
      - .offset:         64
        .size:           4
        .value_kind:     by_value
    .group_segment_fixed_size: 4112
    .kernarg_segment_align: 8
    .kernarg_segment_size: 68
    .language:       OpenCL C
    .language_version:
      - 2
      - 0
    .max_flat_workgroup_size: 1024
    .name:           _ZN5aiter43moe_smooth_per_token_scaled_quant_kernel_v1IDF16_DB8_Li256ELi8ELb1ELb1ELi1024EEEvPT0_PfPT_S4_PiS7_iiiii
    .private_segment_fixed_size: 0
    .sgpr_count:     34
    .sgpr_spill_count: 0
    .symbol:         _ZN5aiter43moe_smooth_per_token_scaled_quant_kernel_v1IDF16_DB8_Li256ELi8ELb1ELb1ELi1024EEEvPT0_PfPT_S4_PiS7_iiiii.kd
    .uniform_work_group_size: 1
    .uses_dynamic_stack: false
    .vgpr_count:     32
    .vgpr_spill_count: 0
    .wavefront_size: 64
  - .agpr_count:     0
    .args:
      - .actual_access:  write_only
        .address_space:  global
        .offset:         0
        .size:           8
        .value_kind:     global_buffer
      - .actual_access:  write_only
        .address_space:  global
        .offset:         8
        .size:           8
        .value_kind:     global_buffer
      - .actual_access:  read_only
        .address_space:  global
        .offset:         16
        .size:           8
        .value_kind:     global_buffer
      - .actual_access:  read_only
        .address_space:  global
        .offset:         24
        .size:           8
        .value_kind:     global_buffer
      - .actual_access:  read_only
        .address_space:  global
        .offset:         32
        .size:           8
        .value_kind:     global_buffer
      - .address_space:  global
        .offset:         40
        .size:           8
        .value_kind:     global_buffer
      - .offset:         48
        .size:           4
        .value_kind:     by_value
      - .offset:         52
        .size:           4
        .value_kind:     by_value
      - .offset:         56
        .size:           4
        .value_kind:     by_value
      - .offset:         60
        .size:           4
        .value_kind:     by_value
      - .offset:         64
        .size:           4
        .value_kind:     by_value
    .group_segment_fixed_size: 4112
    .kernarg_segment_align: 8
    .kernarg_segment_size: 68
    .language:       OpenCL C
    .language_version:
      - 2
      - 0
    .max_flat_workgroup_size: 1024
    .name:           _ZN5aiter43moe_smooth_per_token_scaled_quant_kernel_v1ItDB8_Li256ELi8ELb1ELb1ELi1024EEEvPT0_PfPT_S4_PiS7_iiiii
    .private_segment_fixed_size: 0
    .sgpr_count:     34
    .sgpr_spill_count: 0
    .symbol:         _ZN5aiter43moe_smooth_per_token_scaled_quant_kernel_v1ItDB8_Li256ELi8ELb1ELb1ELi1024EEEvPT0_PfPT_S4_PiS7_iiiii.kd
    .uniform_work_group_size: 1
    .uses_dynamic_stack: false
    .vgpr_count:     32
    .vgpr_spill_count: 0
    .wavefront_size: 64
  - .agpr_count:     0
    .args:
      - .actual_access:  write_only
        .address_space:  global
        .offset:         0
        .size:           8
        .value_kind:     global_buffer
      - .actual_access:  write_only
        .address_space:  global
        .offset:         8
        .size:           8
        .value_kind:     global_buffer
      - .actual_access:  read_only
        .address_space:  global
        .offset:         16
        .size:           8
        .value_kind:     global_buffer
      - .actual_access:  read_only
        .address_space:  global
        .offset:         24
        .size:           8
        .value_kind:     global_buffer
      - .actual_access:  read_only
        .address_space:  global
        .offset:         32
        .size:           8
        .value_kind:     global_buffer
      - .actual_access:  read_only
        .address_space:  global
        .offset:         40
        .size:           8
        .value_kind:     global_buffer
      - .offset:         48
        .size:           4
        .value_kind:     by_value
      - .offset:         52
        .size:           4
        .value_kind:     by_value
      - .offset:         56
        .size:           4
        .value_kind:     by_value
      - .offset:         60
        .size:           4
        .value_kind:     by_value
      - .offset:         64
        .size:           4
        .value_kind:     by_value
    .group_segment_fixed_size: 16
    .kernarg_segment_align: 8
    .kernarg_segment_size: 68
    .language:       OpenCL C
    .language_version:
      - 2
      - 0
    .max_flat_workgroup_size: 1024
    .name:           _ZN5aiter43moe_smooth_per_token_scaled_quant_kernel_v1IDF16_DB8_Li256ELi8ELb1ELb0ELi1024EEEvPT0_PfPT_S4_PiS7_iiiii
    .private_segment_fixed_size: 0
    .sgpr_count:     34
    .sgpr_spill_count: 0
    .symbol:         _ZN5aiter43moe_smooth_per_token_scaled_quant_kernel_v1IDF16_DB8_Li256ELi8ELb1ELb0ELi1024EEEvPT0_PfPT_S4_PiS7_iiiii.kd
    .uniform_work_group_size: 1
    .uses_dynamic_stack: false
    .vgpr_count:     32
    .vgpr_spill_count: 0
    .wavefront_size: 64
  - .agpr_count:     0
    .args:
      - .actual_access:  write_only
        .address_space:  global
        .offset:         0
        .size:           8
        .value_kind:     global_buffer
      - .actual_access:  write_only
        .address_space:  global
        .offset:         8
        .size:           8
        .value_kind:     global_buffer
      - .actual_access:  read_only
        .address_space:  global
        .offset:         16
        .size:           8
        .value_kind:     global_buffer
      - .actual_access:  read_only
        .address_space:  global
        .offset:         24
        .size:           8
        .value_kind:     global_buffer
      - .actual_access:  read_only
        .address_space:  global
        .offset:         32
        .size:           8
        .value_kind:     global_buffer
      - .actual_access:  read_only
        .address_space:  global
        .offset:         40
        .size:           8
        .value_kind:     global_buffer
      - .offset:         48
        .size:           4
        .value_kind:     by_value
      - .offset:         52
        .size:           4
        .value_kind:     by_value
      - .offset:         56
        .size:           4
        .value_kind:     by_value
      - .offset:         60
        .size:           4
        .value_kind:     by_value
      - .offset:         64
        .size:           4
        .value_kind:     by_value
    .group_segment_fixed_size: 16
    .kernarg_segment_align: 8
    .kernarg_segment_size: 68
    .language:       OpenCL C
    .language_version:
      - 2
      - 0
    .max_flat_workgroup_size: 1024
    .name:           _ZN5aiter43moe_smooth_per_token_scaled_quant_kernel_v1ItDB8_Li256ELi8ELb1ELb0ELi1024EEEvPT0_PfPT_S4_PiS7_iiiii
    .private_segment_fixed_size: 0
    .sgpr_count:     34
    .sgpr_spill_count: 0
    .symbol:         _ZN5aiter43moe_smooth_per_token_scaled_quant_kernel_v1ItDB8_Li256ELi8ELb1ELb0ELi1024EEEvPT0_PfPT_S4_PiS7_iiiii.kd
    .uniform_work_group_size: 1
    .uses_dynamic_stack: false
    .vgpr_count:     32
    .vgpr_spill_count: 0
    .wavefront_size: 64
  - .agpr_count:     0
    .args:
      - .actual_access:  write_only
        .address_space:  global
        .offset:         0
        .size:           8
        .value_kind:     global_buffer
      - .actual_access:  write_only
        .address_space:  global
        .offset:         8
        .size:           8
        .value_kind:     global_buffer
      - .actual_access:  read_only
        .address_space:  global
        .offset:         16
        .size:           8
        .value_kind:     global_buffer
      - .actual_access:  read_only
        .address_space:  global
        .offset:         24
        .size:           8
        .value_kind:     global_buffer
      - .actual_access:  read_only
        .address_space:  global
        .offset:         32
        .size:           8
        .value_kind:     global_buffer
      - .address_space:  global
        .offset:         40
        .size:           8
        .value_kind:     global_buffer
      - .offset:         48
        .size:           4
        .value_kind:     by_value
      - .offset:         52
        .size:           4
        .value_kind:     by_value
      - .offset:         56
        .size:           4
        .value_kind:     by_value
      - .offset:         60
        .size:           4
        .value_kind:     by_value
      - .offset:         64
        .size:           4
        .value_kind:     by_value
    .group_segment_fixed_size: 4112
    .kernarg_segment_align: 8
    .kernarg_segment_size: 68
    .language:       OpenCL C
    .language_version:
      - 2
      - 0
    .max_flat_workgroup_size: 1024
    .name:           _ZN5aiter43moe_smooth_per_token_scaled_quant_kernel_v1IDF16_DB8_Li256ELi8ELb0ELb1ELi1024EEEvPT0_PfPT_S4_PiS7_iiiii
    .private_segment_fixed_size: 0
    .sgpr_count:     32
    .sgpr_spill_count: 0
    .symbol:         _ZN5aiter43moe_smooth_per_token_scaled_quant_kernel_v1IDF16_DB8_Li256ELi8ELb0ELb1ELi1024EEEvPT0_PfPT_S4_PiS7_iiiii.kd
    .uniform_work_group_size: 1
    .uses_dynamic_stack: false
    .vgpr_count:     32
    .vgpr_spill_count: 0
    .wavefront_size: 64
  - .agpr_count:     0
    .args:
      - .actual_access:  write_only
        .address_space:  global
        .offset:         0
        .size:           8
        .value_kind:     global_buffer
      - .actual_access:  write_only
        .address_space:  global
        .offset:         8
        .size:           8
        .value_kind:     global_buffer
      - .actual_access:  read_only
        .address_space:  global
        .offset:         16
        .size:           8
        .value_kind:     global_buffer
      - .actual_access:  read_only
        .address_space:  global
        .offset:         24
        .size:           8
        .value_kind:     global_buffer
      - .actual_access:  read_only
        .address_space:  global
        .offset:         32
        .size:           8
        .value_kind:     global_buffer
      - .address_space:  global
        .offset:         40
        .size:           8
        .value_kind:     global_buffer
      - .offset:         48
        .size:           4
        .value_kind:     by_value
      - .offset:         52
        .size:           4
        .value_kind:     by_value
      - .offset:         56
        .size:           4
        .value_kind:     by_value
      - .offset:         60
        .size:           4
        .value_kind:     by_value
      - .offset:         64
        .size:           4
        .value_kind:     by_value
    .group_segment_fixed_size: 4112
    .kernarg_segment_align: 8
    .kernarg_segment_size: 68
    .language:       OpenCL C
    .language_version:
      - 2
      - 0
    .max_flat_workgroup_size: 1024
    .name:           _ZN5aiter43moe_smooth_per_token_scaled_quant_kernel_v1ItDB8_Li256ELi8ELb0ELb1ELi1024EEEvPT0_PfPT_S4_PiS7_iiiii
    .private_segment_fixed_size: 0
    .sgpr_count:     32
    .sgpr_spill_count: 0
    .symbol:         _ZN5aiter43moe_smooth_per_token_scaled_quant_kernel_v1ItDB8_Li256ELi8ELb0ELb1ELi1024EEEvPT0_PfPT_S4_PiS7_iiiii.kd
    .uniform_work_group_size: 1
    .uses_dynamic_stack: false
    .vgpr_count:     32
    .vgpr_spill_count: 0
    .wavefront_size: 64
  - .agpr_count:     0
    .args:
      - .actual_access:  write_only
        .address_space:  global
        .offset:         0
        .size:           8
        .value_kind:     global_buffer
      - .actual_access:  write_only
        .address_space:  global
        .offset:         8
        .size:           8
        .value_kind:     global_buffer
      - .actual_access:  read_only
        .address_space:  global
        .offset:         16
        .size:           8
        .value_kind:     global_buffer
      - .actual_access:  read_only
        .address_space:  global
        .offset:         24
        .size:           8
        .value_kind:     global_buffer
      - .actual_access:  read_only
        .address_space:  global
        .offset:         32
        .size:           8
        .value_kind:     global_buffer
      - .actual_access:  read_only
        .address_space:  global
        .offset:         40
        .size:           8
        .value_kind:     global_buffer
      - .offset:         48
        .size:           4
        .value_kind:     by_value
      - .offset:         52
        .size:           4
        .value_kind:     by_value
      - .offset:         56
        .size:           4
        .value_kind:     by_value
      - .offset:         60
        .size:           4
        .value_kind:     by_value
      - .offset:         64
        .size:           4
        .value_kind:     by_value
    .group_segment_fixed_size: 16
    .kernarg_segment_align: 8
    .kernarg_segment_size: 68
    .language:       OpenCL C
    .language_version:
      - 2
      - 0
    .max_flat_workgroup_size: 1024
    .name:           _ZN5aiter43moe_smooth_per_token_scaled_quant_kernel_v1IDF16_DB8_Li256ELi8ELb0ELb0ELi1024EEEvPT0_PfPT_S4_PiS7_iiiii
    .private_segment_fixed_size: 0
    .sgpr_count:     32
    .sgpr_spill_count: 0
    .symbol:         _ZN5aiter43moe_smooth_per_token_scaled_quant_kernel_v1IDF16_DB8_Li256ELi8ELb0ELb0ELi1024EEEvPT0_PfPT_S4_PiS7_iiiii.kd
    .uniform_work_group_size: 1
    .uses_dynamic_stack: false
    .vgpr_count:     32
    .vgpr_spill_count: 0
    .wavefront_size: 64
  - .agpr_count:     0
    .args:
      - .actual_access:  write_only
        .address_space:  global
        .offset:         0
        .size:           8
        .value_kind:     global_buffer
      - .actual_access:  write_only
        .address_space:  global
        .offset:         8
        .size:           8
        .value_kind:     global_buffer
      - .actual_access:  read_only
        .address_space:  global
        .offset:         16
        .size:           8
        .value_kind:     global_buffer
      - .actual_access:  read_only
        .address_space:  global
        .offset:         24
        .size:           8
        .value_kind:     global_buffer
      - .actual_access:  read_only
        .address_space:  global
        .offset:         32
        .size:           8
        .value_kind:     global_buffer
      - .actual_access:  read_only
        .address_space:  global
        .offset:         40
        .size:           8
        .value_kind:     global_buffer
      - .offset:         48
        .size:           4
        .value_kind:     by_value
      - .offset:         52
        .size:           4
        .value_kind:     by_value
      - .offset:         56
        .size:           4
        .value_kind:     by_value
      - .offset:         60
        .size:           4
        .value_kind:     by_value
      - .offset:         64
        .size:           4
        .value_kind:     by_value
    .group_segment_fixed_size: 16
    .kernarg_segment_align: 8
    .kernarg_segment_size: 68
    .language:       OpenCL C
    .language_version:
      - 2
      - 0
    .max_flat_workgroup_size: 1024
    .name:           _ZN5aiter43moe_smooth_per_token_scaled_quant_kernel_v1ItDB8_Li256ELi8ELb0ELb0ELi1024EEEvPT0_PfPT_S4_PiS7_iiiii
    .private_segment_fixed_size: 0
    .sgpr_count:     32
    .sgpr_spill_count: 0
    .symbol:         _ZN5aiter43moe_smooth_per_token_scaled_quant_kernel_v1ItDB8_Li256ELi8ELb0ELb0ELi1024EEEvPT0_PfPT_S4_PiS7_iiiii.kd
    .uniform_work_group_size: 1
    .uses_dynamic_stack: false
    .vgpr_count:     32
    .vgpr_spill_count: 0
    .wavefront_size: 64
  - .agpr_count:     0
    .args:
      - .actual_access:  write_only
        .address_space:  global
        .offset:         0
        .size:           8
        .value_kind:     global_buffer
      - .actual_access:  write_only
        .address_space:  global
        .offset:         8
        .size:           8
        .value_kind:     global_buffer
      - .actual_access:  read_only
        .address_space:  global
        .offset:         16
        .size:           8
        .value_kind:     global_buffer
      - .actual_access:  read_only
        .address_space:  global
        .offset:         24
        .size:           8
        .value_kind:     global_buffer
      - .actual_access:  read_only
        .address_space:  global
        .offset:         32
        .size:           8
        .value_kind:     global_buffer
      - .address_space:  global
        .offset:         40
        .size:           8
        .value_kind:     global_buffer
      - .offset:         48
        .size:           4
        .value_kind:     by_value
      - .offset:         52
        .size:           4
        .value_kind:     by_value
      - .offset:         56
        .size:           4
        .value_kind:     by_value
      - .offset:         60
        .size:           4
        .value_kind:     by_value
      - .offset:         64
        .size:           4
        .value_kind:     by_value
    .group_segment_fixed_size: 4112
    .kernarg_segment_align: 8
    .kernarg_segment_size: 68
    .language:       OpenCL C
    .language_version:
      - 2
      - 0
    .max_flat_workgroup_size: 1024
    .name:           _ZN5aiter43moe_smooth_per_token_scaled_quant_kernel_v1IDF16_DB8_Li256ELi16ELb1ELb1ELi1024EEEvPT0_PfPT_S4_PiS7_iiiii
    .private_segment_fixed_size: 0
    .sgpr_count:     34
    .sgpr_spill_count: 0
    .symbol:         _ZN5aiter43moe_smooth_per_token_scaled_quant_kernel_v1IDF16_DB8_Li256ELi16ELb1ELb1ELi1024EEEvPT0_PfPT_S4_PiS7_iiiii.kd
    .uniform_work_group_size: 1
    .uses_dynamic_stack: false
    .vgpr_count:     52
    .vgpr_spill_count: 0
    .wavefront_size: 64
  - .agpr_count:     0
    .args:
      - .actual_access:  write_only
        .address_space:  global
        .offset:         0
        .size:           8
        .value_kind:     global_buffer
      - .actual_access:  write_only
        .address_space:  global
        .offset:         8
        .size:           8
        .value_kind:     global_buffer
      - .actual_access:  read_only
        .address_space:  global
        .offset:         16
        .size:           8
        .value_kind:     global_buffer
      - .actual_access:  read_only
        .address_space:  global
        .offset:         24
        .size:           8
        .value_kind:     global_buffer
      - .actual_access:  read_only
        .address_space:  global
        .offset:         32
        .size:           8
        .value_kind:     global_buffer
      - .address_space:  global
        .offset:         40
        .size:           8
        .value_kind:     global_buffer
      - .offset:         48
        .size:           4
        .value_kind:     by_value
      - .offset:         52
        .size:           4
        .value_kind:     by_value
      - .offset:         56
        .size:           4
        .value_kind:     by_value
      - .offset:         60
        .size:           4
        .value_kind:     by_value
      - .offset:         64
        .size:           4
        .value_kind:     by_value
    .group_segment_fixed_size: 4112
    .kernarg_segment_align: 8
    .kernarg_segment_size: 68
    .language:       OpenCL C
    .language_version:
      - 2
      - 0
    .max_flat_workgroup_size: 1024
    .name:           _ZN5aiter43moe_smooth_per_token_scaled_quant_kernel_v1ItDB8_Li256ELi16ELb1ELb1ELi1024EEEvPT0_PfPT_S4_PiS7_iiiii
    .private_segment_fixed_size: 0
    .sgpr_count:     34
    .sgpr_spill_count: 0
    .symbol:         _ZN5aiter43moe_smooth_per_token_scaled_quant_kernel_v1ItDB8_Li256ELi16ELb1ELb1ELi1024EEEvPT0_PfPT_S4_PiS7_iiiii.kd
    .uniform_work_group_size: 1
    .uses_dynamic_stack: false
    .vgpr_count:     52
    .vgpr_spill_count: 0
    .wavefront_size: 64
  - .agpr_count:     0
    .args:
      - .actual_access:  write_only
        .address_space:  global
        .offset:         0
        .size:           8
        .value_kind:     global_buffer
      - .actual_access:  write_only
        .address_space:  global
        .offset:         8
        .size:           8
        .value_kind:     global_buffer
      - .actual_access:  read_only
        .address_space:  global
        .offset:         16
        .size:           8
        .value_kind:     global_buffer
      - .actual_access:  read_only
        .address_space:  global
        .offset:         24
        .size:           8
        .value_kind:     global_buffer
      - .actual_access:  read_only
        .address_space:  global
        .offset:         32
        .size:           8
        .value_kind:     global_buffer
      - .actual_access:  read_only
        .address_space:  global
        .offset:         40
        .size:           8
        .value_kind:     global_buffer
      - .offset:         48
        .size:           4
        .value_kind:     by_value
      - .offset:         52
        .size:           4
        .value_kind:     by_value
      - .offset:         56
        .size:           4
        .value_kind:     by_value
      - .offset:         60
        .size:           4
        .value_kind:     by_value
      - .offset:         64
        .size:           4
        .value_kind:     by_value
    .group_segment_fixed_size: 16
    .kernarg_segment_align: 8
    .kernarg_segment_size: 68
    .language:       OpenCL C
    .language_version:
      - 2
      - 0
    .max_flat_workgroup_size: 1024
    .name:           _ZN5aiter43moe_smooth_per_token_scaled_quant_kernel_v1IDF16_DB8_Li256ELi16ELb1ELb0ELi1024EEEvPT0_PfPT_S4_PiS7_iiiii
    .private_segment_fixed_size: 0
    .sgpr_count:     34
    .sgpr_spill_count: 0
    .symbol:         _ZN5aiter43moe_smooth_per_token_scaled_quant_kernel_v1IDF16_DB8_Li256ELi16ELb1ELb0ELi1024EEEvPT0_PfPT_S4_PiS7_iiiii.kd
    .uniform_work_group_size: 1
    .uses_dynamic_stack: false
    .vgpr_count:     52
    .vgpr_spill_count: 0
    .wavefront_size: 64
  - .agpr_count:     0
    .args:
      - .actual_access:  write_only
        .address_space:  global
        .offset:         0
        .size:           8
        .value_kind:     global_buffer
      - .actual_access:  write_only
        .address_space:  global
        .offset:         8
        .size:           8
        .value_kind:     global_buffer
      - .actual_access:  read_only
        .address_space:  global
        .offset:         16
        .size:           8
        .value_kind:     global_buffer
      - .actual_access:  read_only
        .address_space:  global
        .offset:         24
        .size:           8
        .value_kind:     global_buffer
      - .actual_access:  read_only
        .address_space:  global
        .offset:         32
        .size:           8
        .value_kind:     global_buffer
      - .actual_access:  read_only
        .address_space:  global
        .offset:         40
        .size:           8
        .value_kind:     global_buffer
      - .offset:         48
        .size:           4
        .value_kind:     by_value
      - .offset:         52
        .size:           4
        .value_kind:     by_value
      - .offset:         56
        .size:           4
        .value_kind:     by_value
      - .offset:         60
        .size:           4
        .value_kind:     by_value
      - .offset:         64
        .size:           4
        .value_kind:     by_value
    .group_segment_fixed_size: 16
    .kernarg_segment_align: 8
    .kernarg_segment_size: 68
    .language:       OpenCL C
    .language_version:
      - 2
      - 0
    .max_flat_workgroup_size: 1024
    .name:           _ZN5aiter43moe_smooth_per_token_scaled_quant_kernel_v1ItDB8_Li256ELi16ELb1ELb0ELi1024EEEvPT0_PfPT_S4_PiS7_iiiii
    .private_segment_fixed_size: 0
    .sgpr_count:     34
    .sgpr_spill_count: 0
    .symbol:         _ZN5aiter43moe_smooth_per_token_scaled_quant_kernel_v1ItDB8_Li256ELi16ELb1ELb0ELi1024EEEvPT0_PfPT_S4_PiS7_iiiii.kd
    .uniform_work_group_size: 1
    .uses_dynamic_stack: false
    .vgpr_count:     52
    .vgpr_spill_count: 0
    .wavefront_size: 64
  - .agpr_count:     0
    .args:
      - .actual_access:  write_only
        .address_space:  global
        .offset:         0
        .size:           8
        .value_kind:     global_buffer
      - .actual_access:  write_only
        .address_space:  global
        .offset:         8
        .size:           8
        .value_kind:     global_buffer
      - .actual_access:  read_only
        .address_space:  global
        .offset:         16
        .size:           8
        .value_kind:     global_buffer
      - .actual_access:  read_only
        .address_space:  global
        .offset:         24
        .size:           8
        .value_kind:     global_buffer
      - .actual_access:  read_only
        .address_space:  global
        .offset:         32
        .size:           8
        .value_kind:     global_buffer
      - .address_space:  global
        .offset:         40
        .size:           8
        .value_kind:     global_buffer
      - .offset:         48
        .size:           4
        .value_kind:     by_value
      - .offset:         52
        .size:           4
        .value_kind:     by_value
      - .offset:         56
        .size:           4
        .value_kind:     by_value
      - .offset:         60
        .size:           4
        .value_kind:     by_value
      - .offset:         64
        .size:           4
        .value_kind:     by_value
    .group_segment_fixed_size: 4112
    .kernarg_segment_align: 8
    .kernarg_segment_size: 68
    .language:       OpenCL C
    .language_version:
      - 2
      - 0
    .max_flat_workgroup_size: 1024
    .name:           _ZN5aiter43moe_smooth_per_token_scaled_quant_kernel_v1IDF16_DB8_Li256ELi16ELb0ELb1ELi1024EEEvPT0_PfPT_S4_PiS7_iiiii
    .private_segment_fixed_size: 0
    .sgpr_count:     32
    .sgpr_spill_count: 0
    .symbol:         _ZN5aiter43moe_smooth_per_token_scaled_quant_kernel_v1IDF16_DB8_Li256ELi16ELb0ELb1ELi1024EEEvPT0_PfPT_S4_PiS7_iiiii.kd
    .uniform_work_group_size: 1
    .uses_dynamic_stack: false
    .vgpr_count:     52
    .vgpr_spill_count: 0
    .wavefront_size: 64
  - .agpr_count:     0
    .args:
      - .actual_access:  write_only
        .address_space:  global
        .offset:         0
        .size:           8
        .value_kind:     global_buffer
      - .actual_access:  write_only
        .address_space:  global
        .offset:         8
        .size:           8
        .value_kind:     global_buffer
      - .actual_access:  read_only
        .address_space:  global
        .offset:         16
        .size:           8
        .value_kind:     global_buffer
      - .actual_access:  read_only
        .address_space:  global
        .offset:         24
        .size:           8
        .value_kind:     global_buffer
      - .actual_access:  read_only
        .address_space:  global
        .offset:         32
        .size:           8
        .value_kind:     global_buffer
      - .address_space:  global
        .offset:         40
        .size:           8
        .value_kind:     global_buffer
      - .offset:         48
        .size:           4
        .value_kind:     by_value
      - .offset:         52
        .size:           4
        .value_kind:     by_value
      - .offset:         56
        .size:           4
        .value_kind:     by_value
      - .offset:         60
        .size:           4
        .value_kind:     by_value
      - .offset:         64
        .size:           4
        .value_kind:     by_value
    .group_segment_fixed_size: 4112
    .kernarg_segment_align: 8
    .kernarg_segment_size: 68
    .language:       OpenCL C
    .language_version:
      - 2
      - 0
    .max_flat_workgroup_size: 1024
    .name:           _ZN5aiter43moe_smooth_per_token_scaled_quant_kernel_v1ItDB8_Li256ELi16ELb0ELb1ELi1024EEEvPT0_PfPT_S4_PiS7_iiiii
    .private_segment_fixed_size: 0
    .sgpr_count:     32
    .sgpr_spill_count: 0
    .symbol:         _ZN5aiter43moe_smooth_per_token_scaled_quant_kernel_v1ItDB8_Li256ELi16ELb0ELb1ELi1024EEEvPT0_PfPT_S4_PiS7_iiiii.kd
    .uniform_work_group_size: 1
    .uses_dynamic_stack: false
    .vgpr_count:     52
    .vgpr_spill_count: 0
    .wavefront_size: 64
  - .agpr_count:     0
    .args:
      - .actual_access:  write_only
        .address_space:  global
        .offset:         0
        .size:           8
        .value_kind:     global_buffer
      - .actual_access:  write_only
        .address_space:  global
        .offset:         8
        .size:           8
        .value_kind:     global_buffer
      - .actual_access:  read_only
        .address_space:  global
        .offset:         16
        .size:           8
        .value_kind:     global_buffer
      - .actual_access:  read_only
        .address_space:  global
        .offset:         24
        .size:           8
        .value_kind:     global_buffer
      - .actual_access:  read_only
        .address_space:  global
        .offset:         32
        .size:           8
        .value_kind:     global_buffer
      - .actual_access:  read_only
        .address_space:  global
        .offset:         40
        .size:           8
        .value_kind:     global_buffer
      - .offset:         48
        .size:           4
        .value_kind:     by_value
      - .offset:         52
        .size:           4
        .value_kind:     by_value
      - .offset:         56
        .size:           4
        .value_kind:     by_value
      - .offset:         60
        .size:           4
        .value_kind:     by_value
      - .offset:         64
        .size:           4
        .value_kind:     by_value
    .group_segment_fixed_size: 16
    .kernarg_segment_align: 8
    .kernarg_segment_size: 68
    .language:       OpenCL C
    .language_version:
      - 2
      - 0
    .max_flat_workgroup_size: 1024
    .name:           _ZN5aiter43moe_smooth_per_token_scaled_quant_kernel_v1IDF16_DB8_Li256ELi16ELb0ELb0ELi1024EEEvPT0_PfPT_S4_PiS7_iiiii
    .private_segment_fixed_size: 0
    .sgpr_count:     32
    .sgpr_spill_count: 0
    .symbol:         _ZN5aiter43moe_smooth_per_token_scaled_quant_kernel_v1IDF16_DB8_Li256ELi16ELb0ELb0ELi1024EEEvPT0_PfPT_S4_PiS7_iiiii.kd
    .uniform_work_group_size: 1
    .uses_dynamic_stack: false
    .vgpr_count:     52
    .vgpr_spill_count: 0
    .wavefront_size: 64
  - .agpr_count:     0
    .args:
      - .actual_access:  write_only
        .address_space:  global
        .offset:         0
        .size:           8
        .value_kind:     global_buffer
      - .actual_access:  write_only
        .address_space:  global
        .offset:         8
        .size:           8
        .value_kind:     global_buffer
      - .actual_access:  read_only
        .address_space:  global
        .offset:         16
        .size:           8
        .value_kind:     global_buffer
      - .actual_access:  read_only
        .address_space:  global
        .offset:         24
        .size:           8
        .value_kind:     global_buffer
      - .actual_access:  read_only
        .address_space:  global
        .offset:         32
        .size:           8
        .value_kind:     global_buffer
      - .actual_access:  read_only
        .address_space:  global
        .offset:         40
        .size:           8
        .value_kind:     global_buffer
      - .offset:         48
        .size:           4
        .value_kind:     by_value
      - .offset:         52
        .size:           4
        .value_kind:     by_value
      - .offset:         56
        .size:           4
        .value_kind:     by_value
      - .offset:         60
        .size:           4
        .value_kind:     by_value
      - .offset:         64
        .size:           4
        .value_kind:     by_value
    .group_segment_fixed_size: 16
    .kernarg_segment_align: 8
    .kernarg_segment_size: 68
    .language:       OpenCL C
    .language_version:
      - 2
      - 0
    .max_flat_workgroup_size: 1024
    .name:           _ZN5aiter43moe_smooth_per_token_scaled_quant_kernel_v1ItDB8_Li256ELi16ELb0ELb0ELi1024EEEvPT0_PfPT_S4_PiS7_iiiii
    .private_segment_fixed_size: 0
    .sgpr_count:     32
    .sgpr_spill_count: 0
    .symbol:         _ZN5aiter43moe_smooth_per_token_scaled_quant_kernel_v1ItDB8_Li256ELi16ELb0ELb0ELi1024EEEvPT0_PfPT_S4_PiS7_iiiii.kd
    .uniform_work_group_size: 1
    .uses_dynamic_stack: false
    .vgpr_count:     52
    .vgpr_spill_count: 0
    .wavefront_size: 64
  - .agpr_count:     0
    .args:
      - .actual_access:  write_only
        .address_space:  global
        .offset:         0
        .size:           8
        .value_kind:     global_buffer
      - .actual_access:  write_only
        .address_space:  global
        .offset:         8
        .size:           8
        .value_kind:     global_buffer
      - .actual_access:  read_only
        .address_space:  global
        .offset:         16
        .size:           8
        .value_kind:     global_buffer
      - .actual_access:  read_only
        .address_space:  global
        .offset:         24
        .size:           8
        .value_kind:     global_buffer
      - .actual_access:  read_only
        .address_space:  global
        .offset:         32
        .size:           8
        .value_kind:     global_buffer
      - .address_space:  global
        .offset:         40
        .size:           8
        .value_kind:     global_buffer
      - .offset:         48
        .size:           4
        .value_kind:     by_value
      - .offset:         52
        .size:           4
        .value_kind:     by_value
      - .offset:         56
        .size:           4
        .value_kind:     by_value
      - .offset:         60
        .size:           4
        .value_kind:     by_value
      - .offset:         64
        .size:           4
        .value_kind:     by_value
    .group_segment_fixed_size: 4128
    .kernarg_segment_align: 8
    .kernarg_segment_size: 68
    .language:       OpenCL C
    .language_version:
      - 2
      - 0
    .max_flat_workgroup_size: 1024
    .name:           _ZN5aiter43moe_smooth_per_token_scaled_quant_kernel_v1IDF16_DB8_Li512ELi16ELb1ELb1ELi1024EEEvPT0_PfPT_S4_PiS7_iiiii
    .private_segment_fixed_size: 0
    .sgpr_count:     34
    .sgpr_spill_count: 0
    .symbol:         _ZN5aiter43moe_smooth_per_token_scaled_quant_kernel_v1IDF16_DB8_Li512ELi16ELb1ELb1ELi1024EEEvPT0_PfPT_S4_PiS7_iiiii.kd
    .uniform_work_group_size: 1
    .uses_dynamic_stack: false
    .vgpr_count:     52
    .vgpr_spill_count: 0
    .wavefront_size: 64
  - .agpr_count:     0
    .args:
      - .actual_access:  write_only
        .address_space:  global
        .offset:         0
        .size:           8
        .value_kind:     global_buffer
      - .actual_access:  write_only
        .address_space:  global
        .offset:         8
        .size:           8
        .value_kind:     global_buffer
      - .actual_access:  read_only
        .address_space:  global
        .offset:         16
        .size:           8
        .value_kind:     global_buffer
      - .actual_access:  read_only
        .address_space:  global
        .offset:         24
        .size:           8
        .value_kind:     global_buffer
      - .actual_access:  read_only
        .address_space:  global
        .offset:         32
        .size:           8
        .value_kind:     global_buffer
      - .address_space:  global
        .offset:         40
        .size:           8
        .value_kind:     global_buffer
      - .offset:         48
        .size:           4
        .value_kind:     by_value
      - .offset:         52
        .size:           4
        .value_kind:     by_value
      - .offset:         56
        .size:           4
        .value_kind:     by_value
      - .offset:         60
        .size:           4
        .value_kind:     by_value
      - .offset:         64
        .size:           4
        .value_kind:     by_value
    .group_segment_fixed_size: 4128
    .kernarg_segment_align: 8
    .kernarg_segment_size: 68
    .language:       OpenCL C
    .language_version:
      - 2
      - 0
    .max_flat_workgroup_size: 1024
    .name:           _ZN5aiter43moe_smooth_per_token_scaled_quant_kernel_v1ItDB8_Li512ELi16ELb1ELb1ELi1024EEEvPT0_PfPT_S4_PiS7_iiiii
    .private_segment_fixed_size: 0
    .sgpr_count:     34
    .sgpr_spill_count: 0
    .symbol:         _ZN5aiter43moe_smooth_per_token_scaled_quant_kernel_v1ItDB8_Li512ELi16ELb1ELb1ELi1024EEEvPT0_PfPT_S4_PiS7_iiiii.kd
    .uniform_work_group_size: 1
    .uses_dynamic_stack: false
    .vgpr_count:     52
    .vgpr_spill_count: 0
    .wavefront_size: 64
  - .agpr_count:     0
    .args:
      - .actual_access:  write_only
        .address_space:  global
        .offset:         0
        .size:           8
        .value_kind:     global_buffer
      - .actual_access:  write_only
        .address_space:  global
        .offset:         8
        .size:           8
        .value_kind:     global_buffer
      - .actual_access:  read_only
        .address_space:  global
        .offset:         16
        .size:           8
        .value_kind:     global_buffer
      - .actual_access:  read_only
        .address_space:  global
        .offset:         24
        .size:           8
        .value_kind:     global_buffer
      - .actual_access:  read_only
        .address_space:  global
        .offset:         32
        .size:           8
        .value_kind:     global_buffer
      - .actual_access:  read_only
        .address_space:  global
        .offset:         40
        .size:           8
        .value_kind:     global_buffer
      - .offset:         48
        .size:           4
        .value_kind:     by_value
      - .offset:         52
        .size:           4
        .value_kind:     by_value
      - .offset:         56
        .size:           4
        .value_kind:     by_value
      - .offset:         60
        .size:           4
        .value_kind:     by_value
      - .offset:         64
        .size:           4
        .value_kind:     by_value
    .group_segment_fixed_size: 32
    .kernarg_segment_align: 8
    .kernarg_segment_size: 68
    .language:       OpenCL C
    .language_version:
      - 2
      - 0
    .max_flat_workgroup_size: 1024
    .name:           _ZN5aiter43moe_smooth_per_token_scaled_quant_kernel_v1IDF16_DB8_Li512ELi16ELb1ELb0ELi1024EEEvPT0_PfPT_S4_PiS7_iiiii
    .private_segment_fixed_size: 0
    .sgpr_count:     34
    .sgpr_spill_count: 0
    .symbol:         _ZN5aiter43moe_smooth_per_token_scaled_quant_kernel_v1IDF16_DB8_Li512ELi16ELb1ELb0ELi1024EEEvPT0_PfPT_S4_PiS7_iiiii.kd
    .uniform_work_group_size: 1
    .uses_dynamic_stack: false
    .vgpr_count:     52
    .vgpr_spill_count: 0
    .wavefront_size: 64
  - .agpr_count:     0
    .args:
      - .actual_access:  write_only
        .address_space:  global
        .offset:         0
        .size:           8
        .value_kind:     global_buffer
      - .actual_access:  write_only
        .address_space:  global
        .offset:         8
        .size:           8
        .value_kind:     global_buffer
      - .actual_access:  read_only
        .address_space:  global
        .offset:         16
        .size:           8
        .value_kind:     global_buffer
      - .actual_access:  read_only
        .address_space:  global
        .offset:         24
        .size:           8
        .value_kind:     global_buffer
      - .actual_access:  read_only
        .address_space:  global
        .offset:         32
        .size:           8
        .value_kind:     global_buffer
      - .actual_access:  read_only
        .address_space:  global
        .offset:         40
        .size:           8
        .value_kind:     global_buffer
      - .offset:         48
        .size:           4
        .value_kind:     by_value
      - .offset:         52
        .size:           4
        .value_kind:     by_value
      - .offset:         56
        .size:           4
        .value_kind:     by_value
      - .offset:         60
        .size:           4
        .value_kind:     by_value
      - .offset:         64
        .size:           4
        .value_kind:     by_value
    .group_segment_fixed_size: 32
    .kernarg_segment_align: 8
    .kernarg_segment_size: 68
    .language:       OpenCL C
    .language_version:
      - 2
      - 0
    .max_flat_workgroup_size: 1024
    .name:           _ZN5aiter43moe_smooth_per_token_scaled_quant_kernel_v1ItDB8_Li512ELi16ELb1ELb0ELi1024EEEvPT0_PfPT_S4_PiS7_iiiii
    .private_segment_fixed_size: 0
    .sgpr_count:     34
    .sgpr_spill_count: 0
    .symbol:         _ZN5aiter43moe_smooth_per_token_scaled_quant_kernel_v1ItDB8_Li512ELi16ELb1ELb0ELi1024EEEvPT0_PfPT_S4_PiS7_iiiii.kd
    .uniform_work_group_size: 1
    .uses_dynamic_stack: false
    .vgpr_count:     52
    .vgpr_spill_count: 0
    .wavefront_size: 64
  - .agpr_count:     0
    .args:
      - .actual_access:  write_only
        .address_space:  global
        .offset:         0
        .size:           8
        .value_kind:     global_buffer
      - .actual_access:  write_only
        .address_space:  global
        .offset:         8
        .size:           8
        .value_kind:     global_buffer
      - .actual_access:  read_only
        .address_space:  global
        .offset:         16
        .size:           8
        .value_kind:     global_buffer
      - .actual_access:  read_only
        .address_space:  global
        .offset:         24
        .size:           8
        .value_kind:     global_buffer
      - .actual_access:  read_only
        .address_space:  global
        .offset:         32
        .size:           8
        .value_kind:     global_buffer
      - .address_space:  global
        .offset:         40
        .size:           8
        .value_kind:     global_buffer
      - .offset:         48
        .size:           4
        .value_kind:     by_value
      - .offset:         52
        .size:           4
        .value_kind:     by_value
      - .offset:         56
        .size:           4
        .value_kind:     by_value
      - .offset:         60
        .size:           4
        .value_kind:     by_value
      - .offset:         64
        .size:           4
        .value_kind:     by_value
    .group_segment_fixed_size: 4128
    .kernarg_segment_align: 8
    .kernarg_segment_size: 68
    .language:       OpenCL C
    .language_version:
      - 2
      - 0
    .max_flat_workgroup_size: 1024
    .name:           _ZN5aiter43moe_smooth_per_token_scaled_quant_kernel_v1IDF16_DB8_Li512ELi16ELb0ELb1ELi1024EEEvPT0_PfPT_S4_PiS7_iiiii
    .private_segment_fixed_size: 0
    .sgpr_count:     32
    .sgpr_spill_count: 0
    .symbol:         _ZN5aiter43moe_smooth_per_token_scaled_quant_kernel_v1IDF16_DB8_Li512ELi16ELb0ELb1ELi1024EEEvPT0_PfPT_S4_PiS7_iiiii.kd
    .uniform_work_group_size: 1
    .uses_dynamic_stack: false
    .vgpr_count:     52
    .vgpr_spill_count: 0
    .wavefront_size: 64
  - .agpr_count:     0
    .args:
      - .actual_access:  write_only
        .address_space:  global
        .offset:         0
        .size:           8
        .value_kind:     global_buffer
      - .actual_access:  write_only
        .address_space:  global
        .offset:         8
        .size:           8
        .value_kind:     global_buffer
      - .actual_access:  read_only
        .address_space:  global
        .offset:         16
        .size:           8
        .value_kind:     global_buffer
      - .actual_access:  read_only
        .address_space:  global
        .offset:         24
        .size:           8
        .value_kind:     global_buffer
      - .actual_access:  read_only
        .address_space:  global
        .offset:         32
        .size:           8
        .value_kind:     global_buffer
      - .address_space:  global
        .offset:         40
        .size:           8
        .value_kind:     global_buffer
      - .offset:         48
        .size:           4
        .value_kind:     by_value
      - .offset:         52
        .size:           4
        .value_kind:     by_value
      - .offset:         56
        .size:           4
        .value_kind:     by_value
      - .offset:         60
        .size:           4
        .value_kind:     by_value
      - .offset:         64
        .size:           4
        .value_kind:     by_value
    .group_segment_fixed_size: 4128
    .kernarg_segment_align: 8
    .kernarg_segment_size: 68
    .language:       OpenCL C
    .language_version:
      - 2
      - 0
    .max_flat_workgroup_size: 1024
    .name:           _ZN5aiter43moe_smooth_per_token_scaled_quant_kernel_v1ItDB8_Li512ELi16ELb0ELb1ELi1024EEEvPT0_PfPT_S4_PiS7_iiiii
    .private_segment_fixed_size: 0
    .sgpr_count:     32
    .sgpr_spill_count: 0
    .symbol:         _ZN5aiter43moe_smooth_per_token_scaled_quant_kernel_v1ItDB8_Li512ELi16ELb0ELb1ELi1024EEEvPT0_PfPT_S4_PiS7_iiiii.kd
    .uniform_work_group_size: 1
    .uses_dynamic_stack: false
    .vgpr_count:     52
    .vgpr_spill_count: 0
    .wavefront_size: 64
  - .agpr_count:     0
    .args:
      - .actual_access:  write_only
        .address_space:  global
        .offset:         0
        .size:           8
        .value_kind:     global_buffer
      - .actual_access:  write_only
        .address_space:  global
        .offset:         8
        .size:           8
        .value_kind:     global_buffer
      - .actual_access:  read_only
        .address_space:  global
        .offset:         16
        .size:           8
        .value_kind:     global_buffer
      - .actual_access:  read_only
        .address_space:  global
        .offset:         24
        .size:           8
        .value_kind:     global_buffer
      - .actual_access:  read_only
        .address_space:  global
        .offset:         32
        .size:           8
        .value_kind:     global_buffer
      - .actual_access:  read_only
        .address_space:  global
        .offset:         40
        .size:           8
        .value_kind:     global_buffer
      - .offset:         48
        .size:           4
        .value_kind:     by_value
      - .offset:         52
        .size:           4
        .value_kind:     by_value
      - .offset:         56
        .size:           4
        .value_kind:     by_value
      - .offset:         60
        .size:           4
        .value_kind:     by_value
      - .offset:         64
        .size:           4
        .value_kind:     by_value
    .group_segment_fixed_size: 32
    .kernarg_segment_align: 8
    .kernarg_segment_size: 68
    .language:       OpenCL C
    .language_version:
      - 2
      - 0
    .max_flat_workgroup_size: 1024
    .name:           _ZN5aiter43moe_smooth_per_token_scaled_quant_kernel_v1IDF16_DB8_Li512ELi16ELb0ELb0ELi1024EEEvPT0_PfPT_S4_PiS7_iiiii
    .private_segment_fixed_size: 0
    .sgpr_count:     32
    .sgpr_spill_count: 0
    .symbol:         _ZN5aiter43moe_smooth_per_token_scaled_quant_kernel_v1IDF16_DB8_Li512ELi16ELb0ELb0ELi1024EEEvPT0_PfPT_S4_PiS7_iiiii.kd
    .uniform_work_group_size: 1
    .uses_dynamic_stack: false
    .vgpr_count:     52
    .vgpr_spill_count: 0
    .wavefront_size: 64
  - .agpr_count:     0
    .args:
      - .actual_access:  write_only
        .address_space:  global
        .offset:         0
        .size:           8
        .value_kind:     global_buffer
      - .actual_access:  write_only
        .address_space:  global
        .offset:         8
        .size:           8
        .value_kind:     global_buffer
      - .actual_access:  read_only
        .address_space:  global
        .offset:         16
        .size:           8
        .value_kind:     global_buffer
      - .actual_access:  read_only
        .address_space:  global
        .offset:         24
        .size:           8
        .value_kind:     global_buffer
      - .actual_access:  read_only
        .address_space:  global
        .offset:         32
        .size:           8
        .value_kind:     global_buffer
      - .actual_access:  read_only
        .address_space:  global
        .offset:         40
        .size:           8
        .value_kind:     global_buffer
      - .offset:         48
        .size:           4
        .value_kind:     by_value
      - .offset:         52
        .size:           4
        .value_kind:     by_value
      - .offset:         56
        .size:           4
        .value_kind:     by_value
      - .offset:         60
        .size:           4
        .value_kind:     by_value
      - .offset:         64
        .size:           4
        .value_kind:     by_value
    .group_segment_fixed_size: 32
    .kernarg_segment_align: 8
    .kernarg_segment_size: 68
    .language:       OpenCL C
    .language_version:
      - 2
      - 0
    .max_flat_workgroup_size: 1024
    .name:           _ZN5aiter43moe_smooth_per_token_scaled_quant_kernel_v1ItDB8_Li512ELi16ELb0ELb0ELi1024EEEvPT0_PfPT_S4_PiS7_iiiii
    .private_segment_fixed_size: 0
    .sgpr_count:     32
    .sgpr_spill_count: 0
    .symbol:         _ZN5aiter43moe_smooth_per_token_scaled_quant_kernel_v1ItDB8_Li512ELi16ELb0ELb0ELi1024EEEvPT0_PfPT_S4_PiS7_iiiii.kd
    .uniform_work_group_size: 1
    .uses_dynamic_stack: false
    .vgpr_count:     52
    .vgpr_spill_count: 0
    .wavefront_size: 64
  - .agpr_count:     0
    .args:
      - .actual_access:  write_only
        .address_space:  global
        .offset:         0
        .size:           8
        .value_kind:     global_buffer
      - .actual_access:  write_only
        .address_space:  global
        .offset:         8
        .size:           8
        .value_kind:     global_buffer
      - .actual_access:  read_only
        .address_space:  global
        .offset:         16
        .size:           8
        .value_kind:     global_buffer
      - .actual_access:  read_only
        .address_space:  global
        .offset:         24
        .size:           8
        .value_kind:     global_buffer
      - .actual_access:  read_only
        .address_space:  global
        .offset:         32
        .size:           8
        .value_kind:     global_buffer
      - .address_space:  global
        .offset:         40
        .size:           8
        .value_kind:     global_buffer
      - .offset:         48
        .size:           4
        .value_kind:     by_value
      - .offset:         52
        .size:           4
        .value_kind:     by_value
      - .offset:         56
        .size:           4
        .value_kind:     by_value
      - .offset:         60
        .size:           4
        .value_kind:     by_value
      - .offset:         64
        .size:           4
        .value_kind:     by_value
    .group_segment_fixed_size: 4104
    .kernarg_segment_align: 8
    .kernarg_segment_size: 68
    .language:       OpenCL C
    .language_version:
      - 2
      - 0
    .max_flat_workgroup_size: 1024
    .name:           _ZN5aiter43moe_smooth_per_token_scaled_quant_kernel_v1IDF16_aLi128ELi8ELb1ELb1ELi1024EEEvPT0_PfPT_S3_PiS6_iiiii
    .private_segment_fixed_size: 0
    .sgpr_count:     31
    .sgpr_spill_count: 0
    .symbol:         _ZN5aiter43moe_smooth_per_token_scaled_quant_kernel_v1IDF16_aLi128ELi8ELb1ELb1ELi1024EEEvPT0_PfPT_S3_PiS6_iiiii.kd
    .uniform_work_group_size: 1
    .uses_dynamic_stack: false
    .vgpr_count:     26
    .vgpr_spill_count: 0
    .wavefront_size: 64
  - .agpr_count:     0
    .args:
      - .actual_access:  write_only
        .address_space:  global
        .offset:         0
        .size:           8
        .value_kind:     global_buffer
      - .actual_access:  write_only
        .address_space:  global
        .offset:         8
        .size:           8
        .value_kind:     global_buffer
      - .actual_access:  read_only
        .address_space:  global
        .offset:         16
        .size:           8
        .value_kind:     global_buffer
      - .actual_access:  read_only
        .address_space:  global
        .offset:         24
        .size:           8
        .value_kind:     global_buffer
      - .actual_access:  read_only
        .address_space:  global
        .offset:         32
        .size:           8
        .value_kind:     global_buffer
      - .address_space:  global
        .offset:         40
        .size:           8
        .value_kind:     global_buffer
      - .offset:         48
        .size:           4
        .value_kind:     by_value
      - .offset:         52
        .size:           4
        .value_kind:     by_value
      - .offset:         56
        .size:           4
        .value_kind:     by_value
      - .offset:         60
        .size:           4
        .value_kind:     by_value
      - .offset:         64
        .size:           4
        .value_kind:     by_value
    .group_segment_fixed_size: 4104
    .kernarg_segment_align: 8
    .kernarg_segment_size: 68
    .language:       OpenCL C
    .language_version:
      - 2
      - 0
    .max_flat_workgroup_size: 1024
    .name:           _ZN5aiter43moe_smooth_per_token_scaled_quant_kernel_v1ItaLi128ELi8ELb1ELb1ELi1024EEEvPT0_PfPT_S3_PiS6_iiiii
    .private_segment_fixed_size: 0
    .sgpr_count:     31
    .sgpr_spill_count: 0
    .symbol:         _ZN5aiter43moe_smooth_per_token_scaled_quant_kernel_v1ItaLi128ELi8ELb1ELb1ELi1024EEEvPT0_PfPT_S3_PiS6_iiiii.kd
    .uniform_work_group_size: 1
    .uses_dynamic_stack: false
    .vgpr_count:     26
    .vgpr_spill_count: 0
    .wavefront_size: 64
  - .agpr_count:     0
    .args:
      - .actual_access:  write_only
        .address_space:  global
        .offset:         0
        .size:           8
        .value_kind:     global_buffer
      - .actual_access:  write_only
        .address_space:  global
        .offset:         8
        .size:           8
        .value_kind:     global_buffer
      - .actual_access:  read_only
        .address_space:  global
        .offset:         16
        .size:           8
        .value_kind:     global_buffer
      - .actual_access:  read_only
        .address_space:  global
        .offset:         24
        .size:           8
        .value_kind:     global_buffer
      - .actual_access:  read_only
        .address_space:  global
        .offset:         32
        .size:           8
        .value_kind:     global_buffer
      - .actual_access:  read_only
        .address_space:  global
        .offset:         40
        .size:           8
        .value_kind:     global_buffer
      - .offset:         48
        .size:           4
        .value_kind:     by_value
      - .offset:         52
        .size:           4
        .value_kind:     by_value
      - .offset:         56
        .size:           4
        .value_kind:     by_value
      - .offset:         60
        .size:           4
        .value_kind:     by_value
      - .offset:         64
        .size:           4
        .value_kind:     by_value
    .group_segment_fixed_size: 8
    .kernarg_segment_align: 8
    .kernarg_segment_size: 68
    .language:       OpenCL C
    .language_version:
      - 2
      - 0
    .max_flat_workgroup_size: 1024
    .name:           _ZN5aiter43moe_smooth_per_token_scaled_quant_kernel_v1IDF16_aLi128ELi8ELb1ELb0ELi1024EEEvPT0_PfPT_S3_PiS6_iiiii
    .private_segment_fixed_size: 0
    .sgpr_count:     31
    .sgpr_spill_count: 0
    .symbol:         _ZN5aiter43moe_smooth_per_token_scaled_quant_kernel_v1IDF16_aLi128ELi8ELb1ELb0ELi1024EEEvPT0_PfPT_S3_PiS6_iiiii.kd
    .uniform_work_group_size: 1
    .uses_dynamic_stack: false
    .vgpr_count:     26
    .vgpr_spill_count: 0
    .wavefront_size: 64
  - .agpr_count:     0
    .args:
      - .actual_access:  write_only
        .address_space:  global
        .offset:         0
        .size:           8
        .value_kind:     global_buffer
      - .actual_access:  write_only
        .address_space:  global
        .offset:         8
        .size:           8
        .value_kind:     global_buffer
      - .actual_access:  read_only
        .address_space:  global
        .offset:         16
        .size:           8
        .value_kind:     global_buffer
      - .actual_access:  read_only
        .address_space:  global
        .offset:         24
        .size:           8
        .value_kind:     global_buffer
      - .actual_access:  read_only
        .address_space:  global
        .offset:         32
        .size:           8
        .value_kind:     global_buffer
      - .actual_access:  read_only
        .address_space:  global
        .offset:         40
        .size:           8
        .value_kind:     global_buffer
      - .offset:         48
        .size:           4
        .value_kind:     by_value
      - .offset:         52
        .size:           4
        .value_kind:     by_value
      - .offset:         56
        .size:           4
        .value_kind:     by_value
      - .offset:         60
        .size:           4
        .value_kind:     by_value
      - .offset:         64
        .size:           4
        .value_kind:     by_value
    .group_segment_fixed_size: 8
    .kernarg_segment_align: 8
    .kernarg_segment_size: 68
    .language:       OpenCL C
    .language_version:
      - 2
      - 0
    .max_flat_workgroup_size: 1024
    .name:           _ZN5aiter43moe_smooth_per_token_scaled_quant_kernel_v1ItaLi128ELi8ELb1ELb0ELi1024EEEvPT0_PfPT_S3_PiS6_iiiii
    .private_segment_fixed_size: 0
    .sgpr_count:     31
    .sgpr_spill_count: 0
    .symbol:         _ZN5aiter43moe_smooth_per_token_scaled_quant_kernel_v1ItaLi128ELi8ELb1ELb0ELi1024EEEvPT0_PfPT_S3_PiS6_iiiii.kd
    .uniform_work_group_size: 1
    .uses_dynamic_stack: false
    .vgpr_count:     26
    .vgpr_spill_count: 0
    .wavefront_size: 64
  - .agpr_count:     0
    .args:
      - .actual_access:  write_only
        .address_space:  global
        .offset:         0
        .size:           8
        .value_kind:     global_buffer
      - .actual_access:  write_only
        .address_space:  global
        .offset:         8
        .size:           8
        .value_kind:     global_buffer
      - .actual_access:  read_only
        .address_space:  global
        .offset:         16
        .size:           8
        .value_kind:     global_buffer
      - .actual_access:  read_only
        .address_space:  global
        .offset:         24
        .size:           8
        .value_kind:     global_buffer
      - .actual_access:  read_only
        .address_space:  global
        .offset:         32
        .size:           8
        .value_kind:     global_buffer
      - .address_space:  global
        .offset:         40
        .size:           8
        .value_kind:     global_buffer
      - .offset:         48
        .size:           4
        .value_kind:     by_value
      - .offset:         52
        .size:           4
        .value_kind:     by_value
      - .offset:         56
        .size:           4
        .value_kind:     by_value
      - .offset:         60
        .size:           4
        .value_kind:     by_value
      - .offset:         64
        .size:           4
        .value_kind:     by_value
    .group_segment_fixed_size: 4104
    .kernarg_segment_align: 8
    .kernarg_segment_size: 68
    .language:       OpenCL C
    .language_version:
      - 2
      - 0
    .max_flat_workgroup_size: 1024
    .name:           _ZN5aiter43moe_smooth_per_token_scaled_quant_kernel_v1IDF16_aLi128ELi8ELb0ELb1ELi1024EEEvPT0_PfPT_S3_PiS6_iiiii
    .private_segment_fixed_size: 0
    .sgpr_count:     30
    .sgpr_spill_count: 0
    .symbol:         _ZN5aiter43moe_smooth_per_token_scaled_quant_kernel_v1IDF16_aLi128ELi8ELb0ELb1ELi1024EEEvPT0_PfPT_S3_PiS6_iiiii.kd
    .uniform_work_group_size: 1
    .uses_dynamic_stack: false
    .vgpr_count:     26
    .vgpr_spill_count: 0
    .wavefront_size: 64
  - .agpr_count:     0
    .args:
      - .actual_access:  write_only
        .address_space:  global
        .offset:         0
        .size:           8
        .value_kind:     global_buffer
      - .actual_access:  write_only
        .address_space:  global
        .offset:         8
        .size:           8
        .value_kind:     global_buffer
      - .actual_access:  read_only
        .address_space:  global
        .offset:         16
        .size:           8
        .value_kind:     global_buffer
      - .actual_access:  read_only
        .address_space:  global
        .offset:         24
        .size:           8
        .value_kind:     global_buffer
      - .actual_access:  read_only
        .address_space:  global
        .offset:         32
        .size:           8
        .value_kind:     global_buffer
      - .address_space:  global
        .offset:         40
        .size:           8
        .value_kind:     global_buffer
      - .offset:         48
        .size:           4
        .value_kind:     by_value
      - .offset:         52
        .size:           4
        .value_kind:     by_value
      - .offset:         56
        .size:           4
        .value_kind:     by_value
      - .offset:         60
        .size:           4
        .value_kind:     by_value
      - .offset:         64
        .size:           4
        .value_kind:     by_value
    .group_segment_fixed_size: 4104
    .kernarg_segment_align: 8
    .kernarg_segment_size: 68
    .language:       OpenCL C
    .language_version:
      - 2
      - 0
    .max_flat_workgroup_size: 1024
    .name:           _ZN5aiter43moe_smooth_per_token_scaled_quant_kernel_v1ItaLi128ELi8ELb0ELb1ELi1024EEEvPT0_PfPT_S3_PiS6_iiiii
    .private_segment_fixed_size: 0
    .sgpr_count:     30
    .sgpr_spill_count: 0
    .symbol:         _ZN5aiter43moe_smooth_per_token_scaled_quant_kernel_v1ItaLi128ELi8ELb0ELb1ELi1024EEEvPT0_PfPT_S3_PiS6_iiiii.kd
    .uniform_work_group_size: 1
    .uses_dynamic_stack: false
    .vgpr_count:     26
    .vgpr_spill_count: 0
    .wavefront_size: 64
  - .agpr_count:     0
    .args:
      - .actual_access:  write_only
        .address_space:  global
        .offset:         0
        .size:           8
        .value_kind:     global_buffer
      - .actual_access:  write_only
        .address_space:  global
        .offset:         8
        .size:           8
        .value_kind:     global_buffer
      - .actual_access:  read_only
        .address_space:  global
        .offset:         16
        .size:           8
        .value_kind:     global_buffer
      - .actual_access:  read_only
        .address_space:  global
        .offset:         24
        .size:           8
        .value_kind:     global_buffer
      - .actual_access:  read_only
        .address_space:  global
        .offset:         32
        .size:           8
        .value_kind:     global_buffer
      - .actual_access:  read_only
        .address_space:  global
        .offset:         40
        .size:           8
        .value_kind:     global_buffer
      - .offset:         48
        .size:           4
        .value_kind:     by_value
      - .offset:         52
        .size:           4
        .value_kind:     by_value
      - .offset:         56
        .size:           4
        .value_kind:     by_value
      - .offset:         60
        .size:           4
        .value_kind:     by_value
      - .offset:         64
        .size:           4
        .value_kind:     by_value
    .group_segment_fixed_size: 8
    .kernarg_segment_align: 8
    .kernarg_segment_size: 68
    .language:       OpenCL C
    .language_version:
      - 2
      - 0
    .max_flat_workgroup_size: 1024
    .name:           _ZN5aiter43moe_smooth_per_token_scaled_quant_kernel_v1IDF16_aLi128ELi8ELb0ELb0ELi1024EEEvPT0_PfPT_S3_PiS6_iiiii
    .private_segment_fixed_size: 0
    .sgpr_count:     30
    .sgpr_spill_count: 0
    .symbol:         _ZN5aiter43moe_smooth_per_token_scaled_quant_kernel_v1IDF16_aLi128ELi8ELb0ELb0ELi1024EEEvPT0_PfPT_S3_PiS6_iiiii.kd
    .uniform_work_group_size: 1
    .uses_dynamic_stack: false
    .vgpr_count:     26
    .vgpr_spill_count: 0
    .wavefront_size: 64
  - .agpr_count:     0
    .args:
      - .actual_access:  write_only
        .address_space:  global
        .offset:         0
        .size:           8
        .value_kind:     global_buffer
      - .actual_access:  write_only
        .address_space:  global
        .offset:         8
        .size:           8
        .value_kind:     global_buffer
      - .actual_access:  read_only
        .address_space:  global
        .offset:         16
        .size:           8
        .value_kind:     global_buffer
      - .actual_access:  read_only
        .address_space:  global
        .offset:         24
        .size:           8
        .value_kind:     global_buffer
      - .actual_access:  read_only
        .address_space:  global
        .offset:         32
        .size:           8
        .value_kind:     global_buffer
      - .actual_access:  read_only
        .address_space:  global
        .offset:         40
        .size:           8
        .value_kind:     global_buffer
      - .offset:         48
        .size:           4
        .value_kind:     by_value
      - .offset:         52
        .size:           4
        .value_kind:     by_value
      - .offset:         56
        .size:           4
        .value_kind:     by_value
      - .offset:         60
        .size:           4
        .value_kind:     by_value
      - .offset:         64
        .size:           4
        .value_kind:     by_value
    .group_segment_fixed_size: 8
    .kernarg_segment_align: 8
    .kernarg_segment_size: 68
    .language:       OpenCL C
    .language_version:
      - 2
      - 0
    .max_flat_workgroup_size: 1024
    .name:           _ZN5aiter43moe_smooth_per_token_scaled_quant_kernel_v1ItaLi128ELi8ELb0ELb0ELi1024EEEvPT0_PfPT_S3_PiS6_iiiii
    .private_segment_fixed_size: 0
    .sgpr_count:     30
    .sgpr_spill_count: 0
    .symbol:         _ZN5aiter43moe_smooth_per_token_scaled_quant_kernel_v1ItaLi128ELi8ELb0ELb0ELi1024EEEvPT0_PfPT_S3_PiS6_iiiii.kd
    .uniform_work_group_size: 1
    .uses_dynamic_stack: false
    .vgpr_count:     26
    .vgpr_spill_count: 0
    .wavefront_size: 64
  - .agpr_count:     0
    .args:
      - .actual_access:  write_only
        .address_space:  global
        .offset:         0
        .size:           8
        .value_kind:     global_buffer
      - .actual_access:  write_only
        .address_space:  global
        .offset:         8
        .size:           8
        .value_kind:     global_buffer
      - .actual_access:  read_only
        .address_space:  global
        .offset:         16
        .size:           8
        .value_kind:     global_buffer
      - .actual_access:  read_only
        .address_space:  global
        .offset:         24
        .size:           8
        .value_kind:     global_buffer
      - .actual_access:  read_only
        .address_space:  global
        .offset:         32
        .size:           8
        .value_kind:     global_buffer
      - .address_space:  global
        .offset:         40
        .size:           8
        .value_kind:     global_buffer
      - .offset:         48
        .size:           4
        .value_kind:     by_value
      - .offset:         52
        .size:           4
        .value_kind:     by_value
      - .offset:         56
        .size:           4
        .value_kind:     by_value
      - .offset:         60
        .size:           4
        .value_kind:     by_value
      - .offset:         64
        .size:           4
        .value_kind:     by_value
    .group_segment_fixed_size: 4112
    .kernarg_segment_align: 8
    .kernarg_segment_size: 68
    .language:       OpenCL C
    .language_version:
      - 2
      - 0
    .max_flat_workgroup_size: 1024
    .name:           _ZN5aiter43moe_smooth_per_token_scaled_quant_kernel_v1IDF16_aLi256ELi8ELb1ELb1ELi1024EEEvPT0_PfPT_S3_PiS6_iiiii
    .private_segment_fixed_size: 0
    .sgpr_count:     31
    .sgpr_spill_count: 0
    .symbol:         _ZN5aiter43moe_smooth_per_token_scaled_quant_kernel_v1IDF16_aLi256ELi8ELb1ELb1ELi1024EEEvPT0_PfPT_S3_PiS6_iiiii.kd
    .uniform_work_group_size: 1
    .uses_dynamic_stack: false
    .vgpr_count:     26
    .vgpr_spill_count: 0
    .wavefront_size: 64
  - .agpr_count:     0
    .args:
      - .actual_access:  write_only
        .address_space:  global
        .offset:         0
        .size:           8
        .value_kind:     global_buffer
      - .actual_access:  write_only
        .address_space:  global
        .offset:         8
        .size:           8
        .value_kind:     global_buffer
      - .actual_access:  read_only
        .address_space:  global
        .offset:         16
        .size:           8
        .value_kind:     global_buffer
      - .actual_access:  read_only
        .address_space:  global
        .offset:         24
        .size:           8
        .value_kind:     global_buffer
      - .actual_access:  read_only
        .address_space:  global
        .offset:         32
        .size:           8
        .value_kind:     global_buffer
      - .address_space:  global
        .offset:         40
        .size:           8
        .value_kind:     global_buffer
      - .offset:         48
        .size:           4
        .value_kind:     by_value
      - .offset:         52
        .size:           4
        .value_kind:     by_value
      - .offset:         56
        .size:           4
        .value_kind:     by_value
      - .offset:         60
        .size:           4
        .value_kind:     by_value
      - .offset:         64
        .size:           4
        .value_kind:     by_value
    .group_segment_fixed_size: 4112
    .kernarg_segment_align: 8
    .kernarg_segment_size: 68
    .language:       OpenCL C
    .language_version:
      - 2
      - 0
    .max_flat_workgroup_size: 1024
    .name:           _ZN5aiter43moe_smooth_per_token_scaled_quant_kernel_v1ItaLi256ELi8ELb1ELb1ELi1024EEEvPT0_PfPT_S3_PiS6_iiiii
    .private_segment_fixed_size: 0
    .sgpr_count:     31
    .sgpr_spill_count: 0
    .symbol:         _ZN5aiter43moe_smooth_per_token_scaled_quant_kernel_v1ItaLi256ELi8ELb1ELb1ELi1024EEEvPT0_PfPT_S3_PiS6_iiiii.kd
    .uniform_work_group_size: 1
    .uses_dynamic_stack: false
    .vgpr_count:     26
    .vgpr_spill_count: 0
    .wavefront_size: 64
  - .agpr_count:     0
    .args:
      - .actual_access:  write_only
        .address_space:  global
        .offset:         0
        .size:           8
        .value_kind:     global_buffer
      - .actual_access:  write_only
        .address_space:  global
        .offset:         8
        .size:           8
        .value_kind:     global_buffer
      - .actual_access:  read_only
        .address_space:  global
        .offset:         16
        .size:           8
        .value_kind:     global_buffer
      - .actual_access:  read_only
        .address_space:  global
        .offset:         24
        .size:           8
        .value_kind:     global_buffer
      - .actual_access:  read_only
        .address_space:  global
        .offset:         32
        .size:           8
        .value_kind:     global_buffer
      - .actual_access:  read_only
        .address_space:  global
        .offset:         40
        .size:           8
        .value_kind:     global_buffer
      - .offset:         48
        .size:           4
        .value_kind:     by_value
      - .offset:         52
        .size:           4
        .value_kind:     by_value
      - .offset:         56
        .size:           4
        .value_kind:     by_value
      - .offset:         60
        .size:           4
        .value_kind:     by_value
      - .offset:         64
        .size:           4
        .value_kind:     by_value
    .group_segment_fixed_size: 16
    .kernarg_segment_align: 8
    .kernarg_segment_size: 68
    .language:       OpenCL C
    .language_version:
      - 2
      - 0
    .max_flat_workgroup_size: 1024
    .name:           _ZN5aiter43moe_smooth_per_token_scaled_quant_kernel_v1IDF16_aLi256ELi8ELb1ELb0ELi1024EEEvPT0_PfPT_S3_PiS6_iiiii
    .private_segment_fixed_size: 0
    .sgpr_count:     31
    .sgpr_spill_count: 0
    .symbol:         _ZN5aiter43moe_smooth_per_token_scaled_quant_kernel_v1IDF16_aLi256ELi8ELb1ELb0ELi1024EEEvPT0_PfPT_S3_PiS6_iiiii.kd
    .uniform_work_group_size: 1
    .uses_dynamic_stack: false
    .vgpr_count:     26
    .vgpr_spill_count: 0
    .wavefront_size: 64
  - .agpr_count:     0
    .args:
      - .actual_access:  write_only
        .address_space:  global
        .offset:         0
        .size:           8
        .value_kind:     global_buffer
      - .actual_access:  write_only
        .address_space:  global
        .offset:         8
        .size:           8
        .value_kind:     global_buffer
      - .actual_access:  read_only
        .address_space:  global
        .offset:         16
        .size:           8
        .value_kind:     global_buffer
      - .actual_access:  read_only
        .address_space:  global
        .offset:         24
        .size:           8
        .value_kind:     global_buffer
      - .actual_access:  read_only
        .address_space:  global
        .offset:         32
        .size:           8
        .value_kind:     global_buffer
      - .actual_access:  read_only
        .address_space:  global
        .offset:         40
        .size:           8
        .value_kind:     global_buffer
      - .offset:         48
        .size:           4
        .value_kind:     by_value
      - .offset:         52
        .size:           4
        .value_kind:     by_value
      - .offset:         56
        .size:           4
        .value_kind:     by_value
      - .offset:         60
        .size:           4
        .value_kind:     by_value
      - .offset:         64
        .size:           4
        .value_kind:     by_value
    .group_segment_fixed_size: 16
    .kernarg_segment_align: 8
    .kernarg_segment_size: 68
    .language:       OpenCL C
    .language_version:
      - 2
      - 0
    .max_flat_workgroup_size: 1024
    .name:           _ZN5aiter43moe_smooth_per_token_scaled_quant_kernel_v1ItaLi256ELi8ELb1ELb0ELi1024EEEvPT0_PfPT_S3_PiS6_iiiii
    .private_segment_fixed_size: 0
    .sgpr_count:     31
    .sgpr_spill_count: 0
    .symbol:         _ZN5aiter43moe_smooth_per_token_scaled_quant_kernel_v1ItaLi256ELi8ELb1ELb0ELi1024EEEvPT0_PfPT_S3_PiS6_iiiii.kd
    .uniform_work_group_size: 1
    .uses_dynamic_stack: false
    .vgpr_count:     26
    .vgpr_spill_count: 0
    .wavefront_size: 64
  - .agpr_count:     0
    .args:
      - .actual_access:  write_only
        .address_space:  global
        .offset:         0
        .size:           8
        .value_kind:     global_buffer
      - .actual_access:  write_only
        .address_space:  global
        .offset:         8
        .size:           8
        .value_kind:     global_buffer
      - .actual_access:  read_only
        .address_space:  global
        .offset:         16
        .size:           8
        .value_kind:     global_buffer
      - .actual_access:  read_only
        .address_space:  global
        .offset:         24
        .size:           8
        .value_kind:     global_buffer
      - .actual_access:  read_only
        .address_space:  global
        .offset:         32
        .size:           8
        .value_kind:     global_buffer
      - .address_space:  global
        .offset:         40
        .size:           8
        .value_kind:     global_buffer
      - .offset:         48
        .size:           4
        .value_kind:     by_value
      - .offset:         52
        .size:           4
        .value_kind:     by_value
      - .offset:         56
        .size:           4
        .value_kind:     by_value
      - .offset:         60
        .size:           4
        .value_kind:     by_value
      - .offset:         64
        .size:           4
        .value_kind:     by_value
    .group_segment_fixed_size: 4112
    .kernarg_segment_align: 8
    .kernarg_segment_size: 68
    .language:       OpenCL C
    .language_version:
      - 2
      - 0
    .max_flat_workgroup_size: 1024
    .name:           _ZN5aiter43moe_smooth_per_token_scaled_quant_kernel_v1IDF16_aLi256ELi8ELb0ELb1ELi1024EEEvPT0_PfPT_S3_PiS6_iiiii
    .private_segment_fixed_size: 0
    .sgpr_count:     30
    .sgpr_spill_count: 0
    .symbol:         _ZN5aiter43moe_smooth_per_token_scaled_quant_kernel_v1IDF16_aLi256ELi8ELb0ELb1ELi1024EEEvPT0_PfPT_S3_PiS6_iiiii.kd
    .uniform_work_group_size: 1
    .uses_dynamic_stack: false
    .vgpr_count:     26
    .vgpr_spill_count: 0
    .wavefront_size: 64
  - .agpr_count:     0
    .args:
      - .actual_access:  write_only
        .address_space:  global
        .offset:         0
        .size:           8
        .value_kind:     global_buffer
      - .actual_access:  write_only
        .address_space:  global
        .offset:         8
        .size:           8
        .value_kind:     global_buffer
      - .actual_access:  read_only
        .address_space:  global
        .offset:         16
        .size:           8
        .value_kind:     global_buffer
      - .actual_access:  read_only
        .address_space:  global
        .offset:         24
        .size:           8
        .value_kind:     global_buffer
      - .actual_access:  read_only
        .address_space:  global
        .offset:         32
        .size:           8
        .value_kind:     global_buffer
      - .address_space:  global
        .offset:         40
        .size:           8
        .value_kind:     global_buffer
      - .offset:         48
        .size:           4
        .value_kind:     by_value
      - .offset:         52
        .size:           4
        .value_kind:     by_value
      - .offset:         56
        .size:           4
        .value_kind:     by_value
      - .offset:         60
        .size:           4
        .value_kind:     by_value
      - .offset:         64
        .size:           4
        .value_kind:     by_value
    .group_segment_fixed_size: 4112
    .kernarg_segment_align: 8
    .kernarg_segment_size: 68
    .language:       OpenCL C
    .language_version:
      - 2
      - 0
    .max_flat_workgroup_size: 1024
    .name:           _ZN5aiter43moe_smooth_per_token_scaled_quant_kernel_v1ItaLi256ELi8ELb0ELb1ELi1024EEEvPT0_PfPT_S3_PiS6_iiiii
    .private_segment_fixed_size: 0
    .sgpr_count:     30
    .sgpr_spill_count: 0
    .symbol:         _ZN5aiter43moe_smooth_per_token_scaled_quant_kernel_v1ItaLi256ELi8ELb0ELb1ELi1024EEEvPT0_PfPT_S3_PiS6_iiiii.kd
    .uniform_work_group_size: 1
    .uses_dynamic_stack: false
    .vgpr_count:     26
    .vgpr_spill_count: 0
    .wavefront_size: 64
  - .agpr_count:     0
    .args:
      - .actual_access:  write_only
        .address_space:  global
        .offset:         0
        .size:           8
        .value_kind:     global_buffer
      - .actual_access:  write_only
        .address_space:  global
        .offset:         8
        .size:           8
        .value_kind:     global_buffer
      - .actual_access:  read_only
        .address_space:  global
        .offset:         16
        .size:           8
        .value_kind:     global_buffer
      - .actual_access:  read_only
        .address_space:  global
        .offset:         24
        .size:           8
        .value_kind:     global_buffer
      - .actual_access:  read_only
        .address_space:  global
        .offset:         32
        .size:           8
        .value_kind:     global_buffer
      - .actual_access:  read_only
        .address_space:  global
        .offset:         40
        .size:           8
        .value_kind:     global_buffer
      - .offset:         48
        .size:           4
        .value_kind:     by_value
      - .offset:         52
        .size:           4
        .value_kind:     by_value
      - .offset:         56
        .size:           4
        .value_kind:     by_value
      - .offset:         60
        .size:           4
        .value_kind:     by_value
      - .offset:         64
        .size:           4
        .value_kind:     by_value
    .group_segment_fixed_size: 16
    .kernarg_segment_align: 8
    .kernarg_segment_size: 68
    .language:       OpenCL C
    .language_version:
      - 2
      - 0
    .max_flat_workgroup_size: 1024
    .name:           _ZN5aiter43moe_smooth_per_token_scaled_quant_kernel_v1IDF16_aLi256ELi8ELb0ELb0ELi1024EEEvPT0_PfPT_S3_PiS6_iiiii
    .private_segment_fixed_size: 0
    .sgpr_count:     30
    .sgpr_spill_count: 0
    .symbol:         _ZN5aiter43moe_smooth_per_token_scaled_quant_kernel_v1IDF16_aLi256ELi8ELb0ELb0ELi1024EEEvPT0_PfPT_S3_PiS6_iiiii.kd
    .uniform_work_group_size: 1
    .uses_dynamic_stack: false
    .vgpr_count:     26
    .vgpr_spill_count: 0
    .wavefront_size: 64
  - .agpr_count:     0
    .args:
      - .actual_access:  write_only
        .address_space:  global
        .offset:         0
        .size:           8
        .value_kind:     global_buffer
      - .actual_access:  write_only
        .address_space:  global
        .offset:         8
        .size:           8
        .value_kind:     global_buffer
      - .actual_access:  read_only
        .address_space:  global
        .offset:         16
        .size:           8
        .value_kind:     global_buffer
      - .actual_access:  read_only
        .address_space:  global
        .offset:         24
        .size:           8
        .value_kind:     global_buffer
      - .actual_access:  read_only
        .address_space:  global
        .offset:         32
        .size:           8
        .value_kind:     global_buffer
      - .actual_access:  read_only
        .address_space:  global
        .offset:         40
        .size:           8
        .value_kind:     global_buffer
      - .offset:         48
        .size:           4
        .value_kind:     by_value
      - .offset:         52
        .size:           4
        .value_kind:     by_value
      - .offset:         56
        .size:           4
        .value_kind:     by_value
      - .offset:         60
        .size:           4
        .value_kind:     by_value
      - .offset:         64
        .size:           4
        .value_kind:     by_value
    .group_segment_fixed_size: 16
    .kernarg_segment_align: 8
    .kernarg_segment_size: 68
    .language:       OpenCL C
    .language_version:
      - 2
      - 0
    .max_flat_workgroup_size: 1024
    .name:           _ZN5aiter43moe_smooth_per_token_scaled_quant_kernel_v1ItaLi256ELi8ELb0ELb0ELi1024EEEvPT0_PfPT_S3_PiS6_iiiii
    .private_segment_fixed_size: 0
    .sgpr_count:     30
    .sgpr_spill_count: 0
    .symbol:         _ZN5aiter43moe_smooth_per_token_scaled_quant_kernel_v1ItaLi256ELi8ELb0ELb0ELi1024EEEvPT0_PfPT_S3_PiS6_iiiii.kd
    .uniform_work_group_size: 1
    .uses_dynamic_stack: false
    .vgpr_count:     26
    .vgpr_spill_count: 0
    .wavefront_size: 64
  - .agpr_count:     0
    .args:
      - .actual_access:  write_only
        .address_space:  global
        .offset:         0
        .size:           8
        .value_kind:     global_buffer
      - .actual_access:  write_only
        .address_space:  global
        .offset:         8
        .size:           8
        .value_kind:     global_buffer
      - .actual_access:  read_only
        .address_space:  global
        .offset:         16
        .size:           8
        .value_kind:     global_buffer
      - .actual_access:  read_only
        .address_space:  global
        .offset:         24
        .size:           8
        .value_kind:     global_buffer
      - .actual_access:  read_only
        .address_space:  global
        .offset:         32
        .size:           8
        .value_kind:     global_buffer
      - .address_space:  global
        .offset:         40
        .size:           8
        .value_kind:     global_buffer
      - .offset:         48
        .size:           4
        .value_kind:     by_value
      - .offset:         52
        .size:           4
        .value_kind:     by_value
      - .offset:         56
        .size:           4
        .value_kind:     by_value
      - .offset:         60
        .size:           4
        .value_kind:     by_value
      - .offset:         64
        .size:           4
        .value_kind:     by_value
    .group_segment_fixed_size: 4112
    .kernarg_segment_align: 8
    .kernarg_segment_size: 68
    .language:       OpenCL C
    .language_version:
      - 2
      - 0
    .max_flat_workgroup_size: 1024
    .name:           _ZN5aiter43moe_smooth_per_token_scaled_quant_kernel_v1IDF16_aLi256ELi16ELb1ELb1ELi1024EEEvPT0_PfPT_S3_PiS6_iiiii
    .private_segment_fixed_size: 0
    .sgpr_count:     31
    .sgpr_spill_count: 0
    .symbol:         _ZN5aiter43moe_smooth_per_token_scaled_quant_kernel_v1IDF16_aLi256ELi16ELb1ELb1ELi1024EEEvPT0_PfPT_S3_PiS6_iiiii.kd
    .uniform_work_group_size: 1
    .uses_dynamic_stack: false
    .vgpr_count:     46
    .vgpr_spill_count: 0
    .wavefront_size: 64
  - .agpr_count:     0
    .args:
      - .actual_access:  write_only
        .address_space:  global
        .offset:         0
        .size:           8
        .value_kind:     global_buffer
      - .actual_access:  write_only
        .address_space:  global
        .offset:         8
        .size:           8
        .value_kind:     global_buffer
      - .actual_access:  read_only
        .address_space:  global
        .offset:         16
        .size:           8
        .value_kind:     global_buffer
      - .actual_access:  read_only
        .address_space:  global
        .offset:         24
        .size:           8
        .value_kind:     global_buffer
      - .actual_access:  read_only
        .address_space:  global
        .offset:         32
        .size:           8
        .value_kind:     global_buffer
      - .address_space:  global
        .offset:         40
        .size:           8
        .value_kind:     global_buffer
      - .offset:         48
        .size:           4
        .value_kind:     by_value
      - .offset:         52
        .size:           4
        .value_kind:     by_value
      - .offset:         56
        .size:           4
        .value_kind:     by_value
      - .offset:         60
        .size:           4
        .value_kind:     by_value
      - .offset:         64
        .size:           4
        .value_kind:     by_value
    .group_segment_fixed_size: 4112
    .kernarg_segment_align: 8
    .kernarg_segment_size: 68
    .language:       OpenCL C
    .language_version:
      - 2
      - 0
    .max_flat_workgroup_size: 1024
    .name:           _ZN5aiter43moe_smooth_per_token_scaled_quant_kernel_v1ItaLi256ELi16ELb1ELb1ELi1024EEEvPT0_PfPT_S3_PiS6_iiiii
    .private_segment_fixed_size: 0
    .sgpr_count:     31
    .sgpr_spill_count: 0
    .symbol:         _ZN5aiter43moe_smooth_per_token_scaled_quant_kernel_v1ItaLi256ELi16ELb1ELb1ELi1024EEEvPT0_PfPT_S3_PiS6_iiiii.kd
    .uniform_work_group_size: 1
    .uses_dynamic_stack: false
    .vgpr_count:     46
    .vgpr_spill_count: 0
    .wavefront_size: 64
  - .agpr_count:     0
    .args:
      - .actual_access:  write_only
        .address_space:  global
        .offset:         0
        .size:           8
        .value_kind:     global_buffer
      - .actual_access:  write_only
        .address_space:  global
        .offset:         8
        .size:           8
        .value_kind:     global_buffer
      - .actual_access:  read_only
        .address_space:  global
        .offset:         16
        .size:           8
        .value_kind:     global_buffer
      - .actual_access:  read_only
        .address_space:  global
        .offset:         24
        .size:           8
        .value_kind:     global_buffer
      - .actual_access:  read_only
        .address_space:  global
        .offset:         32
        .size:           8
        .value_kind:     global_buffer
      - .actual_access:  read_only
        .address_space:  global
        .offset:         40
        .size:           8
        .value_kind:     global_buffer
      - .offset:         48
        .size:           4
        .value_kind:     by_value
      - .offset:         52
        .size:           4
        .value_kind:     by_value
      - .offset:         56
        .size:           4
        .value_kind:     by_value
      - .offset:         60
        .size:           4
        .value_kind:     by_value
      - .offset:         64
        .size:           4
        .value_kind:     by_value
    .group_segment_fixed_size: 16
    .kernarg_segment_align: 8
    .kernarg_segment_size: 68
    .language:       OpenCL C
    .language_version:
      - 2
      - 0
    .max_flat_workgroup_size: 1024
    .name:           _ZN5aiter43moe_smooth_per_token_scaled_quant_kernel_v1IDF16_aLi256ELi16ELb1ELb0ELi1024EEEvPT0_PfPT_S3_PiS6_iiiii
    .private_segment_fixed_size: 0
    .sgpr_count:     31
    .sgpr_spill_count: 0
    .symbol:         _ZN5aiter43moe_smooth_per_token_scaled_quant_kernel_v1IDF16_aLi256ELi16ELb1ELb0ELi1024EEEvPT0_PfPT_S3_PiS6_iiiii.kd
    .uniform_work_group_size: 1
    .uses_dynamic_stack: false
    .vgpr_count:     46
    .vgpr_spill_count: 0
    .wavefront_size: 64
  - .agpr_count:     0
    .args:
      - .actual_access:  write_only
        .address_space:  global
        .offset:         0
        .size:           8
        .value_kind:     global_buffer
      - .actual_access:  write_only
        .address_space:  global
        .offset:         8
        .size:           8
        .value_kind:     global_buffer
      - .actual_access:  read_only
        .address_space:  global
        .offset:         16
        .size:           8
        .value_kind:     global_buffer
      - .actual_access:  read_only
        .address_space:  global
        .offset:         24
        .size:           8
        .value_kind:     global_buffer
      - .actual_access:  read_only
        .address_space:  global
        .offset:         32
        .size:           8
        .value_kind:     global_buffer
      - .actual_access:  read_only
        .address_space:  global
        .offset:         40
        .size:           8
        .value_kind:     global_buffer
      - .offset:         48
        .size:           4
        .value_kind:     by_value
      - .offset:         52
        .size:           4
        .value_kind:     by_value
      - .offset:         56
        .size:           4
        .value_kind:     by_value
      - .offset:         60
        .size:           4
        .value_kind:     by_value
      - .offset:         64
        .size:           4
        .value_kind:     by_value
    .group_segment_fixed_size: 16
    .kernarg_segment_align: 8
    .kernarg_segment_size: 68
    .language:       OpenCL C
    .language_version:
      - 2
      - 0
    .max_flat_workgroup_size: 1024
    .name:           _ZN5aiter43moe_smooth_per_token_scaled_quant_kernel_v1ItaLi256ELi16ELb1ELb0ELi1024EEEvPT0_PfPT_S3_PiS6_iiiii
    .private_segment_fixed_size: 0
    .sgpr_count:     31
    .sgpr_spill_count: 0
    .symbol:         _ZN5aiter43moe_smooth_per_token_scaled_quant_kernel_v1ItaLi256ELi16ELb1ELb0ELi1024EEEvPT0_PfPT_S3_PiS6_iiiii.kd
    .uniform_work_group_size: 1
    .uses_dynamic_stack: false
    .vgpr_count:     46
    .vgpr_spill_count: 0
    .wavefront_size: 64
  - .agpr_count:     0
    .args:
      - .actual_access:  write_only
        .address_space:  global
        .offset:         0
        .size:           8
        .value_kind:     global_buffer
      - .actual_access:  write_only
        .address_space:  global
        .offset:         8
        .size:           8
        .value_kind:     global_buffer
      - .actual_access:  read_only
        .address_space:  global
        .offset:         16
        .size:           8
        .value_kind:     global_buffer
      - .actual_access:  read_only
        .address_space:  global
        .offset:         24
        .size:           8
        .value_kind:     global_buffer
      - .actual_access:  read_only
        .address_space:  global
        .offset:         32
        .size:           8
        .value_kind:     global_buffer
      - .address_space:  global
        .offset:         40
        .size:           8
        .value_kind:     global_buffer
      - .offset:         48
        .size:           4
        .value_kind:     by_value
      - .offset:         52
        .size:           4
        .value_kind:     by_value
      - .offset:         56
        .size:           4
        .value_kind:     by_value
      - .offset:         60
        .size:           4
        .value_kind:     by_value
      - .offset:         64
        .size:           4
        .value_kind:     by_value
    .group_segment_fixed_size: 4112
    .kernarg_segment_align: 8
    .kernarg_segment_size: 68
    .language:       OpenCL C
    .language_version:
      - 2
      - 0
    .max_flat_workgroup_size: 1024
    .name:           _ZN5aiter43moe_smooth_per_token_scaled_quant_kernel_v1IDF16_aLi256ELi16ELb0ELb1ELi1024EEEvPT0_PfPT_S3_PiS6_iiiii
    .private_segment_fixed_size: 0
    .sgpr_count:     30
    .sgpr_spill_count: 0
    .symbol:         _ZN5aiter43moe_smooth_per_token_scaled_quant_kernel_v1IDF16_aLi256ELi16ELb0ELb1ELi1024EEEvPT0_PfPT_S3_PiS6_iiiii.kd
    .uniform_work_group_size: 1
    .uses_dynamic_stack: false
    .vgpr_count:     46
    .vgpr_spill_count: 0
    .wavefront_size: 64
  - .agpr_count:     0
    .args:
      - .actual_access:  write_only
        .address_space:  global
        .offset:         0
        .size:           8
        .value_kind:     global_buffer
      - .actual_access:  write_only
        .address_space:  global
        .offset:         8
        .size:           8
        .value_kind:     global_buffer
      - .actual_access:  read_only
        .address_space:  global
        .offset:         16
        .size:           8
        .value_kind:     global_buffer
      - .actual_access:  read_only
        .address_space:  global
        .offset:         24
        .size:           8
        .value_kind:     global_buffer
      - .actual_access:  read_only
        .address_space:  global
        .offset:         32
        .size:           8
        .value_kind:     global_buffer
      - .address_space:  global
        .offset:         40
        .size:           8
        .value_kind:     global_buffer
      - .offset:         48
        .size:           4
        .value_kind:     by_value
      - .offset:         52
        .size:           4
        .value_kind:     by_value
      - .offset:         56
        .size:           4
        .value_kind:     by_value
      - .offset:         60
        .size:           4
        .value_kind:     by_value
      - .offset:         64
        .size:           4
        .value_kind:     by_value
    .group_segment_fixed_size: 4112
    .kernarg_segment_align: 8
    .kernarg_segment_size: 68
    .language:       OpenCL C
    .language_version:
      - 2
      - 0
    .max_flat_workgroup_size: 1024
    .name:           _ZN5aiter43moe_smooth_per_token_scaled_quant_kernel_v1ItaLi256ELi16ELb0ELb1ELi1024EEEvPT0_PfPT_S3_PiS6_iiiii
    .private_segment_fixed_size: 0
    .sgpr_count:     30
    .sgpr_spill_count: 0
    .symbol:         _ZN5aiter43moe_smooth_per_token_scaled_quant_kernel_v1ItaLi256ELi16ELb0ELb1ELi1024EEEvPT0_PfPT_S3_PiS6_iiiii.kd
    .uniform_work_group_size: 1
    .uses_dynamic_stack: false
    .vgpr_count:     46
    .vgpr_spill_count: 0
    .wavefront_size: 64
  - .agpr_count:     0
    .args:
      - .actual_access:  write_only
        .address_space:  global
        .offset:         0
        .size:           8
        .value_kind:     global_buffer
      - .actual_access:  write_only
        .address_space:  global
        .offset:         8
        .size:           8
        .value_kind:     global_buffer
      - .actual_access:  read_only
        .address_space:  global
        .offset:         16
        .size:           8
        .value_kind:     global_buffer
      - .actual_access:  read_only
        .address_space:  global
        .offset:         24
        .size:           8
        .value_kind:     global_buffer
      - .actual_access:  read_only
        .address_space:  global
        .offset:         32
        .size:           8
        .value_kind:     global_buffer
      - .actual_access:  read_only
        .address_space:  global
        .offset:         40
        .size:           8
        .value_kind:     global_buffer
      - .offset:         48
        .size:           4
        .value_kind:     by_value
      - .offset:         52
        .size:           4
        .value_kind:     by_value
      - .offset:         56
        .size:           4
        .value_kind:     by_value
      - .offset:         60
        .size:           4
        .value_kind:     by_value
      - .offset:         64
        .size:           4
        .value_kind:     by_value
    .group_segment_fixed_size: 16
    .kernarg_segment_align: 8
    .kernarg_segment_size: 68
    .language:       OpenCL C
    .language_version:
      - 2
      - 0
    .max_flat_workgroup_size: 1024
    .name:           _ZN5aiter43moe_smooth_per_token_scaled_quant_kernel_v1IDF16_aLi256ELi16ELb0ELb0ELi1024EEEvPT0_PfPT_S3_PiS6_iiiii
    .private_segment_fixed_size: 0
    .sgpr_count:     30
    .sgpr_spill_count: 0
    .symbol:         _ZN5aiter43moe_smooth_per_token_scaled_quant_kernel_v1IDF16_aLi256ELi16ELb0ELb0ELi1024EEEvPT0_PfPT_S3_PiS6_iiiii.kd
    .uniform_work_group_size: 1
    .uses_dynamic_stack: false
    .vgpr_count:     46
    .vgpr_spill_count: 0
    .wavefront_size: 64
  - .agpr_count:     0
    .args:
      - .actual_access:  write_only
        .address_space:  global
        .offset:         0
        .size:           8
        .value_kind:     global_buffer
      - .actual_access:  write_only
        .address_space:  global
        .offset:         8
        .size:           8
        .value_kind:     global_buffer
      - .actual_access:  read_only
        .address_space:  global
        .offset:         16
        .size:           8
        .value_kind:     global_buffer
      - .actual_access:  read_only
        .address_space:  global
        .offset:         24
        .size:           8
        .value_kind:     global_buffer
      - .actual_access:  read_only
        .address_space:  global
        .offset:         32
        .size:           8
        .value_kind:     global_buffer
      - .actual_access:  read_only
        .address_space:  global
        .offset:         40
        .size:           8
        .value_kind:     global_buffer
      - .offset:         48
        .size:           4
        .value_kind:     by_value
      - .offset:         52
        .size:           4
        .value_kind:     by_value
      - .offset:         56
        .size:           4
        .value_kind:     by_value
      - .offset:         60
        .size:           4
        .value_kind:     by_value
      - .offset:         64
        .size:           4
        .value_kind:     by_value
    .group_segment_fixed_size: 16
    .kernarg_segment_align: 8
    .kernarg_segment_size: 68
    .language:       OpenCL C
    .language_version:
      - 2
      - 0
    .max_flat_workgroup_size: 1024
    .name:           _ZN5aiter43moe_smooth_per_token_scaled_quant_kernel_v1ItaLi256ELi16ELb0ELb0ELi1024EEEvPT0_PfPT_S3_PiS6_iiiii
    .private_segment_fixed_size: 0
    .sgpr_count:     30
    .sgpr_spill_count: 0
    .symbol:         _ZN5aiter43moe_smooth_per_token_scaled_quant_kernel_v1ItaLi256ELi16ELb0ELb0ELi1024EEEvPT0_PfPT_S3_PiS6_iiiii.kd
    .uniform_work_group_size: 1
    .uses_dynamic_stack: false
    .vgpr_count:     46
    .vgpr_spill_count: 0
    .wavefront_size: 64
  - .agpr_count:     0
    .args:
      - .actual_access:  write_only
        .address_space:  global
        .offset:         0
        .size:           8
        .value_kind:     global_buffer
      - .actual_access:  write_only
        .address_space:  global
        .offset:         8
        .size:           8
        .value_kind:     global_buffer
      - .actual_access:  read_only
        .address_space:  global
        .offset:         16
        .size:           8
        .value_kind:     global_buffer
      - .actual_access:  read_only
        .address_space:  global
        .offset:         24
        .size:           8
        .value_kind:     global_buffer
      - .actual_access:  read_only
        .address_space:  global
        .offset:         32
        .size:           8
        .value_kind:     global_buffer
      - .address_space:  global
        .offset:         40
        .size:           8
        .value_kind:     global_buffer
      - .offset:         48
        .size:           4
        .value_kind:     by_value
      - .offset:         52
        .size:           4
        .value_kind:     by_value
      - .offset:         56
        .size:           4
        .value_kind:     by_value
      - .offset:         60
        .size:           4
        .value_kind:     by_value
      - .offset:         64
        .size:           4
        .value_kind:     by_value
    .group_segment_fixed_size: 4128
    .kernarg_segment_align: 8
    .kernarg_segment_size: 68
    .language:       OpenCL C
    .language_version:
      - 2
      - 0
    .max_flat_workgroup_size: 1024
    .name:           _ZN5aiter43moe_smooth_per_token_scaled_quant_kernel_v1IDF16_aLi512ELi16ELb1ELb1ELi1024EEEvPT0_PfPT_S3_PiS6_iiiii
    .private_segment_fixed_size: 0
    .sgpr_count:     31
    .sgpr_spill_count: 0
    .symbol:         _ZN5aiter43moe_smooth_per_token_scaled_quant_kernel_v1IDF16_aLi512ELi16ELb1ELb1ELi1024EEEvPT0_PfPT_S3_PiS6_iiiii.kd
    .uniform_work_group_size: 1
    .uses_dynamic_stack: false
    .vgpr_count:     46
    .vgpr_spill_count: 0
    .wavefront_size: 64
  - .agpr_count:     0
    .args:
      - .actual_access:  write_only
        .address_space:  global
        .offset:         0
        .size:           8
        .value_kind:     global_buffer
      - .actual_access:  write_only
        .address_space:  global
        .offset:         8
        .size:           8
        .value_kind:     global_buffer
      - .actual_access:  read_only
        .address_space:  global
        .offset:         16
        .size:           8
        .value_kind:     global_buffer
      - .actual_access:  read_only
        .address_space:  global
        .offset:         24
        .size:           8
        .value_kind:     global_buffer
      - .actual_access:  read_only
        .address_space:  global
        .offset:         32
        .size:           8
        .value_kind:     global_buffer
      - .address_space:  global
        .offset:         40
        .size:           8
        .value_kind:     global_buffer
      - .offset:         48
        .size:           4
        .value_kind:     by_value
      - .offset:         52
        .size:           4
        .value_kind:     by_value
      - .offset:         56
        .size:           4
        .value_kind:     by_value
      - .offset:         60
        .size:           4
        .value_kind:     by_value
      - .offset:         64
        .size:           4
        .value_kind:     by_value
    .group_segment_fixed_size: 4128
    .kernarg_segment_align: 8
    .kernarg_segment_size: 68
    .language:       OpenCL C
    .language_version:
      - 2
      - 0
    .max_flat_workgroup_size: 1024
    .name:           _ZN5aiter43moe_smooth_per_token_scaled_quant_kernel_v1ItaLi512ELi16ELb1ELb1ELi1024EEEvPT0_PfPT_S3_PiS6_iiiii
    .private_segment_fixed_size: 0
    .sgpr_count:     31
    .sgpr_spill_count: 0
    .symbol:         _ZN5aiter43moe_smooth_per_token_scaled_quant_kernel_v1ItaLi512ELi16ELb1ELb1ELi1024EEEvPT0_PfPT_S3_PiS6_iiiii.kd
    .uniform_work_group_size: 1
    .uses_dynamic_stack: false
    .vgpr_count:     46
    .vgpr_spill_count: 0
    .wavefront_size: 64
  - .agpr_count:     0
    .args:
      - .actual_access:  write_only
        .address_space:  global
        .offset:         0
        .size:           8
        .value_kind:     global_buffer
      - .actual_access:  write_only
        .address_space:  global
        .offset:         8
        .size:           8
        .value_kind:     global_buffer
      - .actual_access:  read_only
        .address_space:  global
        .offset:         16
        .size:           8
        .value_kind:     global_buffer
      - .actual_access:  read_only
        .address_space:  global
        .offset:         24
        .size:           8
        .value_kind:     global_buffer
      - .actual_access:  read_only
        .address_space:  global
        .offset:         32
        .size:           8
        .value_kind:     global_buffer
      - .actual_access:  read_only
        .address_space:  global
        .offset:         40
        .size:           8
        .value_kind:     global_buffer
      - .offset:         48
        .size:           4
        .value_kind:     by_value
      - .offset:         52
        .size:           4
        .value_kind:     by_value
      - .offset:         56
        .size:           4
        .value_kind:     by_value
      - .offset:         60
        .size:           4
        .value_kind:     by_value
      - .offset:         64
        .size:           4
        .value_kind:     by_value
    .group_segment_fixed_size: 32
    .kernarg_segment_align: 8
    .kernarg_segment_size: 68
    .language:       OpenCL C
    .language_version:
      - 2
      - 0
    .max_flat_workgroup_size: 1024
    .name:           _ZN5aiter43moe_smooth_per_token_scaled_quant_kernel_v1IDF16_aLi512ELi16ELb1ELb0ELi1024EEEvPT0_PfPT_S3_PiS6_iiiii
    .private_segment_fixed_size: 0
    .sgpr_count:     31
    .sgpr_spill_count: 0
    .symbol:         _ZN5aiter43moe_smooth_per_token_scaled_quant_kernel_v1IDF16_aLi512ELi16ELb1ELb0ELi1024EEEvPT0_PfPT_S3_PiS6_iiiii.kd
    .uniform_work_group_size: 1
    .uses_dynamic_stack: false
    .vgpr_count:     46
    .vgpr_spill_count: 0
    .wavefront_size: 64
  - .agpr_count:     0
    .args:
      - .actual_access:  write_only
        .address_space:  global
        .offset:         0
        .size:           8
        .value_kind:     global_buffer
      - .actual_access:  write_only
        .address_space:  global
        .offset:         8
        .size:           8
        .value_kind:     global_buffer
      - .actual_access:  read_only
        .address_space:  global
        .offset:         16
        .size:           8
        .value_kind:     global_buffer
      - .actual_access:  read_only
        .address_space:  global
        .offset:         24
        .size:           8
        .value_kind:     global_buffer
      - .actual_access:  read_only
        .address_space:  global
        .offset:         32
        .size:           8
        .value_kind:     global_buffer
      - .actual_access:  read_only
        .address_space:  global
        .offset:         40
        .size:           8
        .value_kind:     global_buffer
      - .offset:         48
        .size:           4
        .value_kind:     by_value
      - .offset:         52
        .size:           4
        .value_kind:     by_value
      - .offset:         56
        .size:           4
        .value_kind:     by_value
      - .offset:         60
        .size:           4
        .value_kind:     by_value
      - .offset:         64
        .size:           4
        .value_kind:     by_value
    .group_segment_fixed_size: 32
    .kernarg_segment_align: 8
    .kernarg_segment_size: 68
    .language:       OpenCL C
    .language_version:
      - 2
      - 0
    .max_flat_workgroup_size: 1024
    .name:           _ZN5aiter43moe_smooth_per_token_scaled_quant_kernel_v1ItaLi512ELi16ELb1ELb0ELi1024EEEvPT0_PfPT_S3_PiS6_iiiii
    .private_segment_fixed_size: 0
    .sgpr_count:     31
    .sgpr_spill_count: 0
    .symbol:         _ZN5aiter43moe_smooth_per_token_scaled_quant_kernel_v1ItaLi512ELi16ELb1ELb0ELi1024EEEvPT0_PfPT_S3_PiS6_iiiii.kd
    .uniform_work_group_size: 1
    .uses_dynamic_stack: false
    .vgpr_count:     46
    .vgpr_spill_count: 0
    .wavefront_size: 64
  - .agpr_count:     0
    .args:
      - .actual_access:  write_only
        .address_space:  global
        .offset:         0
        .size:           8
        .value_kind:     global_buffer
      - .actual_access:  write_only
        .address_space:  global
        .offset:         8
        .size:           8
        .value_kind:     global_buffer
      - .actual_access:  read_only
        .address_space:  global
        .offset:         16
        .size:           8
        .value_kind:     global_buffer
      - .actual_access:  read_only
        .address_space:  global
        .offset:         24
        .size:           8
        .value_kind:     global_buffer
      - .actual_access:  read_only
        .address_space:  global
        .offset:         32
        .size:           8
        .value_kind:     global_buffer
      - .address_space:  global
        .offset:         40
        .size:           8
        .value_kind:     global_buffer
      - .offset:         48
        .size:           4
        .value_kind:     by_value
      - .offset:         52
        .size:           4
        .value_kind:     by_value
      - .offset:         56
        .size:           4
        .value_kind:     by_value
      - .offset:         60
        .size:           4
        .value_kind:     by_value
      - .offset:         64
        .size:           4
        .value_kind:     by_value
    .group_segment_fixed_size: 4128
    .kernarg_segment_align: 8
    .kernarg_segment_size: 68
    .language:       OpenCL C
    .language_version:
      - 2
      - 0
    .max_flat_workgroup_size: 1024
    .name:           _ZN5aiter43moe_smooth_per_token_scaled_quant_kernel_v1IDF16_aLi512ELi16ELb0ELb1ELi1024EEEvPT0_PfPT_S3_PiS6_iiiii
    .private_segment_fixed_size: 0
    .sgpr_count:     30
    .sgpr_spill_count: 0
    .symbol:         _ZN5aiter43moe_smooth_per_token_scaled_quant_kernel_v1IDF16_aLi512ELi16ELb0ELb1ELi1024EEEvPT0_PfPT_S3_PiS6_iiiii.kd
    .uniform_work_group_size: 1
    .uses_dynamic_stack: false
    .vgpr_count:     46
    .vgpr_spill_count: 0
    .wavefront_size: 64
  - .agpr_count:     0
    .args:
      - .actual_access:  write_only
        .address_space:  global
        .offset:         0
        .size:           8
        .value_kind:     global_buffer
      - .actual_access:  write_only
        .address_space:  global
        .offset:         8
        .size:           8
        .value_kind:     global_buffer
      - .actual_access:  read_only
        .address_space:  global
        .offset:         16
        .size:           8
        .value_kind:     global_buffer
      - .actual_access:  read_only
        .address_space:  global
        .offset:         24
        .size:           8
        .value_kind:     global_buffer
      - .actual_access:  read_only
        .address_space:  global
        .offset:         32
        .size:           8
        .value_kind:     global_buffer
      - .address_space:  global
        .offset:         40
        .size:           8
        .value_kind:     global_buffer
      - .offset:         48
        .size:           4
        .value_kind:     by_value
      - .offset:         52
        .size:           4
        .value_kind:     by_value
      - .offset:         56
        .size:           4
        .value_kind:     by_value
      - .offset:         60
        .size:           4
        .value_kind:     by_value
      - .offset:         64
        .size:           4
        .value_kind:     by_value
    .group_segment_fixed_size: 4128
    .kernarg_segment_align: 8
    .kernarg_segment_size: 68
    .language:       OpenCL C
    .language_version:
      - 2
      - 0
    .max_flat_workgroup_size: 1024
    .name:           _ZN5aiter43moe_smooth_per_token_scaled_quant_kernel_v1ItaLi512ELi16ELb0ELb1ELi1024EEEvPT0_PfPT_S3_PiS6_iiiii
    .private_segment_fixed_size: 0
    .sgpr_count:     30
    .sgpr_spill_count: 0
    .symbol:         _ZN5aiter43moe_smooth_per_token_scaled_quant_kernel_v1ItaLi512ELi16ELb0ELb1ELi1024EEEvPT0_PfPT_S3_PiS6_iiiii.kd
    .uniform_work_group_size: 1
    .uses_dynamic_stack: false
    .vgpr_count:     46
    .vgpr_spill_count: 0
    .wavefront_size: 64
  - .agpr_count:     0
    .args:
      - .actual_access:  write_only
        .address_space:  global
        .offset:         0
        .size:           8
        .value_kind:     global_buffer
      - .actual_access:  write_only
        .address_space:  global
        .offset:         8
        .size:           8
        .value_kind:     global_buffer
      - .actual_access:  read_only
        .address_space:  global
        .offset:         16
        .size:           8
        .value_kind:     global_buffer
      - .actual_access:  read_only
        .address_space:  global
        .offset:         24
        .size:           8
        .value_kind:     global_buffer
      - .actual_access:  read_only
        .address_space:  global
        .offset:         32
        .size:           8
        .value_kind:     global_buffer
      - .actual_access:  read_only
        .address_space:  global
        .offset:         40
        .size:           8
        .value_kind:     global_buffer
      - .offset:         48
        .size:           4
        .value_kind:     by_value
      - .offset:         52
        .size:           4
        .value_kind:     by_value
      - .offset:         56
        .size:           4
        .value_kind:     by_value
      - .offset:         60
        .size:           4
        .value_kind:     by_value
      - .offset:         64
        .size:           4
        .value_kind:     by_value
    .group_segment_fixed_size: 32
    .kernarg_segment_align: 8
    .kernarg_segment_size: 68
    .language:       OpenCL C
    .language_version:
      - 2
      - 0
    .max_flat_workgroup_size: 1024
    .name:           _ZN5aiter43moe_smooth_per_token_scaled_quant_kernel_v1IDF16_aLi512ELi16ELb0ELb0ELi1024EEEvPT0_PfPT_S3_PiS6_iiiii
    .private_segment_fixed_size: 0
    .sgpr_count:     30
    .sgpr_spill_count: 0
    .symbol:         _ZN5aiter43moe_smooth_per_token_scaled_quant_kernel_v1IDF16_aLi512ELi16ELb0ELb0ELi1024EEEvPT0_PfPT_S3_PiS6_iiiii.kd
    .uniform_work_group_size: 1
    .uses_dynamic_stack: false
    .vgpr_count:     46
    .vgpr_spill_count: 0
    .wavefront_size: 64
  - .agpr_count:     0
    .args:
      - .actual_access:  write_only
        .address_space:  global
        .offset:         0
        .size:           8
        .value_kind:     global_buffer
      - .actual_access:  write_only
        .address_space:  global
        .offset:         8
        .size:           8
        .value_kind:     global_buffer
      - .actual_access:  read_only
        .address_space:  global
        .offset:         16
        .size:           8
        .value_kind:     global_buffer
      - .actual_access:  read_only
        .address_space:  global
        .offset:         24
        .size:           8
        .value_kind:     global_buffer
      - .actual_access:  read_only
        .address_space:  global
        .offset:         32
        .size:           8
        .value_kind:     global_buffer
      - .actual_access:  read_only
        .address_space:  global
        .offset:         40
        .size:           8
        .value_kind:     global_buffer
      - .offset:         48
        .size:           4
        .value_kind:     by_value
      - .offset:         52
        .size:           4
        .value_kind:     by_value
      - .offset:         56
        .size:           4
        .value_kind:     by_value
      - .offset:         60
        .size:           4
        .value_kind:     by_value
      - .offset:         64
        .size:           4
        .value_kind:     by_value
    .group_segment_fixed_size: 32
    .kernarg_segment_align: 8
    .kernarg_segment_size: 68
    .language:       OpenCL C
    .language_version:
      - 2
      - 0
    .max_flat_workgroup_size: 1024
    .name:           _ZN5aiter43moe_smooth_per_token_scaled_quant_kernel_v1ItaLi512ELi16ELb0ELb0ELi1024EEEvPT0_PfPT_S3_PiS6_iiiii
    .private_segment_fixed_size: 0
    .sgpr_count:     30
    .sgpr_spill_count: 0
    .symbol:         _ZN5aiter43moe_smooth_per_token_scaled_quant_kernel_v1ItaLi512ELi16ELb0ELb0ELi1024EEEvPT0_PfPT_S3_PiS6_iiiii.kd
    .uniform_work_group_size: 1
    .uses_dynamic_stack: false
    .vgpr_count:     46
    .vgpr_spill_count: 0
    .wavefront_size: 64
  - .agpr_count:     0
    .args:
      - .actual_access:  write_only
        .address_space:  global
        .offset:         0
        .size:           8
        .value_kind:     global_buffer
      - .actual_access:  write_only
        .address_space:  global
        .offset:         8
        .size:           8
        .value_kind:     global_buffer
      - .actual_access:  read_only
        .address_space:  global
        .offset:         16
        .size:           8
        .value_kind:     global_buffer
      - .actual_access:  read_only
        .address_space:  global
        .offset:         24
        .size:           8
        .value_kind:     global_buffer
      - .actual_access:  read_only
        .address_space:  global
        .offset:         32
        .size:           8
        .value_kind:     global_buffer
      - .actual_access:  read_only
        .address_space:  global
        .offset:         40
        .size:           8
        .value_kind:     global_buffer
      - .actual_access:  read_only
        .address_space:  global
        .offset:         48
        .size:           8
        .value_kind:     global_buffer
      - .offset:         56
        .size:           4
        .value_kind:     by_value
      - .offset:         60
        .size:           4
        .value_kind:     by_value
      - .offset:         64
        .size:           4
        .value_kind:     by_value
      - .offset:         68
        .size:           4
        .value_kind:     by_value
      - .offset:         72
        .size:           4
        .value_kind:     by_value
      - .offset:         76
        .size:           4
        .value_kind:     by_value
      - .offset:         80
        .size:           4
        .value_kind:     by_value
      - .offset:         84
        .size:           4
        .value_kind:     by_value
      - .offset:         88
        .size:           4
        .value_kind:     by_value
      - .offset:         92
        .size:           4
        .value_kind:     by_value
      - .offset:         96
        .size:           1
        .value_kind:     by_value
      - .offset:         97
        .size:           1
        .value_kind:     by_value
    .group_segment_fixed_size: 8
    .kernarg_segment_align: 8
    .kernarg_segment_size: 100
    .language:       OpenCL C
    .language_version:
      - 2
      - 0
    .max_flat_workgroup_size: 1024
    .name:           _ZN5aiter43moe_smooth_per_token_scaled_quant_kernel_v2IDF16_DB8_Li128ELi8EEEvPT0_PfPT_S4_PiS7_S7_iiiiiiiiiibb
    .private_segment_fixed_size: 0
    .sgpr_count:     63
    .sgpr_spill_count: 0
    .symbol:         _ZN5aiter43moe_smooth_per_token_scaled_quant_kernel_v2IDF16_DB8_Li128ELi8EEEvPT0_PfPT_S4_PiS7_S7_iiiiiiiiiibb.kd
    .uniform_work_group_size: 1
    .uses_dynamic_stack: false
    .vgpr_count:     32
    .vgpr_spill_count: 0
    .wavefront_size: 64
  - .agpr_count:     0
    .args:
      - .actual_access:  write_only
        .address_space:  global
        .offset:         0
        .size:           8
        .value_kind:     global_buffer
      - .actual_access:  write_only
        .address_space:  global
        .offset:         8
        .size:           8
        .value_kind:     global_buffer
      - .actual_access:  read_only
        .address_space:  global
        .offset:         16
        .size:           8
        .value_kind:     global_buffer
      - .actual_access:  read_only
        .address_space:  global
        .offset:         24
        .size:           8
        .value_kind:     global_buffer
      - .actual_access:  read_only
        .address_space:  global
        .offset:         32
        .size:           8
        .value_kind:     global_buffer
      - .actual_access:  read_only
        .address_space:  global
        .offset:         40
        .size:           8
        .value_kind:     global_buffer
      - .actual_access:  read_only
        .address_space:  global
        .offset:         48
        .size:           8
        .value_kind:     global_buffer
      - .offset:         56
        .size:           4
        .value_kind:     by_value
      - .offset:         60
        .size:           4
        .value_kind:     by_value
      - .offset:         64
        .size:           4
        .value_kind:     by_value
      - .offset:         68
        .size:           4
        .value_kind:     by_value
      - .offset:         72
        .size:           4
        .value_kind:     by_value
      - .offset:         76
        .size:           4
        .value_kind:     by_value
      - .offset:         80
        .size:           4
        .value_kind:     by_value
      - .offset:         84
        .size:           4
        .value_kind:     by_value
      - .offset:         88
        .size:           4
        .value_kind:     by_value
      - .offset:         92
        .size:           4
        .value_kind:     by_value
      - .offset:         96
        .size:           1
        .value_kind:     by_value
      - .offset:         97
        .size:           1
        .value_kind:     by_value
    .group_segment_fixed_size: 8
    .kernarg_segment_align: 8
    .kernarg_segment_size: 100
    .language:       OpenCL C
    .language_version:
      - 2
      - 0
    .max_flat_workgroup_size: 1024
    .name:           _ZN5aiter43moe_smooth_per_token_scaled_quant_kernel_v2ItDB8_Li128ELi8EEEvPT0_PfPT_S4_PiS7_S7_iiiiiiiiiibb
    .private_segment_fixed_size: 0
    .sgpr_count:     63
    .sgpr_spill_count: 0
    .symbol:         _ZN5aiter43moe_smooth_per_token_scaled_quant_kernel_v2ItDB8_Li128ELi8EEEvPT0_PfPT_S4_PiS7_S7_iiiiiiiiiibb.kd
    .uniform_work_group_size: 1
    .uses_dynamic_stack: false
    .vgpr_count:     32
    .vgpr_spill_count: 0
    .wavefront_size: 64
  - .agpr_count:     0
    .args:
      - .actual_access:  write_only
        .address_space:  global
        .offset:         0
        .size:           8
        .value_kind:     global_buffer
      - .actual_access:  write_only
        .address_space:  global
        .offset:         8
        .size:           8
        .value_kind:     global_buffer
      - .actual_access:  read_only
        .address_space:  global
        .offset:         16
        .size:           8
        .value_kind:     global_buffer
      - .actual_access:  read_only
        .address_space:  global
        .offset:         24
        .size:           8
        .value_kind:     global_buffer
      - .actual_access:  read_only
        .address_space:  global
        .offset:         32
        .size:           8
        .value_kind:     global_buffer
      - .actual_access:  read_only
        .address_space:  global
        .offset:         40
        .size:           8
        .value_kind:     global_buffer
      - .actual_access:  read_only
        .address_space:  global
        .offset:         48
        .size:           8
        .value_kind:     global_buffer
      - .offset:         56
        .size:           4
        .value_kind:     by_value
      - .offset:         60
        .size:           4
        .value_kind:     by_value
      - .offset:         64
        .size:           4
        .value_kind:     by_value
      - .offset:         68
        .size:           4
        .value_kind:     by_value
      - .offset:         72
        .size:           4
        .value_kind:     by_value
      - .offset:         76
        .size:           4
        .value_kind:     by_value
      - .offset:         80
        .size:           4
        .value_kind:     by_value
      - .offset:         84
        .size:           4
        .value_kind:     by_value
      - .offset:         88
        .size:           4
        .value_kind:     by_value
      - .offset:         92
        .size:           4
        .value_kind:     by_value
      - .offset:         96
        .size:           1
        .value_kind:     by_value
      - .offset:         97
        .size:           1
        .value_kind:     by_value
    .group_segment_fixed_size: 16
    .kernarg_segment_align: 8
    .kernarg_segment_size: 100
    .language:       OpenCL C
    .language_version:
      - 2
      - 0
    .max_flat_workgroup_size: 1024
    .name:           _ZN5aiter43moe_smooth_per_token_scaled_quant_kernel_v2IDF16_DB8_Li256ELi8EEEvPT0_PfPT_S4_PiS7_S7_iiiiiiiiiibb
    .private_segment_fixed_size: 0
    .sgpr_count:     63
    .sgpr_spill_count: 0
    .symbol:         _ZN5aiter43moe_smooth_per_token_scaled_quant_kernel_v2IDF16_DB8_Li256ELi8EEEvPT0_PfPT_S4_PiS7_S7_iiiiiiiiiibb.kd
    .uniform_work_group_size: 1
    .uses_dynamic_stack: false
    .vgpr_count:     32
    .vgpr_spill_count: 0
    .wavefront_size: 64
  - .agpr_count:     0
    .args:
      - .actual_access:  write_only
        .address_space:  global
        .offset:         0
        .size:           8
        .value_kind:     global_buffer
      - .actual_access:  write_only
        .address_space:  global
        .offset:         8
        .size:           8
        .value_kind:     global_buffer
      - .actual_access:  read_only
        .address_space:  global
        .offset:         16
        .size:           8
        .value_kind:     global_buffer
      - .actual_access:  read_only
        .address_space:  global
        .offset:         24
        .size:           8
        .value_kind:     global_buffer
      - .actual_access:  read_only
        .address_space:  global
        .offset:         32
        .size:           8
        .value_kind:     global_buffer
      - .actual_access:  read_only
        .address_space:  global
        .offset:         40
        .size:           8
        .value_kind:     global_buffer
      - .actual_access:  read_only
        .address_space:  global
        .offset:         48
        .size:           8
        .value_kind:     global_buffer
      - .offset:         56
        .size:           4
        .value_kind:     by_value
      - .offset:         60
        .size:           4
        .value_kind:     by_value
      - .offset:         64
        .size:           4
        .value_kind:     by_value
      - .offset:         68
        .size:           4
        .value_kind:     by_value
      - .offset:         72
        .size:           4
        .value_kind:     by_value
      - .offset:         76
        .size:           4
        .value_kind:     by_value
      - .offset:         80
        .size:           4
        .value_kind:     by_value
      - .offset:         84
        .size:           4
        .value_kind:     by_value
      - .offset:         88
        .size:           4
        .value_kind:     by_value
      - .offset:         92
        .size:           4
        .value_kind:     by_value
      - .offset:         96
        .size:           1
        .value_kind:     by_value
      - .offset:         97
        .size:           1
        .value_kind:     by_value
    .group_segment_fixed_size: 16
    .kernarg_segment_align: 8
    .kernarg_segment_size: 100
    .language:       OpenCL C
    .language_version:
      - 2
      - 0
    .max_flat_workgroup_size: 1024
    .name:           _ZN5aiter43moe_smooth_per_token_scaled_quant_kernel_v2ItDB8_Li256ELi8EEEvPT0_PfPT_S4_PiS7_S7_iiiiiiiiiibb
    .private_segment_fixed_size: 0
    .sgpr_count:     63
    .sgpr_spill_count: 0
    .symbol:         _ZN5aiter43moe_smooth_per_token_scaled_quant_kernel_v2ItDB8_Li256ELi8EEEvPT0_PfPT_S4_PiS7_S7_iiiiiiiiiibb.kd
    .uniform_work_group_size: 1
    .uses_dynamic_stack: false
    .vgpr_count:     32
    .vgpr_spill_count: 0
    .wavefront_size: 64
  - .agpr_count:     0
    .args:
      - .actual_access:  write_only
        .address_space:  global
        .offset:         0
        .size:           8
        .value_kind:     global_buffer
      - .actual_access:  write_only
        .address_space:  global
        .offset:         8
        .size:           8
        .value_kind:     global_buffer
      - .actual_access:  read_only
        .address_space:  global
        .offset:         16
        .size:           8
        .value_kind:     global_buffer
      - .actual_access:  read_only
        .address_space:  global
        .offset:         24
        .size:           8
        .value_kind:     global_buffer
      - .actual_access:  read_only
        .address_space:  global
        .offset:         32
        .size:           8
        .value_kind:     global_buffer
      - .actual_access:  read_only
        .address_space:  global
        .offset:         40
        .size:           8
        .value_kind:     global_buffer
      - .actual_access:  read_only
        .address_space:  global
        .offset:         48
        .size:           8
        .value_kind:     global_buffer
      - .offset:         56
        .size:           4
        .value_kind:     by_value
      - .offset:         60
        .size:           4
        .value_kind:     by_value
      - .offset:         64
        .size:           4
        .value_kind:     by_value
      - .offset:         68
        .size:           4
        .value_kind:     by_value
      - .offset:         72
        .size:           4
        .value_kind:     by_value
      - .offset:         76
        .size:           4
        .value_kind:     by_value
      - .offset:         80
        .size:           4
        .value_kind:     by_value
      - .offset:         84
        .size:           4
        .value_kind:     by_value
      - .offset:         88
        .size:           4
        .value_kind:     by_value
      - .offset:         92
        .size:           4
        .value_kind:     by_value
      - .offset:         96
        .size:           1
        .value_kind:     by_value
      - .offset:         97
        .size:           1
        .value_kind:     by_value
    .group_segment_fixed_size: 16
    .kernarg_segment_align: 8
    .kernarg_segment_size: 100
    .language:       OpenCL C
    .language_version:
      - 2
      - 0
    .max_flat_workgroup_size: 1024
    .name:           _ZN5aiter43moe_smooth_per_token_scaled_quant_kernel_v2IDF16_DB8_Li256ELi16EEEvPT0_PfPT_S4_PiS7_S7_iiiiiiiiiibb
    .private_segment_fixed_size: 0
    .sgpr_count:     63
    .sgpr_spill_count: 0
    .symbol:         _ZN5aiter43moe_smooth_per_token_scaled_quant_kernel_v2IDF16_DB8_Li256ELi16EEEvPT0_PfPT_S4_PiS7_S7_iiiiiiiiiibb.kd
    .uniform_work_group_size: 1
    .uses_dynamic_stack: false
    .vgpr_count:     50
    .vgpr_spill_count: 0
    .wavefront_size: 64
  - .agpr_count:     0
    .args:
      - .actual_access:  write_only
        .address_space:  global
        .offset:         0
        .size:           8
        .value_kind:     global_buffer
      - .actual_access:  write_only
        .address_space:  global
        .offset:         8
        .size:           8
        .value_kind:     global_buffer
      - .actual_access:  read_only
        .address_space:  global
        .offset:         16
        .size:           8
        .value_kind:     global_buffer
      - .actual_access:  read_only
        .address_space:  global
        .offset:         24
        .size:           8
        .value_kind:     global_buffer
      - .actual_access:  read_only
        .address_space:  global
        .offset:         32
        .size:           8
        .value_kind:     global_buffer
      - .actual_access:  read_only
        .address_space:  global
        .offset:         40
        .size:           8
        .value_kind:     global_buffer
      - .actual_access:  read_only
        .address_space:  global
        .offset:         48
        .size:           8
        .value_kind:     global_buffer
      - .offset:         56
        .size:           4
        .value_kind:     by_value
      - .offset:         60
        .size:           4
        .value_kind:     by_value
      - .offset:         64
        .size:           4
        .value_kind:     by_value
      - .offset:         68
        .size:           4
        .value_kind:     by_value
      - .offset:         72
        .size:           4
        .value_kind:     by_value
      - .offset:         76
        .size:           4
        .value_kind:     by_value
      - .offset:         80
        .size:           4
        .value_kind:     by_value
      - .offset:         84
        .size:           4
        .value_kind:     by_value
      - .offset:         88
        .size:           4
        .value_kind:     by_value
      - .offset:         92
        .size:           4
        .value_kind:     by_value
      - .offset:         96
        .size:           1
        .value_kind:     by_value
      - .offset:         97
        .size:           1
        .value_kind:     by_value
    .group_segment_fixed_size: 16
    .kernarg_segment_align: 8
    .kernarg_segment_size: 100
    .language:       OpenCL C
    .language_version:
      - 2
      - 0
    .max_flat_workgroup_size: 1024
    .name:           _ZN5aiter43moe_smooth_per_token_scaled_quant_kernel_v2ItDB8_Li256ELi16EEEvPT0_PfPT_S4_PiS7_S7_iiiiiiiiiibb
    .private_segment_fixed_size: 0
    .sgpr_count:     63
    .sgpr_spill_count: 0
    .symbol:         _ZN5aiter43moe_smooth_per_token_scaled_quant_kernel_v2ItDB8_Li256ELi16EEEvPT0_PfPT_S4_PiS7_S7_iiiiiiiiiibb.kd
    .uniform_work_group_size: 1
    .uses_dynamic_stack: false
    .vgpr_count:     52
    .vgpr_spill_count: 0
    .wavefront_size: 64
  - .agpr_count:     0
    .args:
      - .actual_access:  write_only
        .address_space:  global
        .offset:         0
        .size:           8
        .value_kind:     global_buffer
      - .actual_access:  write_only
        .address_space:  global
        .offset:         8
        .size:           8
        .value_kind:     global_buffer
      - .actual_access:  read_only
        .address_space:  global
        .offset:         16
        .size:           8
        .value_kind:     global_buffer
      - .actual_access:  read_only
        .address_space:  global
        .offset:         24
        .size:           8
        .value_kind:     global_buffer
      - .actual_access:  read_only
        .address_space:  global
        .offset:         32
        .size:           8
        .value_kind:     global_buffer
      - .actual_access:  read_only
        .address_space:  global
        .offset:         40
        .size:           8
        .value_kind:     global_buffer
      - .actual_access:  read_only
        .address_space:  global
        .offset:         48
        .size:           8
        .value_kind:     global_buffer
      - .offset:         56
        .size:           4
        .value_kind:     by_value
      - .offset:         60
        .size:           4
        .value_kind:     by_value
      - .offset:         64
        .size:           4
        .value_kind:     by_value
      - .offset:         68
        .size:           4
        .value_kind:     by_value
      - .offset:         72
        .size:           4
        .value_kind:     by_value
      - .offset:         76
        .size:           4
        .value_kind:     by_value
      - .offset:         80
        .size:           4
        .value_kind:     by_value
      - .offset:         84
        .size:           4
        .value_kind:     by_value
      - .offset:         88
        .size:           4
        .value_kind:     by_value
      - .offset:         92
        .size:           4
        .value_kind:     by_value
      - .offset:         96
        .size:           1
        .value_kind:     by_value
      - .offset:         97
        .size:           1
        .value_kind:     by_value
    .group_segment_fixed_size: 32
    .kernarg_segment_align: 8
    .kernarg_segment_size: 100
    .language:       OpenCL C
    .language_version:
      - 2
      - 0
    .max_flat_workgroup_size: 1024
    .name:           _ZN5aiter43moe_smooth_per_token_scaled_quant_kernel_v2IDF16_DB8_Li512ELi16EEEvPT0_PfPT_S4_PiS7_S7_iiiiiiiiiibb
    .private_segment_fixed_size: 0
    .sgpr_count:     63
    .sgpr_spill_count: 0
    .symbol:         _ZN5aiter43moe_smooth_per_token_scaled_quant_kernel_v2IDF16_DB8_Li512ELi16EEEvPT0_PfPT_S4_PiS7_S7_iiiiiiiiiibb.kd
    .uniform_work_group_size: 1
    .uses_dynamic_stack: false
    .vgpr_count:     50
    .vgpr_spill_count: 0
    .wavefront_size: 64
  - .agpr_count:     0
    .args:
      - .actual_access:  write_only
        .address_space:  global
        .offset:         0
        .size:           8
        .value_kind:     global_buffer
      - .actual_access:  write_only
        .address_space:  global
        .offset:         8
        .size:           8
        .value_kind:     global_buffer
      - .actual_access:  read_only
        .address_space:  global
        .offset:         16
        .size:           8
        .value_kind:     global_buffer
      - .actual_access:  read_only
        .address_space:  global
        .offset:         24
        .size:           8
        .value_kind:     global_buffer
      - .actual_access:  read_only
        .address_space:  global
        .offset:         32
        .size:           8
        .value_kind:     global_buffer
      - .actual_access:  read_only
        .address_space:  global
        .offset:         40
        .size:           8
        .value_kind:     global_buffer
      - .actual_access:  read_only
        .address_space:  global
        .offset:         48
        .size:           8
        .value_kind:     global_buffer
      - .offset:         56
        .size:           4
        .value_kind:     by_value
      - .offset:         60
        .size:           4
        .value_kind:     by_value
      - .offset:         64
        .size:           4
        .value_kind:     by_value
      - .offset:         68
        .size:           4
        .value_kind:     by_value
      - .offset:         72
        .size:           4
        .value_kind:     by_value
      - .offset:         76
        .size:           4
        .value_kind:     by_value
      - .offset:         80
        .size:           4
        .value_kind:     by_value
      - .offset:         84
        .size:           4
        .value_kind:     by_value
      - .offset:         88
        .size:           4
        .value_kind:     by_value
      - .offset:         92
        .size:           4
        .value_kind:     by_value
      - .offset:         96
        .size:           1
        .value_kind:     by_value
      - .offset:         97
        .size:           1
        .value_kind:     by_value
    .group_segment_fixed_size: 32
    .kernarg_segment_align: 8
    .kernarg_segment_size: 100
    .language:       OpenCL C
    .language_version:
      - 2
      - 0
    .max_flat_workgroup_size: 1024
    .name:           _ZN5aiter43moe_smooth_per_token_scaled_quant_kernel_v2ItDB8_Li512ELi16EEEvPT0_PfPT_S4_PiS7_S7_iiiiiiiiiibb
    .private_segment_fixed_size: 0
    .sgpr_count:     63
    .sgpr_spill_count: 0
    .symbol:         _ZN5aiter43moe_smooth_per_token_scaled_quant_kernel_v2ItDB8_Li512ELi16EEEvPT0_PfPT_S4_PiS7_S7_iiiiiiiiiibb.kd
    .uniform_work_group_size: 1
    .uses_dynamic_stack: false
    .vgpr_count:     52
    .vgpr_spill_count: 0
    .wavefront_size: 64
  - .agpr_count:     0
    .args:
      - .actual_access:  write_only
        .address_space:  global
        .offset:         0
        .size:           8
        .value_kind:     global_buffer
      - .actual_access:  write_only
        .address_space:  global
        .offset:         8
        .size:           8
        .value_kind:     global_buffer
      - .actual_access:  read_only
        .address_space:  global
        .offset:         16
        .size:           8
        .value_kind:     global_buffer
      - .actual_access:  read_only
        .address_space:  global
        .offset:         24
        .size:           8
        .value_kind:     global_buffer
      - .actual_access:  read_only
        .address_space:  global
        .offset:         32
        .size:           8
        .value_kind:     global_buffer
      - .actual_access:  read_only
        .address_space:  global
        .offset:         40
        .size:           8
        .value_kind:     global_buffer
      - .actual_access:  read_only
        .address_space:  global
        .offset:         48
        .size:           8
        .value_kind:     global_buffer
      - .offset:         56
        .size:           4
        .value_kind:     by_value
      - .offset:         60
        .size:           4
        .value_kind:     by_value
      - .offset:         64
        .size:           4
        .value_kind:     by_value
      - .offset:         68
        .size:           4
        .value_kind:     by_value
      - .offset:         72
        .size:           4
        .value_kind:     by_value
      - .offset:         76
        .size:           4
        .value_kind:     by_value
      - .offset:         80
        .size:           4
        .value_kind:     by_value
      - .offset:         84
        .size:           4
        .value_kind:     by_value
      - .offset:         88
        .size:           4
        .value_kind:     by_value
      - .offset:         92
        .size:           4
        .value_kind:     by_value
      - .offset:         96
        .size:           1
        .value_kind:     by_value
      - .offset:         97
        .size:           1
        .value_kind:     by_value
    .group_segment_fixed_size: 8
    .kernarg_segment_align: 8
    .kernarg_segment_size: 100
    .language:       OpenCL C
    .language_version:
      - 2
      - 0
    .max_flat_workgroup_size: 1024
    .name:           _ZN5aiter43moe_smooth_per_token_scaled_quant_kernel_v2IDF16_aLi128ELi8EEEvPT0_PfPT_S3_PiS6_S6_iiiiiiiiiibb
    .private_segment_fixed_size: 0
    .sgpr_count:     60
    .sgpr_spill_count: 0
    .symbol:         _ZN5aiter43moe_smooth_per_token_scaled_quant_kernel_v2IDF16_aLi128ELi8EEEvPT0_PfPT_S3_PiS6_S6_iiiiiiiiiibb.kd
    .uniform_work_group_size: 1
    .uses_dynamic_stack: false
    .vgpr_count:     30
    .vgpr_spill_count: 0
    .wavefront_size: 64
  - .agpr_count:     0
    .args:
      - .actual_access:  write_only
        .address_space:  global
        .offset:         0
        .size:           8
        .value_kind:     global_buffer
      - .actual_access:  write_only
        .address_space:  global
        .offset:         8
        .size:           8
        .value_kind:     global_buffer
      - .actual_access:  read_only
        .address_space:  global
        .offset:         16
        .size:           8
        .value_kind:     global_buffer
      - .actual_access:  read_only
        .address_space:  global
        .offset:         24
        .size:           8
        .value_kind:     global_buffer
      - .actual_access:  read_only
        .address_space:  global
        .offset:         32
        .size:           8
        .value_kind:     global_buffer
      - .actual_access:  read_only
        .address_space:  global
        .offset:         40
        .size:           8
        .value_kind:     global_buffer
      - .actual_access:  read_only
        .address_space:  global
        .offset:         48
        .size:           8
        .value_kind:     global_buffer
      - .offset:         56
        .size:           4
        .value_kind:     by_value
      - .offset:         60
        .size:           4
        .value_kind:     by_value
      - .offset:         64
        .size:           4
        .value_kind:     by_value
      - .offset:         68
        .size:           4
        .value_kind:     by_value
      - .offset:         72
        .size:           4
        .value_kind:     by_value
      - .offset:         76
        .size:           4
        .value_kind:     by_value
      - .offset:         80
        .size:           4
        .value_kind:     by_value
      - .offset:         84
        .size:           4
        .value_kind:     by_value
      - .offset:         88
        .size:           4
        .value_kind:     by_value
      - .offset:         92
        .size:           4
        .value_kind:     by_value
      - .offset:         96
        .size:           1
        .value_kind:     by_value
      - .offset:         97
        .size:           1
        .value_kind:     by_value
    .group_segment_fixed_size: 8
    .kernarg_segment_align: 8
    .kernarg_segment_size: 100
    .language:       OpenCL C
    .language_version:
      - 2
      - 0
    .max_flat_workgroup_size: 1024
    .name:           _ZN5aiter43moe_smooth_per_token_scaled_quant_kernel_v2ItaLi128ELi8EEEvPT0_PfPT_S3_PiS6_S6_iiiiiiiiiibb
    .private_segment_fixed_size: 0
    .sgpr_count:     60
    .sgpr_spill_count: 0
    .symbol:         _ZN5aiter43moe_smooth_per_token_scaled_quant_kernel_v2ItaLi128ELi8EEEvPT0_PfPT_S3_PiS6_S6_iiiiiiiiiibb.kd
    .uniform_work_group_size: 1
    .uses_dynamic_stack: false
    .vgpr_count:     30
    .vgpr_spill_count: 0
    .wavefront_size: 64
  - .agpr_count:     0
    .args:
      - .actual_access:  write_only
        .address_space:  global
        .offset:         0
        .size:           8
        .value_kind:     global_buffer
      - .actual_access:  write_only
        .address_space:  global
        .offset:         8
        .size:           8
        .value_kind:     global_buffer
      - .actual_access:  read_only
        .address_space:  global
        .offset:         16
        .size:           8
        .value_kind:     global_buffer
      - .actual_access:  read_only
        .address_space:  global
        .offset:         24
        .size:           8
        .value_kind:     global_buffer
      - .actual_access:  read_only
        .address_space:  global
        .offset:         32
        .size:           8
        .value_kind:     global_buffer
      - .actual_access:  read_only
        .address_space:  global
        .offset:         40
        .size:           8
        .value_kind:     global_buffer
      - .actual_access:  read_only
        .address_space:  global
        .offset:         48
        .size:           8
        .value_kind:     global_buffer
      - .offset:         56
        .size:           4
        .value_kind:     by_value
      - .offset:         60
        .size:           4
        .value_kind:     by_value
      - .offset:         64
        .size:           4
        .value_kind:     by_value
      - .offset:         68
        .size:           4
        .value_kind:     by_value
      - .offset:         72
        .size:           4
        .value_kind:     by_value
      - .offset:         76
        .size:           4
        .value_kind:     by_value
      - .offset:         80
        .size:           4
        .value_kind:     by_value
      - .offset:         84
        .size:           4
        .value_kind:     by_value
      - .offset:         88
        .size:           4
        .value_kind:     by_value
      - .offset:         92
        .size:           4
        .value_kind:     by_value
      - .offset:         96
        .size:           1
        .value_kind:     by_value
      - .offset:         97
        .size:           1
        .value_kind:     by_value
    .group_segment_fixed_size: 16
    .kernarg_segment_align: 8
    .kernarg_segment_size: 100
    .language:       OpenCL C
    .language_version:
      - 2
      - 0
    .max_flat_workgroup_size: 1024
    .name:           _ZN5aiter43moe_smooth_per_token_scaled_quant_kernel_v2IDF16_aLi256ELi8EEEvPT0_PfPT_S3_PiS6_S6_iiiiiiiiiibb
    .private_segment_fixed_size: 0
    .sgpr_count:     60
    .sgpr_spill_count: 0
    .symbol:         _ZN5aiter43moe_smooth_per_token_scaled_quant_kernel_v2IDF16_aLi256ELi8EEEvPT0_PfPT_S3_PiS6_S6_iiiiiiiiiibb.kd
    .uniform_work_group_size: 1
    .uses_dynamic_stack: false
    .vgpr_count:     30
    .vgpr_spill_count: 0
    .wavefront_size: 64
  - .agpr_count:     0
    .args:
      - .actual_access:  write_only
        .address_space:  global
        .offset:         0
        .size:           8
        .value_kind:     global_buffer
      - .actual_access:  write_only
        .address_space:  global
        .offset:         8
        .size:           8
        .value_kind:     global_buffer
      - .actual_access:  read_only
        .address_space:  global
        .offset:         16
        .size:           8
        .value_kind:     global_buffer
      - .actual_access:  read_only
        .address_space:  global
        .offset:         24
        .size:           8
        .value_kind:     global_buffer
      - .actual_access:  read_only
        .address_space:  global
        .offset:         32
        .size:           8
        .value_kind:     global_buffer
      - .actual_access:  read_only
        .address_space:  global
        .offset:         40
        .size:           8
        .value_kind:     global_buffer
      - .actual_access:  read_only
        .address_space:  global
        .offset:         48
        .size:           8
        .value_kind:     global_buffer
      - .offset:         56
        .size:           4
        .value_kind:     by_value
      - .offset:         60
        .size:           4
        .value_kind:     by_value
      - .offset:         64
        .size:           4
        .value_kind:     by_value
      - .offset:         68
        .size:           4
        .value_kind:     by_value
      - .offset:         72
        .size:           4
        .value_kind:     by_value
      - .offset:         76
        .size:           4
        .value_kind:     by_value
      - .offset:         80
        .size:           4
        .value_kind:     by_value
      - .offset:         84
        .size:           4
        .value_kind:     by_value
      - .offset:         88
        .size:           4
        .value_kind:     by_value
      - .offset:         92
        .size:           4
        .value_kind:     by_value
      - .offset:         96
        .size:           1
        .value_kind:     by_value
      - .offset:         97
        .size:           1
        .value_kind:     by_value
    .group_segment_fixed_size: 16
    .kernarg_segment_align: 8
    .kernarg_segment_size: 100
    .language:       OpenCL C
    .language_version:
      - 2
      - 0
    .max_flat_workgroup_size: 1024
    .name:           _ZN5aiter43moe_smooth_per_token_scaled_quant_kernel_v2ItaLi256ELi8EEEvPT0_PfPT_S3_PiS6_S6_iiiiiiiiiibb
    .private_segment_fixed_size: 0
    .sgpr_count:     60
    .sgpr_spill_count: 0
    .symbol:         _ZN5aiter43moe_smooth_per_token_scaled_quant_kernel_v2ItaLi256ELi8EEEvPT0_PfPT_S3_PiS6_S6_iiiiiiiiiibb.kd
    .uniform_work_group_size: 1
    .uses_dynamic_stack: false
    .vgpr_count:     30
    .vgpr_spill_count: 0
    .wavefront_size: 64
  - .agpr_count:     0
    .args:
      - .actual_access:  write_only
        .address_space:  global
        .offset:         0
        .size:           8
        .value_kind:     global_buffer
      - .actual_access:  write_only
        .address_space:  global
        .offset:         8
        .size:           8
        .value_kind:     global_buffer
      - .actual_access:  read_only
        .address_space:  global
        .offset:         16
        .size:           8
        .value_kind:     global_buffer
      - .actual_access:  read_only
        .address_space:  global
        .offset:         24
        .size:           8
        .value_kind:     global_buffer
      - .actual_access:  read_only
        .address_space:  global
        .offset:         32
        .size:           8
        .value_kind:     global_buffer
      - .actual_access:  read_only
        .address_space:  global
        .offset:         40
        .size:           8
        .value_kind:     global_buffer
      - .actual_access:  read_only
        .address_space:  global
        .offset:         48
        .size:           8
        .value_kind:     global_buffer
      - .offset:         56
        .size:           4
        .value_kind:     by_value
      - .offset:         60
        .size:           4
        .value_kind:     by_value
      - .offset:         64
        .size:           4
        .value_kind:     by_value
      - .offset:         68
        .size:           4
        .value_kind:     by_value
      - .offset:         72
        .size:           4
        .value_kind:     by_value
      - .offset:         76
        .size:           4
        .value_kind:     by_value
      - .offset:         80
        .size:           4
        .value_kind:     by_value
      - .offset:         84
        .size:           4
        .value_kind:     by_value
      - .offset:         88
        .size:           4
        .value_kind:     by_value
      - .offset:         92
        .size:           4
        .value_kind:     by_value
      - .offset:         96
        .size:           1
        .value_kind:     by_value
      - .offset:         97
        .size:           1
        .value_kind:     by_value
    .group_segment_fixed_size: 16
    .kernarg_segment_align: 8
    .kernarg_segment_size: 100
    .language:       OpenCL C
    .language_version:
      - 2
      - 0
    .max_flat_workgroup_size: 1024
    .name:           _ZN5aiter43moe_smooth_per_token_scaled_quant_kernel_v2IDF16_aLi256ELi16EEEvPT0_PfPT_S3_PiS6_S6_iiiiiiiiiibb
    .private_segment_fixed_size: 0
    .sgpr_count:     60
    .sgpr_spill_count: 0
    .symbol:         _ZN5aiter43moe_smooth_per_token_scaled_quant_kernel_v2IDF16_aLi256ELi16EEEvPT0_PfPT_S3_PiS6_S6_iiiiiiiiiibb.kd
    .uniform_work_group_size: 1
    .uses_dynamic_stack: false
    .vgpr_count:     48
    .vgpr_spill_count: 0
    .wavefront_size: 64
  - .agpr_count:     0
    .args:
      - .actual_access:  write_only
        .address_space:  global
        .offset:         0
        .size:           8
        .value_kind:     global_buffer
      - .actual_access:  write_only
        .address_space:  global
        .offset:         8
        .size:           8
        .value_kind:     global_buffer
      - .actual_access:  read_only
        .address_space:  global
        .offset:         16
        .size:           8
        .value_kind:     global_buffer
      - .actual_access:  read_only
        .address_space:  global
        .offset:         24
        .size:           8
        .value_kind:     global_buffer
      - .actual_access:  read_only
        .address_space:  global
        .offset:         32
        .size:           8
        .value_kind:     global_buffer
      - .actual_access:  read_only
        .address_space:  global
        .offset:         40
        .size:           8
        .value_kind:     global_buffer
      - .actual_access:  read_only
        .address_space:  global
        .offset:         48
        .size:           8
        .value_kind:     global_buffer
      - .offset:         56
        .size:           4
        .value_kind:     by_value
      - .offset:         60
        .size:           4
        .value_kind:     by_value
      - .offset:         64
        .size:           4
        .value_kind:     by_value
      - .offset:         68
        .size:           4
        .value_kind:     by_value
      - .offset:         72
        .size:           4
        .value_kind:     by_value
      - .offset:         76
        .size:           4
        .value_kind:     by_value
      - .offset:         80
        .size:           4
        .value_kind:     by_value
      - .offset:         84
        .size:           4
        .value_kind:     by_value
      - .offset:         88
        .size:           4
        .value_kind:     by_value
      - .offset:         92
        .size:           4
        .value_kind:     by_value
      - .offset:         96
        .size:           1
        .value_kind:     by_value
      - .offset:         97
        .size:           1
        .value_kind:     by_value
    .group_segment_fixed_size: 16
    .kernarg_segment_align: 8
    .kernarg_segment_size: 100
    .language:       OpenCL C
    .language_version:
      - 2
      - 0
    .max_flat_workgroup_size: 1024
    .name:           _ZN5aiter43moe_smooth_per_token_scaled_quant_kernel_v2ItaLi256ELi16EEEvPT0_PfPT_S3_PiS6_S6_iiiiiiiiiibb
    .private_segment_fixed_size: 0
    .sgpr_count:     60
    .sgpr_spill_count: 0
    .symbol:         _ZN5aiter43moe_smooth_per_token_scaled_quant_kernel_v2ItaLi256ELi16EEEvPT0_PfPT_S3_PiS6_S6_iiiiiiiiiibb.kd
    .uniform_work_group_size: 1
    .uses_dynamic_stack: false
    .vgpr_count:     50
    .vgpr_spill_count: 0
    .wavefront_size: 64
  - .agpr_count:     0
    .args:
      - .actual_access:  write_only
        .address_space:  global
        .offset:         0
        .size:           8
        .value_kind:     global_buffer
      - .actual_access:  write_only
        .address_space:  global
        .offset:         8
        .size:           8
        .value_kind:     global_buffer
      - .actual_access:  read_only
        .address_space:  global
        .offset:         16
        .size:           8
        .value_kind:     global_buffer
      - .actual_access:  read_only
        .address_space:  global
        .offset:         24
        .size:           8
        .value_kind:     global_buffer
      - .actual_access:  read_only
        .address_space:  global
        .offset:         32
        .size:           8
        .value_kind:     global_buffer
      - .actual_access:  read_only
        .address_space:  global
        .offset:         40
        .size:           8
        .value_kind:     global_buffer
      - .actual_access:  read_only
        .address_space:  global
        .offset:         48
        .size:           8
        .value_kind:     global_buffer
      - .offset:         56
        .size:           4
        .value_kind:     by_value
      - .offset:         60
        .size:           4
        .value_kind:     by_value
      - .offset:         64
        .size:           4
        .value_kind:     by_value
      - .offset:         68
        .size:           4
        .value_kind:     by_value
      - .offset:         72
        .size:           4
        .value_kind:     by_value
      - .offset:         76
        .size:           4
        .value_kind:     by_value
      - .offset:         80
        .size:           4
        .value_kind:     by_value
      - .offset:         84
        .size:           4
        .value_kind:     by_value
      - .offset:         88
        .size:           4
        .value_kind:     by_value
      - .offset:         92
        .size:           4
        .value_kind:     by_value
      - .offset:         96
        .size:           1
        .value_kind:     by_value
      - .offset:         97
        .size:           1
        .value_kind:     by_value
    .group_segment_fixed_size: 32
    .kernarg_segment_align: 8
    .kernarg_segment_size: 100
    .language:       OpenCL C
    .language_version:
      - 2
      - 0
    .max_flat_workgroup_size: 1024
    .name:           _ZN5aiter43moe_smooth_per_token_scaled_quant_kernel_v2IDF16_aLi512ELi16EEEvPT0_PfPT_S3_PiS6_S6_iiiiiiiiiibb
    .private_segment_fixed_size: 0
    .sgpr_count:     60
    .sgpr_spill_count: 0
    .symbol:         _ZN5aiter43moe_smooth_per_token_scaled_quant_kernel_v2IDF16_aLi512ELi16EEEvPT0_PfPT_S3_PiS6_S6_iiiiiiiiiibb.kd
    .uniform_work_group_size: 1
    .uses_dynamic_stack: false
    .vgpr_count:     48
    .vgpr_spill_count: 0
    .wavefront_size: 64
  - .agpr_count:     0
    .args:
      - .actual_access:  write_only
        .address_space:  global
        .offset:         0
        .size:           8
        .value_kind:     global_buffer
      - .actual_access:  write_only
        .address_space:  global
        .offset:         8
        .size:           8
        .value_kind:     global_buffer
      - .actual_access:  read_only
        .address_space:  global
        .offset:         16
        .size:           8
        .value_kind:     global_buffer
      - .actual_access:  read_only
        .address_space:  global
        .offset:         24
        .size:           8
        .value_kind:     global_buffer
      - .actual_access:  read_only
        .address_space:  global
        .offset:         32
        .size:           8
        .value_kind:     global_buffer
      - .actual_access:  read_only
        .address_space:  global
        .offset:         40
        .size:           8
        .value_kind:     global_buffer
      - .actual_access:  read_only
        .address_space:  global
        .offset:         48
        .size:           8
        .value_kind:     global_buffer
      - .offset:         56
        .size:           4
        .value_kind:     by_value
      - .offset:         60
        .size:           4
        .value_kind:     by_value
      - .offset:         64
        .size:           4
        .value_kind:     by_value
      - .offset:         68
        .size:           4
        .value_kind:     by_value
      - .offset:         72
        .size:           4
        .value_kind:     by_value
      - .offset:         76
        .size:           4
        .value_kind:     by_value
      - .offset:         80
        .size:           4
        .value_kind:     by_value
      - .offset:         84
        .size:           4
        .value_kind:     by_value
      - .offset:         88
        .size:           4
        .value_kind:     by_value
      - .offset:         92
        .size:           4
        .value_kind:     by_value
      - .offset:         96
        .size:           1
        .value_kind:     by_value
      - .offset:         97
        .size:           1
        .value_kind:     by_value
    .group_segment_fixed_size: 32
    .kernarg_segment_align: 8
    .kernarg_segment_size: 100
    .language:       OpenCL C
    .language_version:
      - 2
      - 0
    .max_flat_workgroup_size: 1024
    .name:           _ZN5aiter43moe_smooth_per_token_scaled_quant_kernel_v2ItaLi512ELi16EEEvPT0_PfPT_S3_PiS6_S6_iiiiiiiiiibb
    .private_segment_fixed_size: 0
    .sgpr_count:     60
    .sgpr_spill_count: 0
    .symbol:         _ZN5aiter43moe_smooth_per_token_scaled_quant_kernel_v2ItaLi512ELi16EEEvPT0_PfPT_S3_PiS6_S6_iiiiiiiiiibb.kd
    .uniform_work_group_size: 1
    .uses_dynamic_stack: false
    .vgpr_count:     50
    .vgpr_spill_count: 0
    .wavefront_size: 64
  - .agpr_count:     0
    .args:
      - .actual_access:  write_only
        .address_space:  global
        .offset:         0
        .size:           8
        .value_kind:     global_buffer
      - .actual_access:  write_only
        .address_space:  global
        .offset:         8
        .size:           8
        .value_kind:     global_buffer
      - .actual_access:  read_only
        .address_space:  global
        .offset:         16
        .size:           8
        .value_kind:     global_buffer
      - .actual_access:  read_only
        .address_space:  global
        .offset:         24
        .size:           8
        .value_kind:     global_buffer
      - .actual_access:  read_only
        .address_space:  global
        .offset:         32
        .size:           8
        .value_kind:     global_buffer
      - .offset:         40
        .size:           4
        .value_kind:     by_value
      - .offset:         44
        .size:           4
        .value_kind:     by_value
      - .offset:         48
        .size:           4
        .value_kind:     by_value
      - .offset:         52
        .size:           4
        .value_kind:     by_value
      - .offset:         56
        .size:           4
        .value_kind:     by_value
      - .offset:         60
        .size:           4
        .value_kind:     by_value
      - .offset:         64
        .size:           4
        .value_kind:     by_value
      - .offset:         68
        .size:           4
        .value_kind:     by_value
      - .offset:         72
        .size:           4
        .value_kind:     by_value
    .group_segment_fixed_size: 0
    .kernarg_segment_align: 8
    .kernarg_segment_size: 76
    .language:       OpenCL C
    .language_version:
      - 2
      - 0
    .max_flat_workgroup_size: 1024
    .name:           _ZN5aiter30fused_mx_quant_moe_sort_kernelIDF16_DB8_Li64ELi8EEEvPT0_PhPKT_PKiS9_iiiiiiiii
    .private_segment_fixed_size: 0
    .sgpr_count:     58
    .sgpr_spill_count: 0
    .symbol:         _ZN5aiter30fused_mx_quant_moe_sort_kernelIDF16_DB8_Li64ELi8EEEvPT0_PhPKT_PKiS9_iiiiiiiii.kd
    .uniform_work_group_size: 1
    .uses_dynamic_stack: false
    .vgpr_count:     25
    .vgpr_spill_count: 0
    .wavefront_size: 64
  - .agpr_count:     0
    .args:
      - .actual_access:  write_only
        .address_space:  global
        .offset:         0
        .size:           8
        .value_kind:     global_buffer
      - .actual_access:  write_only
        .address_space:  global
        .offset:         8
        .size:           8
        .value_kind:     global_buffer
      - .actual_access:  read_only
        .address_space:  global
        .offset:         16
        .size:           8
        .value_kind:     global_buffer
      - .actual_access:  read_only
        .address_space:  global
        .offset:         24
        .size:           8
        .value_kind:     global_buffer
      - .actual_access:  read_only
        .address_space:  global
        .offset:         32
        .size:           8
        .value_kind:     global_buffer
      - .offset:         40
        .size:           4
        .value_kind:     by_value
      - .offset:         44
        .size:           4
        .value_kind:     by_value
      - .offset:         48
        .size:           4
        .value_kind:     by_value
      - .offset:         52
        .size:           4
        .value_kind:     by_value
      - .offset:         56
        .size:           4
        .value_kind:     by_value
      - .offset:         60
        .size:           4
        .value_kind:     by_value
      - .offset:         64
        .size:           4
        .value_kind:     by_value
      - .offset:         68
        .size:           4
        .value_kind:     by_value
      - .offset:         72
        .size:           4
        .value_kind:     by_value
    .group_segment_fixed_size: 0
    .kernarg_segment_align: 8
    .kernarg_segment_size: 76
    .language:       OpenCL C
    .language_version:
      - 2
      - 0
    .max_flat_workgroup_size: 1024
    .name:           _ZN5aiter30fused_mx_quant_moe_sort_kernelItDB8_Li64ELi8EEEvPT0_PhPKT_PKiS9_iiiiiiiii
    .private_segment_fixed_size: 0
    .sgpr_count:     58
    .sgpr_spill_count: 0
    .symbol:         _ZN5aiter30fused_mx_quant_moe_sort_kernelItDB8_Li64ELi8EEEvPT0_PhPKT_PKiS9_iiiiiiiii.kd
    .uniform_work_group_size: 1
    .uses_dynamic_stack: false
    .vgpr_count:     25
    .vgpr_spill_count: 0
    .wavefront_size: 64
  - .agpr_count:     0
    .args:
      - .actual_access:  write_only
        .address_space:  global
        .offset:         0
        .size:           8
        .value_kind:     global_buffer
      - .actual_access:  write_only
        .address_space:  global
        .offset:         8
        .size:           8
        .value_kind:     global_buffer
      - .actual_access:  read_only
        .address_space:  global
        .offset:         16
        .size:           8
        .value_kind:     global_buffer
      - .actual_access:  read_only
        .address_space:  global
        .offset:         24
        .size:           8
        .value_kind:     global_buffer
      - .actual_access:  read_only
        .address_space:  global
        .offset:         32
        .size:           8
        .value_kind:     global_buffer
      - .offset:         40
        .size:           4
        .value_kind:     by_value
      - .offset:         44
        .size:           4
        .value_kind:     by_value
      - .offset:         48
        .size:           4
        .value_kind:     by_value
      - .offset:         52
        .size:           4
        .value_kind:     by_value
      - .offset:         56
        .size:           4
        .value_kind:     by_value
      - .offset:         60
        .size:           4
        .value_kind:     by_value
      - .offset:         64
        .size:           4
        .value_kind:     by_value
      - .offset:         68
        .size:           4
        .value_kind:     by_value
      - .offset:         72
        .size:           4
        .value_kind:     by_value
    .group_segment_fixed_size: 0
    .kernarg_segment_align: 8
    .kernarg_segment_size: 76
    .language:       OpenCL C
    .language_version:
      - 2
      - 0
    .max_flat_workgroup_size: 1024
    .name:           _ZN5aiter30fused_mx_quant_moe_sort_kernelIDF16_DB8_Li128ELi8EEEvPT0_PhPKT_PKiS9_iiiiiiiii
    .private_segment_fixed_size: 0
    .sgpr_count:     58
    .sgpr_spill_count: 0
    .symbol:         _ZN5aiter30fused_mx_quant_moe_sort_kernelIDF16_DB8_Li128ELi8EEEvPT0_PhPKT_PKiS9_iiiiiiiii.kd
    .uniform_work_group_size: 1
    .uses_dynamic_stack: false
    .vgpr_count:     25
    .vgpr_spill_count: 0
    .wavefront_size: 64
  - .agpr_count:     0
    .args:
      - .actual_access:  write_only
        .address_space:  global
        .offset:         0
        .size:           8
        .value_kind:     global_buffer
      - .actual_access:  write_only
        .address_space:  global
        .offset:         8
        .size:           8
        .value_kind:     global_buffer
      - .actual_access:  read_only
        .address_space:  global
        .offset:         16
        .size:           8
        .value_kind:     global_buffer
      - .actual_access:  read_only
        .address_space:  global
        .offset:         24
        .size:           8
        .value_kind:     global_buffer
      - .actual_access:  read_only
        .address_space:  global
        .offset:         32
        .size:           8
        .value_kind:     global_buffer
      - .offset:         40
        .size:           4
        .value_kind:     by_value
      - .offset:         44
        .size:           4
        .value_kind:     by_value
      - .offset:         48
        .size:           4
        .value_kind:     by_value
      - .offset:         52
        .size:           4
        .value_kind:     by_value
      - .offset:         56
        .size:           4
        .value_kind:     by_value
      - .offset:         60
        .size:           4
        .value_kind:     by_value
      - .offset:         64
        .size:           4
        .value_kind:     by_value
      - .offset:         68
        .size:           4
        .value_kind:     by_value
      - .offset:         72
        .size:           4
        .value_kind:     by_value
    .group_segment_fixed_size: 0
    .kernarg_segment_align: 8
    .kernarg_segment_size: 76
    .language:       OpenCL C
    .language_version:
      - 2
      - 0
    .max_flat_workgroup_size: 1024
    .name:           _ZN5aiter30fused_mx_quant_moe_sort_kernelItDB8_Li128ELi8EEEvPT0_PhPKT_PKiS9_iiiiiiiii
    .private_segment_fixed_size: 0
    .sgpr_count:     58
    .sgpr_spill_count: 0
    .symbol:         _ZN5aiter30fused_mx_quant_moe_sort_kernelItDB8_Li128ELi8EEEvPT0_PhPKT_PKiS9_iiiiiiiii.kd
    .uniform_work_group_size: 1
    .uses_dynamic_stack: false
    .vgpr_count:     25
    .vgpr_spill_count: 0
    .wavefront_size: 64
  - .agpr_count:     0
    .args:
      - .actual_access:  write_only
        .address_space:  global
        .offset:         0
        .size:           8
        .value_kind:     global_buffer
      - .actual_access:  write_only
        .address_space:  global
        .offset:         8
        .size:           8
        .value_kind:     global_buffer
      - .actual_access:  read_only
        .address_space:  global
        .offset:         16
        .size:           8
        .value_kind:     global_buffer
      - .actual_access:  read_only
        .address_space:  global
        .offset:         24
        .size:           8
        .value_kind:     global_buffer
      - .actual_access:  read_only
        .address_space:  global
        .offset:         32
        .size:           8
        .value_kind:     global_buffer
      - .offset:         40
        .size:           4
        .value_kind:     by_value
      - .offset:         44
        .size:           4
        .value_kind:     by_value
      - .offset:         48
        .size:           4
        .value_kind:     by_value
      - .offset:         52
        .size:           4
        .value_kind:     by_value
      - .offset:         56
        .size:           4
        .value_kind:     by_value
      - .offset:         60
        .size:           4
        .value_kind:     by_value
      - .offset:         64
        .size:           4
        .value_kind:     by_value
      - .offset:         68
        .size:           4
        .value_kind:     by_value
      - .offset:         72
        .size:           4
        .value_kind:     by_value
    .group_segment_fixed_size: 0
    .kernarg_segment_align: 8
    .kernarg_segment_size: 76
    .language:       OpenCL C
    .language_version:
      - 2
      - 0
    .max_flat_workgroup_size: 1024
    .name:           _ZN5aiter30fused_mx_quant_moe_sort_kernelIDF16_DB8_Li256ELi8EEEvPT0_PhPKT_PKiS9_iiiiiiiii
    .private_segment_fixed_size: 0
    .sgpr_count:     58
    .sgpr_spill_count: 0
    .symbol:         _ZN5aiter30fused_mx_quant_moe_sort_kernelIDF16_DB8_Li256ELi8EEEvPT0_PhPKT_PKiS9_iiiiiiiii.kd
    .uniform_work_group_size: 1
    .uses_dynamic_stack: false
    .vgpr_count:     25
    .vgpr_spill_count: 0
    .wavefront_size: 64
  - .agpr_count:     0
    .args:
      - .actual_access:  write_only
        .address_space:  global
        .offset:         0
        .size:           8
        .value_kind:     global_buffer
      - .actual_access:  write_only
        .address_space:  global
        .offset:         8
        .size:           8
        .value_kind:     global_buffer
      - .actual_access:  read_only
        .address_space:  global
        .offset:         16
        .size:           8
        .value_kind:     global_buffer
      - .actual_access:  read_only
        .address_space:  global
        .offset:         24
        .size:           8
        .value_kind:     global_buffer
      - .actual_access:  read_only
        .address_space:  global
        .offset:         32
        .size:           8
        .value_kind:     global_buffer
      - .offset:         40
        .size:           4
        .value_kind:     by_value
      - .offset:         44
        .size:           4
        .value_kind:     by_value
      - .offset:         48
        .size:           4
        .value_kind:     by_value
      - .offset:         52
        .size:           4
        .value_kind:     by_value
      - .offset:         56
        .size:           4
        .value_kind:     by_value
      - .offset:         60
        .size:           4
        .value_kind:     by_value
      - .offset:         64
        .size:           4
        .value_kind:     by_value
      - .offset:         68
        .size:           4
        .value_kind:     by_value
      - .offset:         72
        .size:           4
        .value_kind:     by_value
    .group_segment_fixed_size: 0
    .kernarg_segment_align: 8
    .kernarg_segment_size: 76
    .language:       OpenCL C
    .language_version:
      - 2
      - 0
    .max_flat_workgroup_size: 1024
    .name:           _ZN5aiter30fused_mx_quant_moe_sort_kernelItDB8_Li256ELi8EEEvPT0_PhPKT_PKiS9_iiiiiiiii
    .private_segment_fixed_size: 0
    .sgpr_count:     58
    .sgpr_spill_count: 0
    .symbol:         _ZN5aiter30fused_mx_quant_moe_sort_kernelItDB8_Li256ELi8EEEvPT0_PhPKT_PKiS9_iiiiiiiii.kd
    .uniform_work_group_size: 1
    .uses_dynamic_stack: false
    .vgpr_count:     25
    .vgpr_spill_count: 0
    .wavefront_size: 64
  - .agpr_count:     0
    .args:
      - .actual_access:  write_only
        .address_space:  global
        .offset:         0
        .size:           8
        .value_kind:     global_buffer
      - .actual_access:  write_only
        .address_space:  global
        .offset:         8
        .size:           8
        .value_kind:     global_buffer
      - .actual_access:  read_only
        .address_space:  global
        .offset:         16
        .size:           8
        .value_kind:     global_buffer
      - .actual_access:  read_only
        .address_space:  global
        .offset:         24
        .size:           8
        .value_kind:     global_buffer
      - .actual_access:  read_only
        .address_space:  global
        .offset:         32
        .size:           8
        .value_kind:     global_buffer
      - .offset:         40
        .size:           4
        .value_kind:     by_value
      - .offset:         44
        .size:           4
        .value_kind:     by_value
      - .offset:         48
        .size:           4
        .value_kind:     by_value
      - .offset:         52
        .size:           4
        .value_kind:     by_value
      - .offset:         56
        .size:           4
        .value_kind:     by_value
      - .offset:         60
        .size:           4
        .value_kind:     by_value
      - .offset:         64
        .size:           4
        .value_kind:     by_value
      - .offset:         68
        .size:           4
        .value_kind:     by_value
      - .offset:         72
        .size:           4
        .value_kind:     by_value
    .group_segment_fixed_size: 0
    .kernarg_segment_align: 8
    .kernarg_segment_size: 76
    .language:       OpenCL C
    .language_version:
      - 2
      - 0
    .max_flat_workgroup_size: 1024
    .name:           _ZN5aiter30fused_mx_quant_moe_sort_kernelIDF16_DB8_Li256ELi16EEEvPT0_PhPKT_PKiS9_iiiiiiiii
    .private_segment_fixed_size: 0
    .sgpr_count:     59
    .sgpr_spill_count: 0
    .symbol:         _ZN5aiter30fused_mx_quant_moe_sort_kernelIDF16_DB8_Li256ELi16EEEvPT0_PhPKT_PKiS9_iiiiiiiii.kd
    .uniform_work_group_size: 1
    .uses_dynamic_stack: false
    .vgpr_count:     34
    .vgpr_spill_count: 0
    .wavefront_size: 64
  - .agpr_count:     0
    .args:
      - .actual_access:  write_only
        .address_space:  global
        .offset:         0
        .size:           8
        .value_kind:     global_buffer
      - .actual_access:  write_only
        .address_space:  global
        .offset:         8
        .size:           8
        .value_kind:     global_buffer
      - .actual_access:  read_only
        .address_space:  global
        .offset:         16
        .size:           8
        .value_kind:     global_buffer
      - .actual_access:  read_only
        .address_space:  global
        .offset:         24
        .size:           8
        .value_kind:     global_buffer
      - .actual_access:  read_only
        .address_space:  global
        .offset:         32
        .size:           8
        .value_kind:     global_buffer
      - .offset:         40
        .size:           4
        .value_kind:     by_value
      - .offset:         44
        .size:           4
        .value_kind:     by_value
      - .offset:         48
        .size:           4
        .value_kind:     by_value
      - .offset:         52
        .size:           4
        .value_kind:     by_value
      - .offset:         56
        .size:           4
        .value_kind:     by_value
      - .offset:         60
        .size:           4
        .value_kind:     by_value
      - .offset:         64
        .size:           4
        .value_kind:     by_value
      - .offset:         68
        .size:           4
        .value_kind:     by_value
      - .offset:         72
        .size:           4
        .value_kind:     by_value
    .group_segment_fixed_size: 0
    .kernarg_segment_align: 8
    .kernarg_segment_size: 76
    .language:       OpenCL C
    .language_version:
      - 2
      - 0
    .max_flat_workgroup_size: 1024
    .name:           _ZN5aiter30fused_mx_quant_moe_sort_kernelItDB8_Li256ELi16EEEvPT0_PhPKT_PKiS9_iiiiiiiii
    .private_segment_fixed_size: 0
    .sgpr_count:     59
    .sgpr_spill_count: 0
    .symbol:         _ZN5aiter30fused_mx_quant_moe_sort_kernelItDB8_Li256ELi16EEEvPT0_PhPKT_PKiS9_iiiiiiiii.kd
    .uniform_work_group_size: 1
    .uses_dynamic_stack: false
    .vgpr_count:     34
    .vgpr_spill_count: 0
    .wavefront_size: 64
  - .agpr_count:     0
    .args:
      - .actual_access:  write_only
        .address_space:  global
        .offset:         0
        .size:           8
        .value_kind:     global_buffer
      - .actual_access:  write_only
        .address_space:  global
        .offset:         8
        .size:           8
        .value_kind:     global_buffer
      - .actual_access:  read_only
        .address_space:  global
        .offset:         16
        .size:           8
        .value_kind:     global_buffer
      - .actual_access:  read_only
        .address_space:  global
        .offset:         24
        .size:           8
        .value_kind:     global_buffer
      - .actual_access:  read_only
        .address_space:  global
        .offset:         32
        .size:           8
        .value_kind:     global_buffer
      - .offset:         40
        .size:           4
        .value_kind:     by_value
      - .offset:         44
        .size:           4
        .value_kind:     by_value
      - .offset:         48
        .size:           4
        .value_kind:     by_value
      - .offset:         52
        .size:           4
        .value_kind:     by_value
      - .offset:         56
        .size:           4
        .value_kind:     by_value
      - .offset:         60
        .size:           4
        .value_kind:     by_value
      - .offset:         64
        .size:           4
        .value_kind:     by_value
      - .offset:         68
        .size:           4
        .value_kind:     by_value
      - .offset:         72
        .size:           4
        .value_kind:     by_value
    .group_segment_fixed_size: 0
    .kernarg_segment_align: 8
    .kernarg_segment_size: 76
    .language:       OpenCL C
    .language_version:
      - 2
      - 0
    .max_flat_workgroup_size: 1024
    .name:           _ZN5aiter30fused_mx_quant_moe_sort_kernelIDF16_DB8_Li256ELi32EEEvPT0_PhPKT_PKiS9_iiiiiiiii
    .private_segment_fixed_size: 0
    .sgpr_count:     59
    .sgpr_spill_count: 0
    .symbol:         _ZN5aiter30fused_mx_quant_moe_sort_kernelIDF16_DB8_Li256ELi32EEEvPT0_PhPKT_PKiS9_iiiiiiiii.kd
    .uniform_work_group_size: 1
    .uses_dynamic_stack: false
    .vgpr_count:     56
    .vgpr_spill_count: 0
    .wavefront_size: 64
  - .agpr_count:     0
    .args:
      - .actual_access:  write_only
        .address_space:  global
        .offset:         0
        .size:           8
        .value_kind:     global_buffer
      - .actual_access:  write_only
        .address_space:  global
        .offset:         8
        .size:           8
        .value_kind:     global_buffer
      - .actual_access:  read_only
        .address_space:  global
        .offset:         16
        .size:           8
        .value_kind:     global_buffer
      - .actual_access:  read_only
        .address_space:  global
        .offset:         24
        .size:           8
        .value_kind:     global_buffer
      - .actual_access:  read_only
        .address_space:  global
        .offset:         32
        .size:           8
        .value_kind:     global_buffer
      - .offset:         40
        .size:           4
        .value_kind:     by_value
      - .offset:         44
        .size:           4
        .value_kind:     by_value
      - .offset:         48
        .size:           4
        .value_kind:     by_value
      - .offset:         52
        .size:           4
        .value_kind:     by_value
      - .offset:         56
        .size:           4
        .value_kind:     by_value
      - .offset:         60
        .size:           4
        .value_kind:     by_value
      - .offset:         64
        .size:           4
        .value_kind:     by_value
      - .offset:         68
        .size:           4
        .value_kind:     by_value
      - .offset:         72
        .size:           4
        .value_kind:     by_value
    .group_segment_fixed_size: 0
    .kernarg_segment_align: 8
    .kernarg_segment_size: 76
    .language:       OpenCL C
    .language_version:
      - 2
      - 0
    .max_flat_workgroup_size: 1024
    .name:           _ZN5aiter30fused_mx_quant_moe_sort_kernelItDB8_Li256ELi32EEEvPT0_PhPKT_PKiS9_iiiiiiiii
    .private_segment_fixed_size: 0
    .sgpr_count:     59
    .sgpr_spill_count: 0
    .symbol:         _ZN5aiter30fused_mx_quant_moe_sort_kernelItDB8_Li256ELi32EEEvPT0_PhPKT_PKiS9_iiiiiiiii.kd
    .uniform_work_group_size: 1
    .uses_dynamic_stack: false
    .vgpr_count:     56
    .vgpr_spill_count: 0
    .wavefront_size: 64
  - .agpr_count:     0
    .args:
      - .actual_access:  write_only
        .address_space:  global
        .offset:         0
        .size:           8
        .value_kind:     global_buffer
      - .actual_access:  read_only
        .address_space:  global
        .offset:         8
        .size:           8
        .value_kind:     global_buffer
      - .actual_access:  read_only
        .address_space:  global
        .offset:         16
        .size:           8
        .value_kind:     global_buffer
      - .actual_access:  read_only
        .address_space:  global
        .offset:         24
        .size:           8
        .value_kind:     global_buffer
      - .offset:         32
        .size:           4
        .value_kind:     by_value
      - .offset:         36
        .size:           4
        .value_kind:     by_value
      - .offset:         40
        .size:           4
        .value_kind:     by_value
      - .offset:         44
        .size:           4
        .value_kind:     by_value
      - .offset:         48
        .size:           4
        .value_kind:     by_value
    .group_segment_fixed_size: 0
    .kernarg_segment_align: 8
    .kernarg_segment_size: 52
    .language:       OpenCL C
    .language_version:
      - 2
      - 0
    .max_flat_workgroup_size: 1024
    .name:           _ZN5aiter21mxfp4_moe_sort_kernelILi256ELi128ELi4ELi32EEEvPhS1_PKiS3_iiiii
    .private_segment_fixed_size: 0
    .sgpr_count:     42
    .sgpr_spill_count: 0
    .symbol:         _ZN5aiter21mxfp4_moe_sort_kernelILi256ELi128ELi4ELi32EEEvPhS1_PKiS3_iiiii.kd
    .uniform_work_group_size: 1
    .uses_dynamic_stack: false
    .vgpr_count:     11
    .vgpr_spill_count: 0
    .wavefront_size: 64
  - .agpr_count:     0
    .args:
      - .actual_access:  write_only
        .address_space:  global
        .offset:         0
        .size:           8
        .value_kind:     global_buffer
      - .actual_access:  read_only
        .address_space:  global
        .offset:         8
        .size:           8
        .value_kind:     global_buffer
      - .actual_access:  read_only
        .address_space:  global
        .offset:         16
        .size:           8
        .value_kind:     global_buffer
      - .actual_access:  read_only
        .address_space:  global
        .offset:         24
        .size:           8
        .value_kind:     global_buffer
      - .offset:         32
        .size:           4
        .value_kind:     by_value
      - .offset:         36
        .size:           4
        .value_kind:     by_value
      - .offset:         40
        .size:           4
        .value_kind:     by_value
      - .offset:         44
        .size:           4
        .value_kind:     by_value
      - .offset:         48
        .size:           4
        .value_kind:     by_value
    .group_segment_fixed_size: 0
    .kernarg_segment_align: 8
    .kernarg_segment_size: 52
    .language:       OpenCL C
    .language_version:
      - 2
      - 0
    .max_flat_workgroup_size: 1024
    .name:           _ZN5aiter21mxfp4_moe_sort_kernelILi256ELi64ELi4ELi32EEEvPhS1_PKiS3_iiiii
    .private_segment_fixed_size: 0
    .sgpr_count:     42
    .sgpr_spill_count: 0
    .symbol:         _ZN5aiter21mxfp4_moe_sort_kernelILi256ELi64ELi4ELi32EEEvPhS1_PKiS3_iiiii.kd
    .uniform_work_group_size: 1
    .uses_dynamic_stack: false
    .vgpr_count:     11
    .vgpr_spill_count: 0
    .wavefront_size: 64
  - .agpr_count:     0
    .args:
      - .actual_access:  write_only
        .address_space:  global
        .offset:         0
        .size:           8
        .value_kind:     global_buffer
      - .actual_access:  read_only
        .address_space:  global
        .offset:         8
        .size:           8
        .value_kind:     global_buffer
      - .actual_access:  read_only
        .address_space:  global
        .offset:         16
        .size:           8
        .value_kind:     global_buffer
      - .actual_access:  read_only
        .address_space:  global
        .offset:         24
        .size:           8
        .value_kind:     global_buffer
      - .offset:         32
        .size:           4
        .value_kind:     by_value
      - .offset:         36
        .size:           4
        .value_kind:     by_value
      - .offset:         40
        .size:           4
        .value_kind:     by_value
      - .offset:         44
        .size:           4
        .value_kind:     by_value
      - .offset:         48
        .size:           4
        .value_kind:     by_value
    .group_segment_fixed_size: 0
    .kernarg_segment_align: 8
    .kernarg_segment_size: 52
    .language:       OpenCL C
    .language_version:
      - 2
      - 0
    .max_flat_workgroup_size: 1024
    .name:           _ZN5aiter21mxfp4_moe_sort_kernelILi256ELi32ELi4ELi32EEEvPhS1_PKiS3_iiiii
    .private_segment_fixed_size: 0
    .sgpr_count:     42
    .sgpr_spill_count: 0
    .symbol:         _ZN5aiter21mxfp4_moe_sort_kernelILi256ELi32ELi4ELi32EEEvPhS1_PKiS3_iiiii.kd
    .uniform_work_group_size: 1
    .uses_dynamic_stack: false
    .vgpr_count:     11
    .vgpr_spill_count: 0
    .wavefront_size: 64
  - .agpr_count:     0
    .args:
      - .actual_access:  write_only
        .address_space:  global
        .offset:         0
        .size:           8
        .value_kind:     global_buffer
      - .actual_access:  read_only
        .address_space:  global
        .offset:         8
        .size:           8
        .value_kind:     global_buffer
      - .actual_access:  read_only
        .address_space:  global
        .offset:         16
        .size:           8
        .value_kind:     global_buffer
      - .actual_access:  read_only
        .address_space:  global
        .offset:         24
        .size:           8
        .value_kind:     global_buffer
      - .offset:         32
        .size:           4
        .value_kind:     by_value
      - .offset:         36
        .size:           4
        .value_kind:     by_value
      - .offset:         40
        .size:           4
        .value_kind:     by_value
      - .offset:         44
        .size:           4
        .value_kind:     by_value
      - .offset:         48
        .size:           4
        .value_kind:     by_value
    .group_segment_fixed_size: 0
    .kernarg_segment_align: 8
    .kernarg_segment_size: 52
    .language:       OpenCL C
    .language_version:
      - 2
      - 0
    .max_flat_workgroup_size: 1024
    .name:           _ZN5aiter21mxfp4_moe_sort_kernelILi256ELi32ELi8ELi32EEEvPhS1_PKiS3_iiiii
    .private_segment_fixed_size: 0
    .sgpr_count:     58
    .sgpr_spill_count: 0
    .symbol:         _ZN5aiter21mxfp4_moe_sort_kernelILi256ELi32ELi8ELi32EEEvPhS1_PKiS3_iiiii.kd
    .uniform_work_group_size: 1
    .uses_dynamic_stack: false
    .vgpr_count:     12
    .vgpr_spill_count: 0
    .wavefront_size: 64
  - .agpr_count:     0
    .args:
      - .actual_access:  write_only
        .address_space:  global
        .offset:         0
        .size:           8
        .value_kind:     global_buffer
      - .actual_access:  read_only
        .address_space:  global
        .offset:         8
        .size:           8
        .value_kind:     global_buffer
      - .actual_access:  read_only
        .address_space:  global
        .offset:         16
        .size:           8
        .value_kind:     global_buffer
      - .actual_access:  read_only
        .address_space:  global
        .offset:         24
        .size:           8
        .value_kind:     global_buffer
      - .offset:         32
        .size:           4
        .value_kind:     by_value
      - .offset:         36
        .size:           4
        .value_kind:     by_value
      - .offset:         40
        .size:           4
        .value_kind:     by_value
      - .offset:         44
        .size:           4
        .value_kind:     by_value
      - .offset:         48
        .size:           4
        .value_kind:     by_value
    .group_segment_fixed_size: 0
    .kernarg_segment_align: 8
    .kernarg_segment_size: 52
    .language:       OpenCL C
    .language_version:
      - 2
      - 0
    .max_flat_workgroup_size: 1024
    .name:           _ZN5aiter21mxfp4_moe_sort_kernelILi256ELi32ELi16ELi32EEEvPhS1_PKiS3_iiiii
    .private_segment_fixed_size: 0
    .sgpr_count:     65
    .sgpr_spill_count: 0
    .symbol:         _ZN5aiter21mxfp4_moe_sort_kernelILi256ELi32ELi16ELi32EEEvPhS1_PKiS3_iiiii.kd
    .uniform_work_group_size: 1
    .uses_dynamic_stack: false
    .vgpr_count:     22
    .vgpr_spill_count: 0
    .wavefront_size: 64
  - .agpr_count:     0
    .args:
      - .actual_access:  write_only
        .address_space:  global
        .offset:         0
        .size:           8
        .value_kind:     global_buffer
      - .actual_access:  read_only
        .address_space:  global
        .offset:         8
        .size:           8
        .value_kind:     global_buffer
      - .actual_access:  read_only
        .address_space:  global
        .offset:         16
        .size:           8
        .value_kind:     global_buffer
      - .actual_access:  read_only
        .address_space:  global
        .offset:         24
        .size:           8
        .value_kind:     global_buffer
      - .offset:         32
        .size:           4
        .value_kind:     by_value
      - .offset:         36
        .size:           4
        .value_kind:     by_value
      - .offset:         40
        .size:           4
        .value_kind:     by_value
      - .offset:         44
        .size:           4
        .value_kind:     by_value
      - .offset:         48
        .size:           4
        .value_kind:     by_value
    .group_segment_fixed_size: 0
    .kernarg_segment_align: 8
    .kernarg_segment_size: 52
    .language:       OpenCL C
    .language_version:
      - 2
      - 0
    .max_flat_workgroup_size: 1024
    .name:           _ZN5aiter21mxfp4_moe_sort_kernelILi256ELi32ELi24ELi32EEEvPhS1_PKiS3_iiiii
    .private_segment_fixed_size: 0
    .sgpr_count:     81
    .sgpr_spill_count: 0
    .symbol:         _ZN5aiter21mxfp4_moe_sort_kernelILi256ELi32ELi24ELi32EEEvPhS1_PKiS3_iiiii.kd
    .uniform_work_group_size: 1
    .uses_dynamic_stack: false
    .vgpr_count:     32
    .vgpr_spill_count: 0
    .wavefront_size: 64
  - .agpr_count:     0
    .args:
      - .actual_access:  write_only
        .address_space:  global
        .offset:         0
        .size:           8
        .value_kind:     global_buffer
      - .actual_access:  read_only
        .address_space:  global
        .offset:         8
        .size:           8
        .value_kind:     global_buffer
      - .actual_access:  read_only
        .address_space:  global
        .offset:         16
        .size:           8
        .value_kind:     global_buffer
      - .actual_access:  read_only
        .address_space:  global
        .offset:         24
        .size:           8
        .value_kind:     global_buffer
      - .offset:         32
        .size:           4
        .value_kind:     by_value
      - .offset:         36
        .size:           4
        .value_kind:     by_value
      - .offset:         40
        .size:           4
        .value_kind:     by_value
      - .offset:         44
        .size:           4
        .value_kind:     by_value
      - .offset:         48
        .size:           4
        .value_kind:     by_value
    .group_segment_fixed_size: 0
    .kernarg_segment_align: 8
    .kernarg_segment_size: 52
    .language:       OpenCL C
    .language_version:
      - 2
      - 0
    .max_flat_workgroup_size: 1024
    .name:           _ZN5aiter21mxfp4_moe_sort_kernelILi256ELi32ELi32ELi32EEEvPhS1_PKiS3_iiiii
    .private_segment_fixed_size: 0
    .sgpr_count:     97
    .sgpr_spill_count: 0
    .symbol:         _ZN5aiter21mxfp4_moe_sort_kernelILi256ELi32ELi32ELi32EEEvPhS1_PKiS3_iiiii.kd
    .uniform_work_group_size: 1
    .uses_dynamic_stack: false
    .vgpr_count:     42
    .vgpr_spill_count: 0
    .wavefront_size: 64
  - .agpr_count:     0
    .args:
      - .actual_access:  write_only
        .address_space:  global
        .offset:         0
        .size:           8
        .value_kind:     global_buffer
      - .actual_access:  read_only
        .address_space:  global
        .offset:         8
        .size:           8
        .value_kind:     global_buffer
      - .actual_access:  read_only
        .address_space:  global
        .offset:         16
        .size:           8
        .value_kind:     global_buffer
      - .actual_access:  read_only
        .address_space:  global
        .offset:         24
        .size:           8
        .value_kind:     global_buffer
      - .offset:         32
        .size:           4
        .value_kind:     by_value
      - .offset:         36
        .size:           4
        .value_kind:     by_value
      - .offset:         40
        .size:           4
        .value_kind:     by_value
      - .offset:         44
        .size:           4
        .value_kind:     by_value
      - .offset:         48
        .size:           4
        .value_kind:     by_value
    .group_segment_fixed_size: 0
    .kernarg_segment_align: 8
    .kernarg_segment_size: 52
    .language:       OpenCL C
    .language_version:
      - 2
      - 0
    .max_flat_workgroup_size: 1024
    .name:           _ZN5aiter21mxfp4_moe_sort_kernelILi256ELi16ELi32ELi32EEEvPhS1_PKiS3_iiiii
    .private_segment_fixed_size: 0
    .sgpr_count:     97
    .sgpr_spill_count: 0
    .symbol:         _ZN5aiter21mxfp4_moe_sort_kernelILi256ELi16ELi32ELi32EEEvPhS1_PKiS3_iiiii.kd
    .uniform_work_group_size: 1
    .uses_dynamic_stack: false
    .vgpr_count:     42
    .vgpr_spill_count: 0
    .wavefront_size: 64
amdhsa.target:   amdgcn-amd-amdhsa--gfx90a
amdhsa.version:
  - 1
  - 2
...

	.end_amdgpu_metadata
